;; amdgpu-corpus repo=ROCm/rocSPARSE kind=compiled arch=gfx1201 opt=O3
	.amdgcn_target "amdgcn-amd-amdhsa--gfx1201"
	.amdhsa_code_object_version 6
	.section	.text._ZN9rocsparseL22csrmvn_adaptive_kernelIiiffffEEvbT_PKS1_PjPKT0_NS_24const_host_device_scalarIT4_EES3_S7_PKT1_PKT2_SA_PT3_21rocsparse_index_base_b,"axG",@progbits,_ZN9rocsparseL22csrmvn_adaptive_kernelIiiffffEEvbT_PKS1_PjPKT0_NS_24const_host_device_scalarIT4_EES3_S7_PKT1_PKT2_SA_PT3_21rocsparse_index_base_b,comdat
	.globl	_ZN9rocsparseL22csrmvn_adaptive_kernelIiiffffEEvbT_PKS1_PjPKT0_NS_24const_host_device_scalarIT4_EES3_S7_PKT1_PKT2_SA_PT3_21rocsparse_index_base_b ; -- Begin function _ZN9rocsparseL22csrmvn_adaptive_kernelIiiffffEEvbT_PKS1_PjPKT0_NS_24const_host_device_scalarIT4_EES3_S7_PKT1_PKT2_SA_PT3_21rocsparse_index_base_b
	.p2align	8
	.type	_ZN9rocsparseL22csrmvn_adaptive_kernelIiiffffEEvbT_PKS1_PjPKT0_NS_24const_host_device_scalarIT4_EES3_S7_PKT1_PKT2_SA_PT3_21rocsparse_index_base_b,@function
_ZN9rocsparseL22csrmvn_adaptive_kernelIiiffffEEvbT_PKS1_PjPKT0_NS_24const_host_device_scalarIT4_EES3_S7_PKT1_PKT2_SA_PT3_21rocsparse_index_base_b: ; @_ZN9rocsparseL22csrmvn_adaptive_kernelIiiffffEEvbT_PKS1_PjPKT0_NS_24const_host_device_scalarIT4_EES3_S7_PKT1_PKT2_SA_PT3_21rocsparse_index_base_b
; %bb.0:
	s_clause 0x2
	s_load_b64 s[30:31], s[0:1], 0x58
	s_load_b64 s[28:29], s[0:1], 0x20
	;; [unrolled: 1-line block ×3, first 2 shown]
	s_wait_kmcnt 0x0
	s_bitcmp1_b32 s31, 0
	s_cselect_b32 s2, -1, 0
	s_delay_alu instid0(SALU_CYCLE_1)
	s_and_b32 vcc_lo, exec_lo, s2
	s_xor_b32 s2, s2, -1
	s_cbranch_vccnz .LBB0_2
; %bb.1:
	s_load_b32 s28, s[28:29], 0x0
.LBB0_2:
	s_and_not1_b32 vcc_lo, exec_lo, s2
	s_cbranch_vccnz .LBB0_4
; %bb.3:
	s_load_b32 s20, s[20:21], 0x0
.LBB0_4:
	s_wait_kmcnt 0x0
	s_cmp_neq_f32 s28, 0
	s_cselect_b32 s2, -1, 0
	s_cmp_neq_f32 s20, 1.0
	s_cselect_b32 s3, -1, 0
	s_delay_alu instid0(SALU_CYCLE_1) | instskip(NEXT) | instid1(SALU_CYCLE_1)
	s_or_b32 s2, s2, s3
	s_and_not1_b32 vcc_lo, exec_lo, s2
	s_cbranch_vccnz .LBB0_114
; %bb.5:
	s_clause 0x2
	s_load_b64 s[2:3], s[0:1], 0x8
	s_load_b64 s[4:5], s[0:1], 0x18
	;; [unrolled: 1-line block ×3, first 2 shown]
	s_mov_b32 s36, ttmp9
	s_ashr_i32 s37, ttmp9, 31
	s_delay_alu instid0(SALU_CYCLE_1)
	s_lshl_b64 s[38:39], s[36:37], 2
	s_wait_kmcnt 0x0
	s_add_nc_u64 s[2:3], s[2:3], s[38:39]
	s_load_b64 s[24:25], s[2:3], 0x0
	s_load_b256 s[12:19], s[0:1], 0x28
	s_wait_kmcnt 0x0
	s_ashr_i32 s3, s24, 31
	s_mov_b32 s2, s24
	s_delay_alu instid0(SALU_CYCLE_1)
	s_lshl_b64 s[34:35], s[2:3], 2
	s_add_nc_u64 s[2:3], s[4:5], s[38:39]
	s_add_nc_u64 s[26:27], s[12:13], s[34:35]
	s_load_b32 s21, s[2:3], 0x0
	s_load_b32 s29, s[26:27], 0x0
	s_sub_co_i32 s3, s25, s24
	s_mov_b32 s2, -1
	s_cmp_lt_i32 s3, 2
	s_cbranch_scc0 .LBB0_70
; %bb.6:
	s_cmp_lg_u32 s3, 1
	v_cmp_gt_u32_e64 s2, 0x80, v0
	s_cselect_b32 s4, -1, 0
	s_wait_kmcnt 0x0
	s_cmp_lg_u32 s21, 0
	v_cmp_gt_u32_e64 s3, 64, v0
	s_cselect_b32 s5, -1, 0
	v_cmp_gt_u32_e64 s6, 8, v0
	s_or_b32 s5, s4, s5
	v_cmp_gt_u32_e64 s4, 32, v0
	s_and_b32 vcc_lo, exec_lo, s5
	v_cmp_gt_u32_e64 s5, 16, v0
	v_cmp_gt_u32_e64 s7, 4, v0
	;; [unrolled: 1-line block ×3, first 2 shown]
	v_cmp_eq_u32_e64 s9, 0, v0
	s_mov_b32 s10, -1
	s_cbranch_vccnz .LBB0_34
; %bb.7:
	s_cmp_neq_f32 s20, 0
	v_subrev_nc_u32_e32 v6, s30, v0
	v_dual_mov_b32 v8, 0 :: v_dual_lshlrev_b32 v7, 2, v0
	s_cselect_b32 s31, -1, 0
	s_mov_b32 s40, s24
	s_branch .LBB0_10
.LBB0_8:                                ;   in Loop: Header=BB0_10 Depth=1
	s_wait_dscnt 0x0
	global_store_b32 v8, v1, s[10:11]
.LBB0_9:                                ;   in Loop: Header=BB0_10 Depth=1
	s_wait_alu 0xfffe
	s_or_b32 exec_lo, exec_lo, s33
	s_add_co_i32 s40, s40, 1
	s_delay_alu instid0(SALU_CYCLE_1)
	s_cmp_ge_i32 s40, s25
	s_cbranch_scc1 .LBB0_33
.LBB0_10:                               ; =>This Loop Header: Depth=1
                                        ;     Child Loop BB0_12 Depth 2
	s_ashr_i32 s41, s40, 31
	v_mov_b32_e32 v9, 0
	s_lshl_b64 s[42:43], s[40:41], 2
	s_delay_alu instid0(SALU_CYCLE_1)
	s_add_nc_u64 s[10:11], s[12:13], s[42:43]
	s_load_b64 s[10:11], s[10:11], 0x0
	s_wait_kmcnt 0x0
	v_add_nc_u32_e32 v1, s10, v6
	s_sub_co_i32 s33, s11, s30
	s_mov_b32 s11, exec_lo
	s_wait_alu 0xfffe
	s_delay_alu instid0(VALU_DEP_1)
	v_cmpx_gt_i32_e64 s33, v1
	s_cbranch_execz .LBB0_14
; %bb.11:                               ;   in Loop: Header=BB0_10 Depth=1
	v_ashrrev_i32_e32 v2, 31, v1
	v_mov_b32_e32 v9, 0
	s_mov_b32 s37, 0
	s_delay_alu instid0(VALU_DEP_2) | instskip(NEXT) | instid1(VALU_DEP_1)
	v_lshlrev_b64_e32 v[4:5], 2, v[1:2]
	v_add_co_u32 v2, vcc_lo, s16, v4
	s_wait_alu 0xfffd
	s_delay_alu instid0(VALU_DEP_2)
	v_add_co_ci_u32_e64 v3, null, s17, v5, vcc_lo
	v_add_co_u32 v4, vcc_lo, s14, v4
	s_wait_alu 0xfffd
	v_add_co_ci_u32_e64 v5, null, s15, v5, vcc_lo
.LBB0_12:                               ;   Parent Loop BB0_10 Depth=1
                                        ; =>  This Inner Loop Header: Depth=2
	global_load_b32 v10, v[4:5], off
	global_load_b32 v12, v[2:3], off
	v_add_nc_u32_e32 v1, 0x100, v1
	s_delay_alu instid0(VALU_DEP_1) | instskip(SKIP_3) | instid1(VALU_DEP_1)
	v_cmp_le_i32_e64 s10, s33, v1
	s_or_b32 s37, s10, s37
	s_wait_loadcnt 0x1
	v_subrev_nc_u32_e32 v10, s30, v10
	v_ashrrev_i32_e32 v11, 31, v10
	s_delay_alu instid0(VALU_DEP_1) | instskip(NEXT) | instid1(VALU_DEP_1)
	v_lshlrev_b64_e32 v[10:11], 2, v[10:11]
	v_add_co_u32 v10, vcc_lo, s18, v10
	s_wait_alu 0xfffd
	s_delay_alu instid0(VALU_DEP_2)
	v_add_co_ci_u32_e64 v11, null, s19, v11, vcc_lo
	v_add_co_u32 v2, vcc_lo, 0x400, v2
	s_wait_alu 0xfffd
	v_add_co_ci_u32_e64 v3, null, 0, v3, vcc_lo
	global_load_b32 v10, v[10:11], off
	s_wait_loadcnt 0x1
	v_mul_f32_e32 v11, s28, v12
	v_add_co_u32 v4, vcc_lo, 0x400, v4
	s_wait_alu 0xfffd
	v_add_co_ci_u32_e64 v5, null, 0, v5, vcc_lo
	s_wait_loadcnt 0x0
	v_fmac_f32_e32 v9, v11, v10
	s_and_not1_b32 exec_lo, exec_lo, s37
	s_cbranch_execnz .LBB0_12
; %bb.13:                               ;   in Loop: Header=BB0_10 Depth=1
	s_or_b32 exec_lo, exec_lo, s37
.LBB0_14:                               ;   in Loop: Header=BB0_10 Depth=1
	s_wait_alu 0xfffe
	s_or_b32 exec_lo, exec_lo, s11
	ds_store_b32 v7, v9
	s_wait_dscnt 0x0
	s_barrier_signal -1
	s_barrier_wait -1
	global_inv scope:SCOPE_SE
	s_and_saveexec_b32 s10, s2
	s_cbranch_execz .LBB0_16
; %bb.15:                               ;   in Loop: Header=BB0_10 Depth=1
	ds_load_2addr_stride64_b32 v[1:2], v7 offset1:2
	s_wait_dscnt 0x0
	v_add_f32_e32 v1, v1, v2
	ds_store_b32 v7, v1
.LBB0_16:                               ;   in Loop: Header=BB0_10 Depth=1
	s_wait_alu 0xfffe
	s_or_b32 exec_lo, exec_lo, s10
	s_wait_loadcnt_dscnt 0x0
	s_barrier_signal -1
	s_barrier_wait -1
	global_inv scope:SCOPE_SE
	s_and_saveexec_b32 s10, s3
	s_cbranch_execz .LBB0_18
; %bb.17:                               ;   in Loop: Header=BB0_10 Depth=1
	ds_load_2addr_stride64_b32 v[1:2], v7 offset1:1
	s_wait_dscnt 0x0
	v_add_f32_e32 v1, v1, v2
	ds_store_b32 v7, v1
.LBB0_18:                               ;   in Loop: Header=BB0_10 Depth=1
	s_wait_alu 0xfffe
	s_or_b32 exec_lo, exec_lo, s10
	s_wait_loadcnt_dscnt 0x0
	s_barrier_signal -1
	s_barrier_wait -1
	global_inv scope:SCOPE_SE
	s_and_saveexec_b32 s10, s4
	s_cbranch_execz .LBB0_20
; %bb.19:                               ;   in Loop: Header=BB0_10 Depth=1
	ds_load_2addr_b32 v[1:2], v7 offset1:32
	s_wait_dscnt 0x0
	v_add_f32_e32 v1, v1, v2
	ds_store_b32 v7, v1
.LBB0_20:                               ;   in Loop: Header=BB0_10 Depth=1
	s_wait_alu 0xfffe
	s_or_b32 exec_lo, exec_lo, s10
	s_wait_loadcnt_dscnt 0x0
	s_barrier_signal -1
	s_barrier_wait -1
	global_inv scope:SCOPE_SE
	s_and_saveexec_b32 s10, s5
	s_cbranch_execz .LBB0_22
; %bb.21:                               ;   in Loop: Header=BB0_10 Depth=1
	ds_load_2addr_b32 v[1:2], v7 offset1:16
	s_wait_dscnt 0x0
	v_add_f32_e32 v1, v1, v2
	ds_store_b32 v7, v1
.LBB0_22:                               ;   in Loop: Header=BB0_10 Depth=1
	;; [unrolled: 14-line block ×5, first 2 shown]
	s_wait_alu 0xfffe
	s_or_b32 exec_lo, exec_lo, s10
	s_wait_loadcnt_dscnt 0x0
	s_barrier_signal -1
	s_barrier_wait -1
	global_inv scope:SCOPE_SE
	s_and_saveexec_b32 s10, s9
	s_cbranch_execz .LBB0_30
; %bb.29:                               ;   in Loop: Header=BB0_10 Depth=1
	ds_load_b64 v[1:2], v8
	s_wait_dscnt 0x0
	v_add_f32_e32 v1, v1, v2
	ds_store_b32 v8, v1
.LBB0_30:                               ;   in Loop: Header=BB0_10 Depth=1
	s_wait_alu 0xfffe
	s_or_b32 exec_lo, exec_lo, s10
	s_wait_loadcnt_dscnt 0x0
	s_barrier_signal -1
	s_barrier_wait -1
	global_inv scope:SCOPE_SE
	s_and_saveexec_b32 s33, s9
	s_cbranch_execz .LBB0_9
; %bb.31:                               ;   in Loop: Header=BB0_10 Depth=1
	ds_load_b32 v1, v8
	s_and_not1_b32 vcc_lo, exec_lo, s31
	s_add_nc_u64 s[10:11], s[22:23], s[42:43]
	s_wait_alu 0xfffe
	s_cbranch_vccnz .LBB0_8
; %bb.32:                               ;   in Loop: Header=BB0_10 Depth=1
	global_load_b32 v2, v8, s[10:11]
	s_wait_loadcnt_dscnt 0x0
	v_fmac_f32_e32 v1, s20, v2
	s_branch .LBB0_8
.LBB0_33:
	s_mov_b32 s10, 0
.LBB0_34:
	s_wait_alu 0xfffe
	s_and_b32 vcc_lo, exec_lo, s10
	s_wait_alu 0xfffe
	s_cbranch_vccz .LBB0_69
; %bb.35:
	s_load_b64 s[6:7], s[0:1], 0x10
	v_mov_b32_e32 v7, 0
	v_or_b32_e32 v1, s21, v0
	s_sub_co_i32 s8, s36, s21
	s_mov_b32 s2, exec_lo
	s_wait_kmcnt 0x0
	s_add_nc_u64 s[4:5], s[6:7], s[38:39]
	global_load_b32 v6, v7, s[4:5]
	v_cmpx_eq_u32_e32 0, v1
	s_cbranch_execz .LBB0_39
; %bb.36:
	v_mov_b32_e32 v1, 0
	s_add_nc_u64 s[10:11], s[22:23], s[34:35]
	s_mov_b32 s3, exec_lo
	s_delay_alu instid0(SALU_CYCLE_1)
	v_mbcnt_lo_u32_b32 v3, s3, 0
	global_load_b32 v2, v1, s[10:11]
	s_add_f32 s10, s20, -1.0
	s_mov_b32 s11, exec_lo
	s_wait_loadcnt 0x0
	s_wait_storecnt 0x0
	global_inv scope:SCOPE_DEV
	v_cmpx_eq_u32_e32 0, v3
	s_cbranch_execz .LBB0_38
; %bb.37:
	s_bcnt1_i32_b32 s3, s3
	s_ashr_i32 s9, s8, 31
	s_wait_alu 0xfffe
	s_and_b32 s3, s3, 1
	s_lshl_b64 s[36:37], s[8:9], 2
	s_wait_alu 0xfffe
	v_mov_b32_e32 v3, s3
	s_add_nc_u64 s[36:37], s[6:7], s[36:37]
	global_atomic_xor_b32 v1, v3, s[36:37] scope:SCOPE_DEV
.LBB0_38:
	s_wait_alu 0xfffe
	s_or_b32 exec_lo, exec_lo, s11
	v_mul_f32_e32 v7, s10, v2
.LBB0_39:
	s_or_b32 exec_lo, exec_lo, s2
	s_load_b32 s2, s[26:27], 0x4
	s_mul_i32 s3, s21, 0xc00
	s_sub_co_i32 s9, s29, s30
	s_wait_alu 0xfffe
	s_add_co_i32 s9, s9, s3
	s_mov_b32 s3, exec_lo
	v_add_nc_u32_e32 v1, s9, v0
	s_wait_kmcnt 0x0
	s_sub_co_i32 s2, s2, s30
	s_wait_alu 0xfffe
	s_delay_alu instid0(VALU_DEP_1)
	v_cmpx_gt_i32_e64 s2, v1
	s_cbranch_execz .LBB0_43
; %bb.40:
	v_ashrrev_i32_e32 v2, 31, v1
	s_addk_co_i32 s9, 0xc00
	s_mov_b32 s10, 0
	s_wait_alu 0xfffe
	s_min_i32 s9, s9, s2
	v_lshlrev_b64_e32 v[4:5], 2, v[1:2]
	s_delay_alu instid0(VALU_DEP_1) | instskip(SKIP_1) | instid1(VALU_DEP_2)
	v_add_co_u32 v2, vcc_lo, s16, v4
	s_wait_alu 0xfffd
	v_add_co_ci_u32_e64 v3, null, s17, v5, vcc_lo
	v_add_co_u32 v4, vcc_lo, s14, v4
	s_wait_alu 0xfffd
	v_add_co_ci_u32_e64 v5, null, s15, v5, vcc_lo
.LBB0_41:                               ; =>This Inner Loop Header: Depth=1
	global_load_b32 v8, v[4:5], off
	global_load_b32 v10, v[2:3], off
	v_add_nc_u32_e32 v1, 0x100, v1
	s_wait_alu 0xfffe
	s_delay_alu instid0(VALU_DEP_1) | instskip(SKIP_3) | instid1(VALU_DEP_1)
	v_cmp_le_i32_e64 s2, s9, v1
	s_or_b32 s10, s2, s10
	s_wait_loadcnt 0x1
	v_subrev_nc_u32_e32 v8, s30, v8
	v_ashrrev_i32_e32 v9, 31, v8
	s_delay_alu instid0(VALU_DEP_1) | instskip(NEXT) | instid1(VALU_DEP_1)
	v_lshlrev_b64_e32 v[8:9], 2, v[8:9]
	v_add_co_u32 v8, vcc_lo, s18, v8
	s_wait_alu 0xfffd
	s_delay_alu instid0(VALU_DEP_2)
	v_add_co_ci_u32_e64 v9, null, s19, v9, vcc_lo
	v_add_co_u32 v2, vcc_lo, 0x400, v2
	s_wait_alu 0xfffd
	v_add_co_ci_u32_e64 v3, null, 0, v3, vcc_lo
	global_load_b32 v8, v[8:9], off
	s_wait_loadcnt 0x1
	v_mul_f32_e32 v9, s28, v10
	v_add_co_u32 v4, vcc_lo, 0x400, v4
	s_wait_alu 0xfffd
	v_add_co_ci_u32_e64 v5, null, 0, v5, vcc_lo
	s_wait_loadcnt 0x0
	v_fmac_f32_e32 v7, v9, v8
	s_wait_alu 0xfffe
	s_and_not1_b32 exec_lo, exec_lo, s10
	s_cbranch_execnz .LBB0_41
; %bb.42:
	s_or_b32 exec_lo, exec_lo, s10
.LBB0_43:
	s_delay_alu instid0(SALU_CYCLE_1)
	s_or_b32 exec_lo, exec_lo, s3
	v_lshlrev_b32_e32 v1, 2, v0
	s_mov_b32 s2, exec_lo
	ds_store_b32 v1, v7
	s_wait_storecnt 0x0
	s_wait_loadcnt_dscnt 0x0
	s_barrier_signal -1
	s_barrier_wait -1
	global_inv scope:SCOPE_SE
	v_cmpx_gt_u32_e32 0x80, v0
	s_cbranch_execz .LBB0_45
; %bb.44:
	ds_load_2addr_stride64_b32 v[2:3], v1 offset1:2
	s_wait_dscnt 0x0
	v_add_f32_e32 v2, v2, v3
	ds_store_b32 v1, v2
.LBB0_45:
	s_wait_alu 0xfffe
	s_or_b32 exec_lo, exec_lo, s2
	s_delay_alu instid0(SALU_CYCLE_1)
	s_mov_b32 s2, exec_lo
	s_wait_loadcnt_dscnt 0x0
	s_barrier_signal -1
	s_barrier_wait -1
	global_inv scope:SCOPE_SE
	v_cmpx_gt_u32_e32 64, v0
	s_cbranch_execz .LBB0_47
; %bb.46:
	ds_load_2addr_stride64_b32 v[2:3], v1 offset1:1
	s_wait_dscnt 0x0
	v_add_f32_e32 v2, v2, v3
	ds_store_b32 v1, v2
.LBB0_47:
	s_wait_alu 0xfffe
	s_or_b32 exec_lo, exec_lo, s2
	s_delay_alu instid0(SALU_CYCLE_1)
	s_mov_b32 s2, exec_lo
	s_wait_loadcnt_dscnt 0x0
	s_barrier_signal -1
	s_barrier_wait -1
	global_inv scope:SCOPE_SE
	v_cmpx_gt_u32_e32 32, v0
	s_cbranch_execz .LBB0_49
; %bb.48:
	ds_load_2addr_b32 v[2:3], v1 offset1:32
	s_wait_dscnt 0x0
	v_add_f32_e32 v2, v2, v3
	ds_store_b32 v1, v2
.LBB0_49:
	s_wait_alu 0xfffe
	s_or_b32 exec_lo, exec_lo, s2
	s_delay_alu instid0(SALU_CYCLE_1)
	s_mov_b32 s2, exec_lo
	s_wait_loadcnt_dscnt 0x0
	s_barrier_signal -1
	s_barrier_wait -1
	global_inv scope:SCOPE_SE
	v_cmpx_gt_u32_e32 16, v0
	s_cbranch_execz .LBB0_51
; %bb.50:
	ds_load_2addr_b32 v[2:3], v1 offset1:16
	s_wait_dscnt 0x0
	v_add_f32_e32 v2, v2, v3
	ds_store_b32 v1, v2
.LBB0_51:
	s_wait_alu 0xfffe
	s_or_b32 exec_lo, exec_lo, s2
	s_delay_alu instid0(SALU_CYCLE_1)
	s_mov_b32 s2, exec_lo
	s_wait_loadcnt_dscnt 0x0
	s_barrier_signal -1
	s_barrier_wait -1
	global_inv scope:SCOPE_SE
	v_cmpx_gt_u32_e32 8, v0
	s_cbranch_execz .LBB0_53
; %bb.52:
	ds_load_2addr_b32 v[2:3], v1 offset1:8
	s_wait_dscnt 0x0
	v_add_f32_e32 v2, v2, v3
	ds_store_b32 v1, v2
.LBB0_53:
	s_wait_alu 0xfffe
	s_or_b32 exec_lo, exec_lo, s2
	s_delay_alu instid0(SALU_CYCLE_1)
	s_mov_b32 s2, exec_lo
	s_wait_loadcnt_dscnt 0x0
	s_barrier_signal -1
	s_barrier_wait -1
	global_inv scope:SCOPE_SE
	v_cmpx_gt_u32_e32 4, v0
	s_cbranch_execz .LBB0_55
; %bb.54:
	ds_load_2addr_b32 v[2:3], v1 offset1:4
	s_wait_dscnt 0x0
	v_add_f32_e32 v2, v2, v3
	ds_store_b32 v1, v2
.LBB0_55:
	s_wait_alu 0xfffe
	s_or_b32 exec_lo, exec_lo, s2
	s_delay_alu instid0(SALU_CYCLE_1)
	s_mov_b32 s2, exec_lo
	s_wait_loadcnt_dscnt 0x0
	s_barrier_signal -1
	s_barrier_wait -1
	global_inv scope:SCOPE_SE
	v_cmpx_gt_u32_e32 2, v0
	s_cbranch_execz .LBB0_57
; %bb.56:
	ds_load_2addr_b32 v[2:3], v1 offset1:2
	s_wait_dscnt 0x0
	v_add_f32_e32 v2, v2, v3
	ds_store_b32 v1, v2
.LBB0_57:
	s_wait_alu 0xfffe
	s_or_b32 exec_lo, exec_lo, s2
	v_cmp_eq_u32_e32 vcc_lo, 0, v0
	s_wait_loadcnt_dscnt 0x0
	s_barrier_signal -1
	s_barrier_wait -1
	global_inv scope:SCOPE_SE
	s_and_saveexec_b32 s2, vcc_lo
	s_cbranch_execz .LBB0_59
; %bb.58:
	v_mov_b32_e32 v3, 0
	ds_load_b64 v[1:2], v3
	s_wait_dscnt 0x0
	v_add_f32_e32 v1, v1, v2
	ds_store_b32 v3, v1
.LBB0_59:
	s_wait_alu 0xfffe
	s_or_b32 exec_lo, exec_lo, s2
	s_wait_loadcnt_dscnt 0x0
	s_barrier_signal -1
	s_barrier_wait -1
	global_inv scope:SCOPE_SE
	s_and_saveexec_b32 s10, vcc_lo
	s_cbranch_execz .LBB0_68
; %bb.60:
	s_cmp_eq_u32 s21, 0
	s_cbranch_scc1 .LBB0_66
; %bb.61:
	s_ashr_i32 s9, s8, 31
	v_mov_b32_e32 v1, 0
	s_wait_alu 0xfffe
	s_lshl_b64 s[2:3], s[8:9], 2
	s_wait_alu 0xfffe
	s_add_nc_u64 s[2:3], s[6:7], s[2:3]
	s_branch .LBB0_63
.LBB0_62:                               ;   in Loop: Header=BB0_63 Depth=1
	s_wait_alu 0xfffe
	s_or_b32 exec_lo, exec_lo, s6
	s_wait_loadcnt 0x0
	v_readfirstlane_b32 s6, v2
	s_wait_alu 0xf1ff
	s_delay_alu instid0(VALU_DEP_1)
	v_cmp_eq_u32_e32 vcc_lo, s6, v6
	s_cbranch_vccz .LBB0_65
.LBB0_63:                               ; =>This Inner Loop Header: Depth=1
	v_mbcnt_lo_u32_b32 v2, exec_lo, 0
	s_delay_alu instid0(VALU_DEP_1)
	v_cmp_eq_u32_e32 vcc_lo, 0, v2
                                        ; implicit-def: $vgpr2
	s_and_saveexec_b32 s6, vcc_lo
	s_cbranch_execz .LBB0_62
; %bb.64:                               ;   in Loop: Header=BB0_63 Depth=1
	global_load_b32 v2, v1, s[2:3] scope:SCOPE_DEV
	s_branch .LBB0_62
.LBB0_65:
	v_mov_b32_e32 v1, 0
	global_load_u16 v2, v1, s[4:5]
	s_wait_loadcnt 0x0
	v_xor_b32_e32 v2, 1, v2
	global_store_b16 v1, v2, s[4:5]
.LBB0_66:
	s_mov_b32 s2, exec_lo
	s_wait_alu 0xfffe
	v_mbcnt_lo_u32_b32 v1, s2, 0
	s_delay_alu instid0(VALU_DEP_1)
	v_cmp_eq_u32_e32 vcc_lo, 0, v1
	s_and_b32 s3, exec_lo, vcc_lo
	s_wait_alu 0xfffe
	s_mov_b32 exec_lo, s3
	s_cbranch_execz .LBB0_68
; %bb.67:
	s_bcnt1_i32_b32 s2, s2
	s_wait_alu 0xfffe
	v_cvt_f32_ubyte0_e32 v3, s2
	v_mov_b32_e32 v1, 0
	s_add_nc_u64 s[2:3], s[22:23], s[34:35]
	ds_load_b32 v2, v1
	s_wait_dscnt 0x0
	v_mul_f32_e32 v2, v2, v3
	global_atomic_add_f32 v1, v2, s[2:3] scope:SCOPE_DEV
.LBB0_68:
	s_wait_alu 0xfffe
	s_or_b32 exec_lo, exec_lo, s10
.LBB0_69:
	s_mov_b32 s2, 0
.LBB0_70:
	s_wait_alu 0xfffe
	s_and_not1_b32 vcc_lo, exec_lo, s2
	s_wait_alu 0xfffe
	s_cbranch_vccnz .LBB0_114
; %bb.71:
	s_load_b32 s0, s[0:1], 0x4
	v_subrev_nc_u32_e32 v1, s30, v0
	s_wait_kmcnt 0x0
	s_delay_alu instid0(VALU_DEP_1) | instskip(NEXT) | instid1(VALU_DEP_1)
	v_add_nc_u32_e32 v1, s29, v1
	v_add_nc_u32_e32 v2, 0x300, v1
	s_delay_alu instid0(VALU_DEP_1)
	v_cmp_le_i32_e32 vcc_lo, s0, v2
	s_and_saveexec_b32 s0, vcc_lo
	s_wait_alu 0xfffe
	s_xor_b32 s0, exec_lo, s0
	s_cbranch_execz .LBB0_76
; %bb.72:
	s_ashr_i32 s3, s25, 31
	s_mov_b32 s2, s25
	s_wait_alu 0xfffe
	s_lshl_b64 s[2:3], s[2:3], 2
	s_wait_alu 0xfffe
	s_add_nc_u64 s[2:3], s[12:13], s[2:3]
	s_load_b32 s1, s[2:3], 0x0
	s_mov_b32 s2, exec_lo
	s_wait_kmcnt 0x0
	s_sub_co_i32 s1, s1, s30
	s_wait_alu 0xfffe
	v_cmpx_gt_i32_e64 s1, v1
	s_cbranch_execz .LBB0_75
; %bb.73:
	v_lshlrev_b32_e32 v3, 2, v0
	s_mov_b32 s3, 0
.LBB0_74:                               ; =>This Inner Loop Header: Depth=1
	v_ashrrev_i32_e32 v2, 31, v1
	s_delay_alu instid0(VALU_DEP_1) | instskip(SKIP_1) | instid1(VALU_DEP_2)
	v_lshlrev_b64_e32 v[4:5], 2, v[1:2]
	v_add_nc_u32_e32 v1, 0x100, v1
	v_add_co_u32 v6, vcc_lo, s14, v4
	s_wait_alu 0xfffd
	s_delay_alu instid0(VALU_DEP_3)
	v_add_co_ci_u32_e64 v7, null, s15, v5, vcc_lo
	v_add_co_u32 v4, vcc_lo, s16, v4
	s_wait_alu 0xfffd
	v_add_co_ci_u32_e64 v5, null, s17, v5, vcc_lo
	global_load_b32 v2, v[6:7], off
	s_wait_loadcnt 0x0
	v_subrev_nc_u32_e32 v6, s30, v2
	global_load_b32 v2, v[4:5], off
	v_ashrrev_i32_e32 v7, 31, v6
	s_delay_alu instid0(VALU_DEP_1) | instskip(NEXT) | instid1(VALU_DEP_1)
	v_lshlrev_b64_e32 v[6:7], 2, v[6:7]
	v_add_co_u32 v4, vcc_lo, s18, v6
	s_wait_alu 0xfffd
	s_delay_alu instid0(VALU_DEP_2)
	v_add_co_ci_u32_e64 v5, null, s19, v7, vcc_lo
	v_cmp_le_i32_e32 vcc_lo, s1, v1
	global_load_b32 v4, v[4:5], off
	s_wait_alu 0xfffe
	s_or_b32 s3, vcc_lo, s3
	s_wait_loadcnt 0x1
	v_mul_f32_e32 v2, s28, v2
	s_wait_loadcnt 0x0
	s_delay_alu instid0(VALU_DEP_1)
	v_mul_f32_e32 v2, v2, v4
	ds_store_b32 v3, v2
	v_add_nc_u32_e32 v3, 0x400, v3
	s_wait_alu 0xfffe
	s_and_not1_b32 exec_lo, exec_lo, s3
	s_cbranch_execnz .LBB0_74
.LBB0_75:
	s_or_b32 exec_lo, exec_lo, s2
                                        ; implicit-def: $vgpr1
.LBB0_76:
	s_wait_alu 0xfffe
	s_or_saveexec_b32 s0, s0
	v_lshlrev_b32_e32 v6, 2, v0
	s_wait_alu 0xfffe
	s_xor_b32 exec_lo, exec_lo, s0
	s_cbranch_execz .LBB0_78
; %bb.77:
	v_ashrrev_i32_e32 v2, 31, v1
	s_delay_alu instid0(VALU_DEP_1) | instskip(NEXT) | instid1(VALU_DEP_1)
	v_lshlrev_b64_e32 v[1:2], 2, v[1:2]
	v_add_co_u32 v3, vcc_lo, s14, v1
	s_wait_alu 0xfffd
	s_delay_alu instid0(VALU_DEP_2)
	v_add_co_ci_u32_e64 v4, null, s15, v2, vcc_lo
	v_add_co_u32 v1, vcc_lo, s16, v1
	s_wait_alu 0xfffd
	v_add_co_ci_u32_e64 v2, null, s17, v2, vcc_lo
	s_clause 0x3
	global_load_b32 v5, v[3:4], off
	global_load_b32 v7, v[3:4], off offset:1024
	global_load_b32 v8, v[3:4], off offset:2048
	;; [unrolled: 1-line block ×3, first 2 shown]
	s_wait_loadcnt 0x3
	v_subrev_nc_u32_e32 v3, s30, v5
	s_wait_loadcnt 0x2
	v_subrev_nc_u32_e32 v7, s30, v7
	;; [unrolled: 2-line block ×4, first 2 shown]
	s_clause 0x3
	global_load_b32 v5, v[1:2], off
	global_load_b32 v13, v[1:2], off offset:1024
	global_load_b32 v14, v[1:2], off offset:2048
	global_load_b32 v15, v[1:2], off offset:3072
	v_ashrrev_i32_e32 v4, 31, v3
	v_ashrrev_i32_e32 v8, 31, v7
	;; [unrolled: 1-line block ×4, first 2 shown]
	s_delay_alu instid0(VALU_DEP_4) | instskip(NEXT) | instid1(VALU_DEP_4)
	v_lshlrev_b64_e32 v[3:4], 2, v[3:4]
	v_lshlrev_b64_e32 v[1:2], 2, v[7:8]
	s_delay_alu instid0(VALU_DEP_4) | instskip(NEXT) | instid1(VALU_DEP_4)
	v_lshlrev_b64_e32 v[7:8], 2, v[9:10]
	v_lshlrev_b64_e32 v[9:10], 2, v[11:12]
	s_delay_alu instid0(VALU_DEP_4)
	v_add_co_u32 v3, vcc_lo, s18, v3
	s_wait_alu 0xfffd
	v_add_co_ci_u32_e64 v4, null, s19, v4, vcc_lo
	v_add_co_u32 v1, vcc_lo, s18, v1
	s_wait_alu 0xfffd
	v_add_co_ci_u32_e64 v2, null, s19, v2, vcc_lo
	;; [unrolled: 3-line block ×4, first 2 shown]
	s_clause 0x3
	global_load_b32 v3, v[3:4], off
	global_load_b32 v1, v[1:2], off
	;; [unrolled: 1-line block ×4, first 2 shown]
	s_wait_loadcnt 0x5
	v_dual_mul_f32 v5, s28, v5 :: v_dual_mul_f32 v8, s28, v14
	v_mul_f32_e32 v7, s28, v13
	s_wait_loadcnt 0x4
	v_mul_f32_e32 v9, s28, v15
	s_wait_loadcnt 0x1
	v_dual_mul_f32 v3, v5, v3 :: v_dual_mul_f32 v2, v8, v2
	s_wait_loadcnt 0x0
	s_delay_alu instid0(VALU_DEP_2)
	v_dual_mul_f32 v1, v7, v1 :: v_dual_mul_f32 v4, v9, v4
	ds_store_2addr_stride64_b32 v6, v3, v1 offset1:4
	ds_store_2addr_stride64_b32 v6, v2, v4 offset0:8 offset1:12
.LBB0_78:
	s_or_b32 exec_lo, exec_lo, s0
	s_cmp_lt_i32 s21, 2
	s_mov_b32 s0, -1
	s_wait_storecnt 0x0
	s_wait_loadcnt_dscnt 0x0
	s_barrier_signal -1
	s_barrier_wait -1
	global_inv scope:SCOPE_SE
	s_cbranch_scc0 .LBB0_89
; %bb.79:
	v_add_nc_u32_e32 v1, s24, v0
	s_mov_b32 s1, exec_lo
	s_delay_alu instid0(VALU_DEP_1)
	v_cmpx_gt_i32_e64 s25, v1
	s_cbranch_execz .LBB0_88
; %bb.80:
	s_cmp_neq_f32 s20, 0
	s_mov_b32 s3, 0
	s_cselect_b32 s2, -1, 0
	s_lshl_b32 s0, s29, 2
	s_wait_alu 0xfffe
	s_sub_co_i32 s4, 0, s0
	s_branch .LBB0_82
.LBB0_81:                               ;   in Loop: Header=BB0_82 Depth=1
	v_add_nc_u32_e32 v1, 0x100, v1
	v_add_co_u32 v2, s0, s22, v2
	s_wait_alu 0xf1ff
	v_add_co_ci_u32_e64 v3, null, s23, v3, s0
	s_delay_alu instid0(VALU_DEP_3)
	v_cmp_le_i32_e32 vcc_lo, s25, v1
	global_store_b32 v[2:3], v7, off
	s_or_b32 s3, vcc_lo, s3
	s_wait_alu 0xfffe
	s_and_not1_b32 exec_lo, exec_lo, s3
	s_cbranch_execz .LBB0_88
.LBB0_82:                               ; =>This Loop Header: Depth=1
                                        ;     Child Loop BB0_84 Depth 2
	v_ashrrev_i32_e32 v2, 31, v1
	v_mov_b32_e32 v7, 0
	s_mov_b32 s0, exec_lo
	s_delay_alu instid0(VALU_DEP_2) | instskip(NEXT) | instid1(VALU_DEP_1)
	v_lshlrev_b64_e32 v[2:3], 2, v[1:2]
	v_add_co_u32 v4, vcc_lo, s12, v2
	s_wait_alu 0xfffd
	s_delay_alu instid0(VALU_DEP_2)
	v_add_co_ci_u32_e64 v5, null, s13, v3, vcc_lo
	global_load_b64 v[4:5], v[4:5], off
	s_wait_loadcnt 0x0
	v_cmpx_lt_i32_e64 v4, v5
	s_cbranch_execz .LBB0_86
; %bb.83:                               ;   in Loop: Header=BB0_82 Depth=1
	v_subrev_nc_u32_e32 v5, s29, v5
	v_subrev_nc_u32_e32 v8, s29, v4
	v_lshl_add_u32 v4, v4, 2, s4
	v_mov_b32_e32 v7, 0
	s_mov_b32 s5, 0
.LBB0_84:                               ;   Parent Loop BB0_82 Depth=1
                                        ; =>  This Inner Loop Header: Depth=2
	ds_load_b32 v9, v4
	v_add_nc_u32_e32 v8, 1, v8
	s_wait_dscnt 0x0
	v_dual_add_f32 v7, v7, v9 :: v_dual_add_nc_u32 v4, 4, v4
	s_delay_alu instid0(VALU_DEP_2)
	v_cmp_ge_i32_e32 vcc_lo, v8, v5
	s_wait_alu 0xfffe
	s_or_b32 s5, vcc_lo, s5
	s_wait_alu 0xfffe
	s_and_not1_b32 exec_lo, exec_lo, s5
	s_cbranch_execnz .LBB0_84
; %bb.85:                               ;   in Loop: Header=BB0_82 Depth=1
	s_or_b32 exec_lo, exec_lo, s5
.LBB0_86:                               ;   in Loop: Header=BB0_82 Depth=1
	s_wait_alu 0xfffe
	s_or_b32 exec_lo, exec_lo, s0
	s_delay_alu instid0(SALU_CYCLE_1)
	s_and_b32 vcc_lo, exec_lo, s2
	s_wait_alu 0xfffe
	s_cbranch_vccz .LBB0_81
; %bb.87:                               ;   in Loop: Header=BB0_82 Depth=1
	v_add_co_u32 v4, vcc_lo, s22, v2
	s_wait_alu 0xfffd
	v_add_co_ci_u32_e64 v5, null, s23, v3, vcc_lo
	global_load_b32 v4, v[4:5], off
	s_wait_loadcnt 0x0
	v_fmac_f32_e32 v7, s20, v4
	s_branch .LBB0_81
.LBB0_88:
	s_wait_alu 0xfffe
	s_or_b32 exec_lo, exec_lo, s1
	s_mov_b32 s0, 0
.LBB0_89:
	s_wait_alu 0xfffe
	s_and_not1_b32 vcc_lo, exec_lo, s0
	s_wait_alu 0xfffe
	s_cbranch_vccnz .LBB0_114
; %bb.90:
	s_clz_i32_u32 s0, s21
	s_mov_b32 s1, exec_lo
	s_wait_alu 0xfffe
	s_xor_b32 s0, s0, 31
	v_mov_b32_e32 v2, 0
	s_wait_alu 0xfffe
	v_lshrrev_b32_e32 v3, s0, v0
	s_add_co_i32 s0, s21, -1
	s_wait_alu 0xfffe
	v_and_b32_e32 v0, s0, v0
	s_delay_alu instid0(VALU_DEP_2) | instskip(NEXT) | instid1(VALU_DEP_1)
	v_add_nc_u32_e32 v1, s24, v3
	v_cmp_le_i32_e32 vcc_lo, s25, v1
	v_cmpx_gt_i32_e64 s25, v1
	s_cbranch_execz .LBB0_96
; %bb.91:
	v_lshlrev_b32_e32 v2, 2, v3
	v_subrev_nc_u32_e32 v4, s29, v0
	s_mov_b32 s2, exec_lo
	global_load_b64 v[2:3], v2, s[26:27]
	s_wait_loadcnt 0x0
	v_subrev_nc_u32_e32 v3, s29, v3
	v_add_nc_u32_e32 v4, v2, v4
	v_mov_b32_e32 v2, 0
	s_delay_alu instid0(VALU_DEP_2)
	v_cmpx_lt_i32_e64 v4, v3
	s_cbranch_execz .LBB0_95
; %bb.92:
	v_dual_mov_b32 v2, 0 :: v_dual_lshlrev_b32 v5, 2, v4
	s_lshl_b32 s4, s21, 2
	s_mov_b32 s3, 0
.LBB0_93:                               ; =>This Inner Loop Header: Depth=1
	ds_load_b32 v7, v5
	v_add_nc_u32_e32 v4, s21, v4
	s_wait_alu 0xfffe
	v_add_nc_u32_e32 v5, s4, v5
	s_delay_alu instid0(VALU_DEP_2)
	v_cmp_ge_i32_e64 s0, v4, v3
	s_or_b32 s3, s0, s3
	s_wait_dscnt 0x0
	v_add_f32_e32 v2, v2, v7
	s_wait_alu 0xfffe
	s_and_not1_b32 exec_lo, exec_lo, s3
	s_cbranch_execnz .LBB0_93
; %bb.94:
	s_or_b32 exec_lo, exec_lo, s3
.LBB0_95:
	s_wait_alu 0xfffe
	s_or_b32 exec_lo, exec_lo, s2
.LBB0_96:
	s_delay_alu instid0(SALU_CYCLE_1)
	s_or_b32 exec_lo, exec_lo, s1
	s_cmp_lt_u32 s21, 0x81
	s_wait_loadcnt 0x0
	s_wait_storecnt 0x0
	s_barrier_signal -1
	s_barrier_wait -1
	global_inv scope:SCOPE_SE
	ds_store_b32 v6, v2
	s_wait_loadcnt_dscnt 0x0
	s_barrier_signal -1
	s_barrier_wait -1
	global_inv scope:SCOPE_SE
	s_cbranch_scc1 .LBB0_98
; %bb.97:
	ds_load_b32 v3, v6 offset:512
	s_wait_loadcnt_dscnt 0x0
	s_barrier_signal -1
	s_barrier_wait -1
	global_inv scope:SCOPE_SE
	v_add_f32_e32 v2, v2, v3
	ds_store_b32 v6, v2
.LBB0_98:
	s_cmp_lt_u32 s21, 0x41
	s_wait_loadcnt_dscnt 0x0
	s_barrier_signal -1
	s_barrier_wait -1
	global_inv scope:SCOPE_SE
	s_cbranch_scc1 .LBB0_100
; %bb.99:
	ds_load_b32 v3, v6 offset:256
	s_wait_loadcnt_dscnt 0x0
	s_barrier_signal -1
	s_barrier_wait -1
	global_inv scope:SCOPE_SE
	v_add_f32_e32 v2, v2, v3
	ds_store_b32 v6, v2
.LBB0_100:
	s_cmp_lt_u32 s21, 33
	;; [unrolled: 15-line block ×5, first 2 shown]
	s_wait_loadcnt_dscnt 0x0
	s_barrier_signal -1
	s_barrier_wait -1
	global_inv scope:SCOPE_SE
	s_cbranch_scc1 .LBB0_108
; %bb.107:
	ds_load_b32 v3, v6 offset:16
	s_wait_loadcnt_dscnt 0x0
	s_barrier_signal -1
	s_barrier_wait -1
	global_inv scope:SCOPE_SE
	v_add_f32_e32 v2, v2, v3
	ds_store_b32 v6, v2
.LBB0_108:
	s_cmp_eq_u32 s21, 2
	s_wait_loadcnt_dscnt 0x0
	s_barrier_signal -1
	s_barrier_wait -1
	global_inv scope:SCOPE_SE
	s_cbranch_scc1 .LBB0_110
; %bb.109:
	ds_load_b32 v3, v6 offset:8
	s_wait_loadcnt_dscnt 0x0
	s_barrier_signal -1
	s_barrier_wait -1
	global_inv scope:SCOPE_SE
	v_add_f32_e32 v2, v2, v3
	ds_store_b32 v6, v2
.LBB0_110:
	s_wait_loadcnt_dscnt 0x0
	s_barrier_signal -1
	s_barrier_wait -1
	global_inv scope:SCOPE_SE
	ds_load_b32 v3, v6 offset:4
	v_cmp_eq_u32_e64 s0, 0, v0
	s_xor_b32 s1, vcc_lo, -1
	s_wait_loadcnt_dscnt 0x0
	s_barrier_signal -1
	s_barrier_wait -1
	s_wait_alu 0xfffe
	s_and_b32 s0, s0, s1
	global_inv scope:SCOPE_SE
	v_add_f32_e32 v3, v2, v3
	ds_store_b32 v6, v3
	s_wait_alu 0xfffe
	s_and_saveexec_b32 s1, s0
	s_cbranch_execz .LBB0_114
; %bb.111:
	v_ashrrev_i32_e32 v2, 31, v1
	s_cmp_eq_f32 s20, 0
	s_delay_alu instid0(VALU_DEP_1)
	v_lshlrev_b64_e32 v[0:1], 2, v[1:2]
	s_cbranch_scc1 .LBB0_113
; %bb.112:
	s_delay_alu instid0(VALU_DEP_1) | instskip(SKIP_1) | instid1(VALU_DEP_2)
	v_add_co_u32 v4, vcc_lo, s22, v0
	s_wait_alu 0xfffd
	v_add_co_ci_u32_e64 v5, null, s23, v1, vcc_lo
	global_load_b32 v2, v[4:5], off
	s_wait_loadcnt 0x0
	v_fmac_f32_e32 v3, s20, v2
.LBB0_113:
	s_delay_alu instid0(VALU_DEP_1) | instskip(SKIP_1) | instid1(VALU_DEP_2)
	v_add_co_u32 v0, vcc_lo, s22, v0
	s_wait_alu 0xfffd
	v_add_co_ci_u32_e64 v1, null, s23, v1, vcc_lo
	global_store_b32 v[0:1], v3, off
.LBB0_114:
	s_endpgm
	.section	.rodata,"a",@progbits
	.p2align	6, 0x0
	.amdhsa_kernel _ZN9rocsparseL22csrmvn_adaptive_kernelIiiffffEEvbT_PKS1_PjPKT0_NS_24const_host_device_scalarIT4_EES3_S7_PKT1_PKT2_SA_PT3_21rocsparse_index_base_b
		.amdhsa_group_segment_fixed_size 4096
		.amdhsa_private_segment_fixed_size 0
		.amdhsa_kernarg_size 96
		.amdhsa_user_sgpr_count 2
		.amdhsa_user_sgpr_dispatch_ptr 0
		.amdhsa_user_sgpr_queue_ptr 0
		.amdhsa_user_sgpr_kernarg_segment_ptr 1
		.amdhsa_user_sgpr_dispatch_id 0
		.amdhsa_user_sgpr_private_segment_size 0
		.amdhsa_wavefront_size32 1
		.amdhsa_uses_dynamic_stack 0
		.amdhsa_enable_private_segment 0
		.amdhsa_system_sgpr_workgroup_id_x 1
		.amdhsa_system_sgpr_workgroup_id_y 0
		.amdhsa_system_sgpr_workgroup_id_z 0
		.amdhsa_system_sgpr_workgroup_info 0
		.amdhsa_system_vgpr_workitem_id 0
		.amdhsa_next_free_vgpr 16
		.amdhsa_next_free_sgpr 44
		.amdhsa_reserve_vcc 1
		.amdhsa_float_round_mode_32 0
		.amdhsa_float_round_mode_16_64 0
		.amdhsa_float_denorm_mode_32 3
		.amdhsa_float_denorm_mode_16_64 3
		.amdhsa_fp16_overflow 0
		.amdhsa_workgroup_processor_mode 1
		.amdhsa_memory_ordered 1
		.amdhsa_forward_progress 1
		.amdhsa_inst_pref_size 39
		.amdhsa_round_robin_scheduling 0
		.amdhsa_exception_fp_ieee_invalid_op 0
		.amdhsa_exception_fp_denorm_src 0
		.amdhsa_exception_fp_ieee_div_zero 0
		.amdhsa_exception_fp_ieee_overflow 0
		.amdhsa_exception_fp_ieee_underflow 0
		.amdhsa_exception_fp_ieee_inexact 0
		.amdhsa_exception_int_div_zero 0
	.end_amdhsa_kernel
	.section	.text._ZN9rocsparseL22csrmvn_adaptive_kernelIiiffffEEvbT_PKS1_PjPKT0_NS_24const_host_device_scalarIT4_EES3_S7_PKT1_PKT2_SA_PT3_21rocsparse_index_base_b,"axG",@progbits,_ZN9rocsparseL22csrmvn_adaptive_kernelIiiffffEEvbT_PKS1_PjPKT0_NS_24const_host_device_scalarIT4_EES3_S7_PKT1_PKT2_SA_PT3_21rocsparse_index_base_b,comdat
.Lfunc_end0:
	.size	_ZN9rocsparseL22csrmvn_adaptive_kernelIiiffffEEvbT_PKS1_PjPKT0_NS_24const_host_device_scalarIT4_EES3_S7_PKT1_PKT2_SA_PT3_21rocsparse_index_base_b, .Lfunc_end0-_ZN9rocsparseL22csrmvn_adaptive_kernelIiiffffEEvbT_PKS1_PjPKT0_NS_24const_host_device_scalarIT4_EES3_S7_PKT1_PKT2_SA_PT3_21rocsparse_index_base_b
                                        ; -- End function
	.set _ZN9rocsparseL22csrmvn_adaptive_kernelIiiffffEEvbT_PKS1_PjPKT0_NS_24const_host_device_scalarIT4_EES3_S7_PKT1_PKT2_SA_PT3_21rocsparse_index_base_b.num_vgpr, 16
	.set _ZN9rocsparseL22csrmvn_adaptive_kernelIiiffffEEvbT_PKS1_PjPKT0_NS_24const_host_device_scalarIT4_EES3_S7_PKT1_PKT2_SA_PT3_21rocsparse_index_base_b.num_agpr, 0
	.set _ZN9rocsparseL22csrmvn_adaptive_kernelIiiffffEEvbT_PKS1_PjPKT0_NS_24const_host_device_scalarIT4_EES3_S7_PKT1_PKT2_SA_PT3_21rocsparse_index_base_b.numbered_sgpr, 44
	.set _ZN9rocsparseL22csrmvn_adaptive_kernelIiiffffEEvbT_PKS1_PjPKT0_NS_24const_host_device_scalarIT4_EES3_S7_PKT1_PKT2_SA_PT3_21rocsparse_index_base_b.num_named_barrier, 0
	.set _ZN9rocsparseL22csrmvn_adaptive_kernelIiiffffEEvbT_PKS1_PjPKT0_NS_24const_host_device_scalarIT4_EES3_S7_PKT1_PKT2_SA_PT3_21rocsparse_index_base_b.private_seg_size, 0
	.set _ZN9rocsparseL22csrmvn_adaptive_kernelIiiffffEEvbT_PKS1_PjPKT0_NS_24const_host_device_scalarIT4_EES3_S7_PKT1_PKT2_SA_PT3_21rocsparse_index_base_b.uses_vcc, 1
	.set _ZN9rocsparseL22csrmvn_adaptive_kernelIiiffffEEvbT_PKS1_PjPKT0_NS_24const_host_device_scalarIT4_EES3_S7_PKT1_PKT2_SA_PT3_21rocsparse_index_base_b.uses_flat_scratch, 0
	.set _ZN9rocsparseL22csrmvn_adaptive_kernelIiiffffEEvbT_PKS1_PjPKT0_NS_24const_host_device_scalarIT4_EES3_S7_PKT1_PKT2_SA_PT3_21rocsparse_index_base_b.has_dyn_sized_stack, 0
	.set _ZN9rocsparseL22csrmvn_adaptive_kernelIiiffffEEvbT_PKS1_PjPKT0_NS_24const_host_device_scalarIT4_EES3_S7_PKT1_PKT2_SA_PT3_21rocsparse_index_base_b.has_recursion, 0
	.set _ZN9rocsparseL22csrmvn_adaptive_kernelIiiffffEEvbT_PKS1_PjPKT0_NS_24const_host_device_scalarIT4_EES3_S7_PKT1_PKT2_SA_PT3_21rocsparse_index_base_b.has_indirect_call, 0
	.section	.AMDGPU.csdata,"",@progbits
; Kernel info:
; codeLenInByte = 4940
; TotalNumSgprs: 46
; NumVgprs: 16
; ScratchSize: 0
; MemoryBound: 0
; FloatMode: 240
; IeeeMode: 1
; LDSByteSize: 4096 bytes/workgroup (compile time only)
; SGPRBlocks: 0
; VGPRBlocks: 1
; NumSGPRsForWavesPerEU: 46
; NumVGPRsForWavesPerEU: 16
; Occupancy: 16
; WaveLimiterHint : 1
; COMPUTE_PGM_RSRC2:SCRATCH_EN: 0
; COMPUTE_PGM_RSRC2:USER_SGPR: 2
; COMPUTE_PGM_RSRC2:TRAP_HANDLER: 0
; COMPUTE_PGM_RSRC2:TGID_X_EN: 1
; COMPUTE_PGM_RSRC2:TGID_Y_EN: 0
; COMPUTE_PGM_RSRC2:TGID_Z_EN: 0
; COMPUTE_PGM_RSRC2:TIDIG_COMP_CNT: 0
	.section	.text._ZN9rocsparseL22partial_scale_y_kernelIiffEEvT_S1_S1_NS_24const_host_device_scalarIT1_EEPT0_b,"axG",@progbits,_ZN9rocsparseL22partial_scale_y_kernelIiffEEvT_S1_S1_NS_24const_host_device_scalarIT1_EEPT0_b,comdat
	.globl	_ZN9rocsparseL22partial_scale_y_kernelIiffEEvT_S1_S1_NS_24const_host_device_scalarIT1_EEPT0_b ; -- Begin function _ZN9rocsparseL22partial_scale_y_kernelIiffEEvT_S1_S1_NS_24const_host_device_scalarIT1_EEPT0_b
	.p2align	8
	.type	_ZN9rocsparseL22partial_scale_y_kernelIiffEEvT_S1_S1_NS_24const_host_device_scalarIT1_EEPT0_b,@function
_ZN9rocsparseL22partial_scale_y_kernelIiffEEvT_S1_S1_NS_24const_host_device_scalarIT1_EEPT0_b: ; @_ZN9rocsparseL22partial_scale_y_kernelIiffEEvT_S1_S1_NS_24const_host_device_scalarIT1_EEPT0_b
; %bb.0:
	s_clause 0x1
	s_load_b32 s4, s[0:1], 0x20
	s_load_b64 s[2:3], s[0:1], 0x10
	s_wait_kmcnt 0x0
	s_bitcmp1_b32 s4, 0
	s_cselect_b32 s4, -1, 0
	s_delay_alu instid0(SALU_CYCLE_1)
	s_and_b32 vcc_lo, exec_lo, s4
	s_cbranch_vccnz .LBB1_2
; %bb.1:
	s_load_b32 s2, s[2:3], 0x0
.LBB1_2:
	s_wait_kmcnt 0x0
	s_cmp_eq_f32 s2, 1.0
	s_cbranch_scc1 .LBB1_12
; %bb.3:
	s_load_b96 s[4:6], s[0:1], 0x0
	v_lshl_or_b32 v0, ttmp9, 8, v0
	s_wait_kmcnt 0x0
	s_add_co_i32 s3, s5, s4
	s_delay_alu instid0(SALU_CYCLE_1)
	s_sub_co_i32 s3, s3, s6
	s_delay_alu instid0(VALU_DEP_1) | instid1(SALU_CYCLE_1)
	v_cmp_gt_i32_e32 vcc_lo, s3, v0
	s_and_saveexec_b32 s3, vcc_lo
	s_cbranch_execz .LBB1_12
; %bb.4:
	s_load_b64 s[0:1], s[0:1], 0x18
	s_cmp_neq_f32 s2, 0
	s_mov_b32 s4, exec_lo
	s_cselect_b32 s3, -1, 0
	v_cmpx_le_i32_e64 s5, v0
	s_xor_b32 s4, exec_lo, s4
	s_cbranch_execz .LBB1_8
; %bb.5:
	v_subrev_nc_u32_e32 v0, s5, v0
	s_delay_alu instid0(VALU_DEP_1) | instskip(NEXT) | instid1(VALU_DEP_1)
	v_add_nc_u32_e32 v0, s6, v0
	v_ashrrev_i32_e32 v1, 31, v0
	s_delay_alu instid0(VALU_DEP_1) | instskip(SKIP_1) | instid1(VALU_DEP_1)
	v_lshlrev_b64_e32 v[1:2], 2, v[0:1]
	s_wait_kmcnt 0x0
	v_add_co_u32 v1, vcc_lo, s0, v1
	s_delay_alu instid0(VALU_DEP_1)
	v_add_co_ci_u32_e64 v2, null, s1, v2, vcc_lo
	s_wait_alu 0xfffe
	s_and_b32 vcc_lo, exec_lo, s3
	s_wait_alu 0xfffe
	s_cbranch_vccz .LBB1_13
; %bb.6:
	global_load_b32 v0, v[1:2], off
	s_wait_loadcnt 0x0
	v_mul_f32_e32 v0, s2, v0
	global_store_b32 v[1:2], v0, off
                                        ; implicit-def: $vgpr0
	s_cbranch_execnz .LBB1_8
.LBB1_7:
	v_mov_b32_e32 v0, 0
	global_store_b32 v[1:2], v0, off
                                        ; implicit-def: $vgpr0
.LBB1_8:
	s_wait_alu 0xfffe
	s_and_not1_saveexec_b32 s4, s4
	s_cbranch_execz .LBB1_12
; %bb.9:
	v_ashrrev_i32_e32 v1, 31, v0
	s_delay_alu instid0(VALU_DEP_1) | instskip(SKIP_1) | instid1(VALU_DEP_1)
	v_lshlrev_b64_e32 v[0:1], 2, v[0:1]
	s_wait_kmcnt 0x0
	v_add_co_u32 v0, vcc_lo, s0, v0
	s_wait_alu 0xfffd
	s_delay_alu instid0(VALU_DEP_2)
	v_add_co_ci_u32_e64 v1, null, s1, v1, vcc_lo
	s_and_b32 vcc_lo, exec_lo, s3
	s_wait_alu 0xfffe
	s_cbranch_vccz .LBB1_14
; %bb.10:
	global_load_b32 v2, v[0:1], off
	s_wait_loadcnt 0x0
	v_mul_f32_e32 v2, s2, v2
	global_store_b32 v[0:1], v2, off
	s_cbranch_execnz .LBB1_12
.LBB1_11:
	v_mov_b32_e32 v2, 0
	global_store_b32 v[0:1], v2, off
.LBB1_12:
	s_endpgm
.LBB1_13:
                                        ; implicit-def: $vgpr0
	s_branch .LBB1_7
.LBB1_14:
	s_branch .LBB1_11
	.section	.rodata,"a",@progbits
	.p2align	6, 0x0
	.amdhsa_kernel _ZN9rocsparseL22partial_scale_y_kernelIiffEEvT_S1_S1_NS_24const_host_device_scalarIT1_EEPT0_b
		.amdhsa_group_segment_fixed_size 0
		.amdhsa_private_segment_fixed_size 0
		.amdhsa_kernarg_size 36
		.amdhsa_user_sgpr_count 2
		.amdhsa_user_sgpr_dispatch_ptr 0
		.amdhsa_user_sgpr_queue_ptr 0
		.amdhsa_user_sgpr_kernarg_segment_ptr 1
		.amdhsa_user_sgpr_dispatch_id 0
		.amdhsa_user_sgpr_private_segment_size 0
		.amdhsa_wavefront_size32 1
		.amdhsa_uses_dynamic_stack 0
		.amdhsa_enable_private_segment 0
		.amdhsa_system_sgpr_workgroup_id_x 1
		.amdhsa_system_sgpr_workgroup_id_y 0
		.amdhsa_system_sgpr_workgroup_id_z 0
		.amdhsa_system_sgpr_workgroup_info 0
		.amdhsa_system_vgpr_workitem_id 0
		.amdhsa_next_free_vgpr 3
		.amdhsa_next_free_sgpr 7
		.amdhsa_reserve_vcc 1
		.amdhsa_float_round_mode_32 0
		.amdhsa_float_round_mode_16_64 0
		.amdhsa_float_denorm_mode_32 3
		.amdhsa_float_denorm_mode_16_64 3
		.amdhsa_fp16_overflow 0
		.amdhsa_workgroup_processor_mode 1
		.amdhsa_memory_ordered 1
		.amdhsa_forward_progress 1
		.amdhsa_inst_pref_size 4
		.amdhsa_round_robin_scheduling 0
		.amdhsa_exception_fp_ieee_invalid_op 0
		.amdhsa_exception_fp_denorm_src 0
		.amdhsa_exception_fp_ieee_div_zero 0
		.amdhsa_exception_fp_ieee_overflow 0
		.amdhsa_exception_fp_ieee_underflow 0
		.amdhsa_exception_fp_ieee_inexact 0
		.amdhsa_exception_int_div_zero 0
	.end_amdhsa_kernel
	.section	.text._ZN9rocsparseL22partial_scale_y_kernelIiffEEvT_S1_S1_NS_24const_host_device_scalarIT1_EEPT0_b,"axG",@progbits,_ZN9rocsparseL22partial_scale_y_kernelIiffEEvT_S1_S1_NS_24const_host_device_scalarIT1_EEPT0_b,comdat
.Lfunc_end1:
	.size	_ZN9rocsparseL22partial_scale_y_kernelIiffEEvT_S1_S1_NS_24const_host_device_scalarIT1_EEPT0_b, .Lfunc_end1-_ZN9rocsparseL22partial_scale_y_kernelIiffEEvT_S1_S1_NS_24const_host_device_scalarIT1_EEPT0_b
                                        ; -- End function
	.set _ZN9rocsparseL22partial_scale_y_kernelIiffEEvT_S1_S1_NS_24const_host_device_scalarIT1_EEPT0_b.num_vgpr, 3
	.set _ZN9rocsparseL22partial_scale_y_kernelIiffEEvT_S1_S1_NS_24const_host_device_scalarIT1_EEPT0_b.num_agpr, 0
	.set _ZN9rocsparseL22partial_scale_y_kernelIiffEEvT_S1_S1_NS_24const_host_device_scalarIT1_EEPT0_b.numbered_sgpr, 7
	.set _ZN9rocsparseL22partial_scale_y_kernelIiffEEvT_S1_S1_NS_24const_host_device_scalarIT1_EEPT0_b.num_named_barrier, 0
	.set _ZN9rocsparseL22partial_scale_y_kernelIiffEEvT_S1_S1_NS_24const_host_device_scalarIT1_EEPT0_b.private_seg_size, 0
	.set _ZN9rocsparseL22partial_scale_y_kernelIiffEEvT_S1_S1_NS_24const_host_device_scalarIT1_EEPT0_b.uses_vcc, 1
	.set _ZN9rocsparseL22partial_scale_y_kernelIiffEEvT_S1_S1_NS_24const_host_device_scalarIT1_EEPT0_b.uses_flat_scratch, 0
	.set _ZN9rocsparseL22partial_scale_y_kernelIiffEEvT_S1_S1_NS_24const_host_device_scalarIT1_EEPT0_b.has_dyn_sized_stack, 0
	.set _ZN9rocsparseL22partial_scale_y_kernelIiffEEvT_S1_S1_NS_24const_host_device_scalarIT1_EEPT0_b.has_recursion, 0
	.set _ZN9rocsparseL22partial_scale_y_kernelIiffEEvT_S1_S1_NS_24const_host_device_scalarIT1_EEPT0_b.has_indirect_call, 0
	.section	.AMDGPU.csdata,"",@progbits
; Kernel info:
; codeLenInByte = 392
; TotalNumSgprs: 9
; NumVgprs: 3
; ScratchSize: 0
; MemoryBound: 0
; FloatMode: 240
; IeeeMode: 1
; LDSByteSize: 0 bytes/workgroup (compile time only)
; SGPRBlocks: 0
; VGPRBlocks: 0
; NumSGPRsForWavesPerEU: 9
; NumVGPRsForWavesPerEU: 3
; Occupancy: 16
; WaveLimiterHint : 0
; COMPUTE_PGM_RSRC2:SCRATCH_EN: 0
; COMPUTE_PGM_RSRC2:USER_SGPR: 2
; COMPUTE_PGM_RSRC2:TRAP_HANDLER: 0
; COMPUTE_PGM_RSRC2:TGID_X_EN: 1
; COMPUTE_PGM_RSRC2:TGID_Y_EN: 0
; COMPUTE_PGM_RSRC2:TGID_Z_EN: 0
; COMPUTE_PGM_RSRC2:TIDIG_COMP_CNT: 0
	.section	.text._ZN9rocsparseL27csrmvn_symm_adaptive_kernelIiiffffEEvbT_S1_PKS1_NS_24const_host_device_scalarIT4_EES3_PKT0_PKT1_PKT2_S6_PT3_21rocsparse_index_base_b,"axG",@progbits,_ZN9rocsparseL27csrmvn_symm_adaptive_kernelIiiffffEEvbT_S1_PKS1_NS_24const_host_device_scalarIT4_EES3_PKT0_PKT1_PKT2_S6_PT3_21rocsparse_index_base_b,comdat
	.globl	_ZN9rocsparseL27csrmvn_symm_adaptive_kernelIiiffffEEvbT_S1_PKS1_NS_24const_host_device_scalarIT4_EES3_PKT0_PKT1_PKT2_S6_PT3_21rocsparse_index_base_b ; -- Begin function _ZN9rocsparseL27csrmvn_symm_adaptive_kernelIiiffffEEvbT_S1_PKS1_NS_24const_host_device_scalarIT4_EES3_PKT0_PKT1_PKT2_S6_PT3_21rocsparse_index_base_b
	.p2align	8
	.type	_ZN9rocsparseL27csrmvn_symm_adaptive_kernelIiiffffEEvbT_S1_PKS1_NS_24const_host_device_scalarIT4_EES3_PKT0_PKT1_PKT2_S6_PT3_21rocsparse_index_base_b,@function
_ZN9rocsparseL27csrmvn_symm_adaptive_kernelIiiffffEEvbT_S1_PKS1_NS_24const_host_device_scalarIT4_EES3_PKT0_PKT1_PKT2_S6_PT3_21rocsparse_index_base_b: ; @_ZN9rocsparseL27csrmvn_symm_adaptive_kernelIiiffffEEvbT_S1_PKS1_NS_24const_host_device_scalarIT4_EES3_PKT0_PKT1_PKT2_S6_PT3_21rocsparse_index_base_b
; %bb.0:
	s_clause 0x2
	s_load_b64 s[20:21], s[0:1], 0x50
	s_load_b64 s[22:23], s[0:1], 0x18
	;; [unrolled: 1-line block ×3, first 2 shown]
	s_wait_kmcnt 0x0
	s_bitcmp1_b32 s21, 0
	s_cselect_b32 s4, -1, 0
	s_delay_alu instid0(SALU_CYCLE_1)
	s_and_b32 vcc_lo, exec_lo, s4
	s_xor_b32 s4, s4, -1
	s_cbranch_vccnz .LBB2_2
; %bb.1:
	s_load_b32 s22, s[22:23], 0x0
.LBB2_2:
	s_and_not1_b32 vcc_lo, exec_lo, s4
	s_cbranch_vccnz .LBB2_4
; %bb.3:
	s_load_b32 s2, s[2:3], 0x0
.LBB2_4:
	s_wait_kmcnt 0x0
	s_cmp_neq_f32 s22, 0
	s_cselect_b32 s3, -1, 0
	s_cmp_neq_f32 s2, 1.0
	s_cselect_b32 s2, -1, 0
	s_delay_alu instid0(SALU_CYCLE_1) | instskip(NEXT) | instid1(SALU_CYCLE_1)
	s_or_b32 s2, s3, s2
	s_and_not1_b32 vcc_lo, exec_lo, s2
	s_cbranch_vccnz .LBB2_141
; %bb.5:
	s_load_b64 s[4:5], s[0:1], 0x10
	s_mov_b32 s2, ttmp9
	s_ashr_i32 s3, ttmp9, 31
	v_dual_mov_b32 v1, 0 :: v_dual_lshlrev_b32 v8, 2, v0
	s_lshl_b64 s[2:3], s[2:3], 2
	ds_store_2addr_stride64_b32 v8, v1, v1 offset1:4
	ds_store_2addr_stride64_b32 v8, v1, v1 offset0:8 offset1:12
	s_wait_dscnt 0x0
	s_barrier_signal -1
	s_barrier_wait -1
	global_inv scope:SCOPE_SE
	v_subrev_nc_u32_e32 v9, s20, v0
	s_wait_kmcnt 0x0
	s_add_nc_u64 s[2:3], s[4:5], s[2:3]
	s_load_b64 s[18:19], s[2:3], 0x0
	s_clause 0x1
	s_load_b256 s[8:15], s[0:1], 0x20
	s_load_b64 s[16:17], s[0:1], 0x48
	s_mov_b32 s2, -1
	s_wait_kmcnt 0x0
	s_sub_co_i32 s21, s19, s18
	s_wait_alu 0xfffe
	s_cmp_gt_i32 s21, 2
	s_cbranch_scc1 .LBB2_34
; %bb.6:
	s_cmp_le_i32 s19, s18
	s_cbranch_scc1 .LBB2_24
; %bb.7:
	v_cmp_gt_u32_e64 s2, 16, v0
	v_cmp_gt_u32_e64 s3, 4, v0
	v_cmp_eq_u32_e64 s4, 0, v0
	v_mov_b32_e32 v6, 0
	s_mov_b32 s24, s18
	v_cmp_gt_u32_e32 vcc_lo, 64, v0
	s_branch .LBB2_9
.LBB2_8:                                ;   in Loop: Header=BB2_9 Depth=1
	s_wait_alu 0xfffe
	s_or_b32 exec_lo, exec_lo, s6
	s_add_co_i32 s24, s24, 1
	s_delay_alu instid0(SALU_CYCLE_1)
	s_cmp_ge_i32 s24, s19
	s_cbranch_scc1 .LBB2_24
.LBB2_9:                                ; =>This Loop Header: Depth=1
                                        ;     Child Loop BB2_11 Depth 2
	s_ashr_i32 s25, s24, 31
	v_mov_b32_e32 v7, 0
	s_lshl_b64 s[26:27], s[24:25], 2
	s_delay_alu instid0(SALU_CYCLE_1)
	s_add_nc_u64 s[6:7], s[8:9], s[26:27]
	s_load_b64 s[6:7], s[6:7], 0x0
	s_wait_kmcnt 0x0
	v_add_nc_u32_e32 v1, s6, v9
	s_sub_co_i32 s23, s7, s20
	s_mov_b32 s7, exec_lo
	s_wait_alu 0xfffe
	s_delay_alu instid0(VALU_DEP_1)
	v_cmpx_gt_i32_e64 s23, v1
	s_cbranch_execz .LBB2_13
; %bb.10:                               ;   in Loop: Header=BB2_9 Depth=1
	v_ashrrev_i32_e32 v2, 31, v1
	v_mov_b32_e32 v7, 0
	s_mov_b32 s25, 0
	s_delay_alu instid0(VALU_DEP_2) | instskip(NEXT) | instid1(VALU_DEP_1)
	v_lshlrev_b64_e32 v[4:5], 2, v[1:2]
	v_add_co_u32 v2, s5, s10, v4
	s_wait_alu 0xf1ff
	s_delay_alu instid0(VALU_DEP_2)
	v_add_co_ci_u32_e64 v3, null, s11, v5, s5
	v_add_co_u32 v4, s5, s12, v4
	s_wait_alu 0xf1ff
	v_add_co_ci_u32_e64 v5, null, s13, v5, s5
.LBB2_11:                               ;   Parent Loop BB2_9 Depth=1
                                        ; =>  This Inner Loop Header: Depth=2
	global_load_b32 v10, v[2:3], off
	v_add_nc_u32_e32 v1, 0x100, v1
	s_delay_alu instid0(VALU_DEP_1) | instskip(SKIP_3) | instid1(VALU_DEP_1)
	v_cmp_le_i32_e64 s6, s23, v1
	s_or_b32 s25, s6, s25
	s_wait_loadcnt 0x0
	v_subrev_nc_u32_e32 v10, s20, v10
	v_ashrrev_i32_e32 v11, 31, v10
	s_delay_alu instid0(VALU_DEP_1) | instskip(NEXT) | instid1(VALU_DEP_1)
	v_lshlrev_b64_e32 v[10:11], 2, v[10:11]
	v_add_co_u32 v10, s5, s14, v10
	s_wait_alu 0xf1ff
	s_delay_alu instid0(VALU_DEP_2)
	v_add_co_ci_u32_e64 v11, null, s15, v11, s5
	v_add_co_u32 v2, s5, 0x400, v2
	global_load_b32 v12, v[4:5], off
	global_load_b32 v10, v[10:11], off
	s_wait_alu 0xf1ff
	v_add_co_ci_u32_e64 v3, null, 0, v3, s5
	v_add_co_u32 v4, s5, 0x400, v4
	s_wait_alu 0xf1ff
	v_add_co_ci_u32_e64 v5, null, 0, v5, s5
	s_wait_loadcnt 0x0
	v_fmac_f32_e32 v7, v12, v10
	s_and_not1_b32 exec_lo, exec_lo, s25
	s_cbranch_execnz .LBB2_11
; %bb.12:                               ;   in Loop: Header=BB2_9 Depth=1
	s_or_b32 exec_lo, exec_lo, s25
.LBB2_13:                               ;   in Loop: Header=BB2_9 Depth=1
	s_wait_alu 0xfffe
	s_or_b32 exec_lo, exec_lo, s7
	ds_store_b32 v8, v7
	s_wait_loadcnt_dscnt 0x0
	s_barrier_signal -1
	s_barrier_wait -1
	global_inv scope:SCOPE_SE
	ds_load_2addr_stride64_b32 v[1:2], v8 offset1:4
	ds_load_2addr_stride64_b32 v[3:4], v8 offset0:8 offset1:12
	s_wait_dscnt 0x0
	v_add_f32_e32 v2, v2, v3
	s_delay_alu instid0(VALU_DEP_1) | instskip(NEXT) | instid1(VALU_DEP_1)
	v_add_f32_e32 v2, v2, v4
	v_add_f32_e32 v1, v1, v2
	ds_store_b32 v8, v1
	s_wait_loadcnt_dscnt 0x0
	s_barrier_signal -1
	s_barrier_wait -1
	global_inv scope:SCOPE_SE
	s_and_saveexec_b32 s5, vcc_lo
	s_cbranch_execz .LBB2_15
; %bb.14:                               ;   in Loop: Header=BB2_9 Depth=1
	ds_load_2addr_stride64_b32 v[1:2], v8 offset1:1
	ds_load_2addr_stride64_b32 v[3:4], v8 offset0:2 offset1:3
	s_wait_dscnt 0x0
	v_add_f32_e32 v2, v2, v3
	s_delay_alu instid0(VALU_DEP_1) | instskip(NEXT) | instid1(VALU_DEP_1)
	v_add_f32_e32 v2, v2, v4
	v_add_f32_e32 v1, v1, v2
	ds_store_b32 v8, v1
.LBB2_15:                               ;   in Loop: Header=BB2_9 Depth=1
	s_wait_alu 0xfffe
	s_or_b32 exec_lo, exec_lo, s5
	s_wait_loadcnt_dscnt 0x0
	s_barrier_signal -1
	s_barrier_wait -1
	global_inv scope:SCOPE_SE
	s_and_saveexec_b32 s5, s2
	s_cbranch_execz .LBB2_17
; %bb.16:                               ;   in Loop: Header=BB2_9 Depth=1
	ds_load_2addr_b32 v[1:2], v8 offset1:16
	ds_load_2addr_b32 v[3:4], v8 offset0:32 offset1:48
	s_wait_dscnt 0x0
	v_add_f32_e32 v2, v2, v3
	s_delay_alu instid0(VALU_DEP_1) | instskip(NEXT) | instid1(VALU_DEP_1)
	v_add_f32_e32 v2, v2, v4
	v_add_f32_e32 v1, v1, v2
	ds_store_b32 v8, v1
.LBB2_17:                               ;   in Loop: Header=BB2_9 Depth=1
	s_wait_alu 0xfffe
	s_or_b32 exec_lo, exec_lo, s5
	s_wait_loadcnt_dscnt 0x0
	s_barrier_signal -1
	s_barrier_wait -1
	global_inv scope:SCOPE_SE
	s_and_saveexec_b32 s5, s3
	s_cbranch_execz .LBB2_19
; %bb.18:                               ;   in Loop: Header=BB2_9 Depth=1
	ds_load_2addr_b32 v[1:2], v8 offset1:4
	ds_load_2addr_b32 v[3:4], v8 offset0:8 offset1:12
	s_wait_dscnt 0x0
	v_add_f32_e32 v2, v2, v3
	s_delay_alu instid0(VALU_DEP_1) | instskip(NEXT) | instid1(VALU_DEP_1)
	v_add_f32_e32 v2, v2, v4
	v_add_f32_e32 v1, v1, v2
	ds_store_b32 v8, v1
.LBB2_19:                               ;   in Loop: Header=BB2_9 Depth=1
	s_wait_alu 0xfffe
	s_or_b32 exec_lo, exec_lo, s5
	s_wait_loadcnt_dscnt 0x0
	s_barrier_signal -1
	s_barrier_wait -1
	global_inv scope:SCOPE_SE
	s_and_saveexec_b32 s5, s4
	s_cbranch_execz .LBB2_21
; %bb.20:                               ;   in Loop: Header=BB2_9 Depth=1
	ds_load_2addr_b32 v[1:2], v6 offset0:1 offset1:2
	ds_load_b32 v3, v6 offset:12
	ds_load_b32 v4, v8
	s_wait_dscnt 0x2
	v_add_f32_e32 v1, v1, v2
	s_wait_dscnt 0x1
	s_delay_alu instid0(VALU_DEP_1) | instskip(SKIP_1) | instid1(VALU_DEP_1)
	v_add_f32_e32 v1, v1, v3
	s_wait_dscnt 0x0
	v_add_f32_e32 v1, v4, v1
	ds_store_b32 v8, v1
.LBB2_21:                               ;   in Loop: Header=BB2_9 Depth=1
	s_wait_alu 0xfffe
	s_or_b32 exec_lo, exec_lo, s5
	s_wait_loadcnt_dscnt 0x0
	s_barrier_signal -1
	s_barrier_wait -1
	global_inv scope:SCOPE_SE
	s_and_saveexec_b32 s6, s4
	s_cbranch_execz .LBB2_8
; %bb.22:                               ;   in Loop: Header=BB2_9 Depth=1
	s_mov_b32 s7, exec_lo
	s_wait_alu 0xfffe
	v_mbcnt_lo_u32_b32 v1, s7, 0
	s_delay_alu instid0(VALU_DEP_1)
	v_cmp_eq_u32_e64 s5, 0, v1
	s_and_b32 s5, exec_lo, s5
	s_wait_alu 0xfffe
	s_mov_b32 exec_lo, s5
	s_cbranch_execz .LBB2_8
; %bb.23:                               ;   in Loop: Header=BB2_9 Depth=1
	ds_load_b32 v1, v6
	s_bcnt1_i32_b32 s5, s7
	s_add_nc_u64 s[26:27], s[16:17], s[26:27]
	s_wait_alu 0xfffe
	v_cvt_f32_ubyte0_e32 v2, s5
	s_wait_dscnt 0x0
	v_mul_f32_e32 v1, s22, v1
	s_delay_alu instid0(VALU_DEP_1)
	v_mul_f32_e32 v1, v1, v2
	global_atomic_add_f32 v6, v1, s[26:27] scope:SCOPE_DEV
	s_branch .LBB2_8
.LBB2_24:
	s_ashr_i32 s3, s18, 31
	s_mov_b32 s2, s18
	s_ashr_i32 s5, s19, 31
	s_lshl_b64 s[2:3], s[2:3], 2
	s_mov_b32 s4, s19
	s_add_nc_u64 s[2:3], s[8:9], s[2:3]
	s_wait_alu 0xfffe
	s_lshl_b64 s[4:5], s[4:5], 2
	s_load_b32 s6, s[2:3], 0x0
	s_add_nc_u64 s[2:3], s[8:9], s[4:5]
	s_mov_b32 s4, exec_lo
	s_load_b32 s2, s[2:3], 0x0
	s_wait_kmcnt 0x0
	v_add_nc_u32_e32 v1, s6, v9
	s_sub_co_i32 s3, s2, s20
	s_delay_alu instid0(VALU_DEP_1) | instid1(SALU_CYCLE_1)
	v_cmpx_gt_i32_e64 s3, v1
	s_cbranch_execz .LBB2_33
; %bb.25:
	s_add_co_i32 s5, s19, -1
	s_mov_b32 s7, 0
	s_wait_alu 0xfffe
	s_cmp_lt_i32 s18, s5
	s_cselect_b32 s2, -1, 0
	s_add_co_i32 s6, s19, -2
	s_wait_alu 0xfffe
	s_cmp_lg_u32 s18, s6
	s_cselect_b32 s6, -1, 0
	s_wait_alu 0xfffe
	s_and_b32 s6, s2, s6
	s_branch .LBB2_27
.LBB2_26:                               ;   in Loop: Header=BB2_27 Depth=1
	s_wait_alu 0xfffe
	s_or_b32 exec_lo, exec_lo, s2
	v_add_nc_u32_e32 v1, 0x100, v1
	s_delay_alu instid0(VALU_DEP_1)
	v_cmp_le_i32_e32 vcc_lo, s3, v1
	s_or_b32 s7, vcc_lo, s7
	s_wait_alu 0xfffe
	s_and_not1_b32 exec_lo, exec_lo, s7
	s_cbranch_execz .LBB2_33
.LBB2_27:                               ; =>This Loop Header: Depth=1
                                        ;     Child Loop BB2_29 Depth 2
	v_dual_mov_b32 v6, s18 :: v_dual_mov_b32 v3, s5
	s_wait_alu 0xfffe
	s_and_not1_b32 vcc_lo, exec_lo, s6
	s_wait_alu 0xfffe
	s_cbranch_vccnz .LBB2_31
; %bb.28:                               ;   in Loop: Header=BB2_27 Depth=1
	v_dual_mov_b32 v6, s18 :: v_dual_mov_b32 v3, s5
	s_mov_b32 s23, 0
.LBB2_29:                               ;   Parent Loop BB2_27 Depth=1
                                        ; =>  This Inner Loop Header: Depth=2
	s_delay_alu instid0(VALU_DEP_1) | instskip(NEXT) | instid1(VALU_DEP_1)
	v_add_nc_u32_e32 v2, v3, v6
	v_lshrrev_b32_e32 v4, 31, v2
	s_delay_alu instid0(VALU_DEP_1) | instskip(NEXT) | instid1(VALU_DEP_1)
	v_add_nc_u32_e32 v2, v2, v4
	v_ashrrev_i32_e32 v4, 1, v2
	s_delay_alu instid0(VALU_DEP_1) | instskip(NEXT) | instid1(VALU_DEP_1)
	v_ashrrev_i32_e32 v5, 31, v4
	v_lshlrev_b64_e32 v[10:11], 2, v[4:5]
	s_delay_alu instid0(VALU_DEP_1) | instskip(SKIP_1) | instid1(VALU_DEP_2)
	v_add_co_u32 v10, vcc_lo, s8, v10
	s_wait_alu 0xfffd
	v_add_co_ci_u32_e64 v11, null, s9, v11, vcc_lo
	global_load_b32 v2, v[10:11], off
	s_wait_loadcnt 0x0
	v_subrev_nc_u32_e32 v2, s20, v2
	s_delay_alu instid0(VALU_DEP_1) | instskip(SKIP_2) | instid1(VALU_DEP_1)
	v_cmp_lt_i32_e32 vcc_lo, v1, v2
	s_wait_alu 0xfffd
	v_dual_cndmask_b32 v3, v3, v4 :: v_dual_cndmask_b32 v6, v4, v6
	v_add_nc_u32_e32 v2, -1, v3
	s_delay_alu instid0(VALU_DEP_2) | instskip(NEXT) | instid1(VALU_DEP_2)
	v_cmp_ge_i32_e32 vcc_lo, v6, v3
	v_cmp_eq_u32_e64 s2, v6, v2
	s_or_b32 s2, vcc_lo, s2
	s_wait_alu 0xfffe
	s_and_b32 s2, exec_lo, s2
	s_wait_alu 0xfffe
	s_or_b32 s23, s2, s23
	s_wait_alu 0xfffe
	s_and_not1_b32 exec_lo, exec_lo, s23
	s_cbranch_execnz .LBB2_29
; %bb.30:                               ;   in Loop: Header=BB2_27 Depth=1
	s_or_b32 exec_lo, exec_lo, s23
.LBB2_31:                               ;   in Loop: Header=BB2_27 Depth=1
	v_ashrrev_i32_e32 v4, 31, v3
	v_ashrrev_i32_e32 v2, 31, v1
	s_mov_b32 s2, exec_lo
	s_delay_alu instid0(VALU_DEP_2) | instskip(NEXT) | instid1(VALU_DEP_1)
	v_lshlrev_b64_e32 v[4:5], 2, v[3:4]
	v_add_co_u32 v10, vcc_lo, s8, v4
	s_wait_alu 0xfffd
	s_delay_alu instid0(VALU_DEP_2)
	v_add_co_ci_u32_e64 v11, null, s9, v5, vcc_lo
	v_lshlrev_b64_e32 v[4:5], 2, v[1:2]
	global_load_b32 v2, v[10:11], off
	v_add_co_u32 v10, vcc_lo, s10, v4
	s_wait_alu 0xfffd
	v_add_co_ci_u32_e64 v11, null, s11, v5, vcc_lo
	global_load_b32 v7, v[10:11], off
	s_wait_loadcnt 0x1
	v_subrev_nc_u32_e32 v2, s20, v2
	s_delay_alu instid0(VALU_DEP_1) | instskip(SKIP_4) | instid1(VALU_DEP_1)
	v_cmp_lt_i32_e32 vcc_lo, v1, v2
	s_wait_loadcnt 0x0
	v_subrev_nc_u32_e32 v2, s20, v7
	s_wait_alu 0xfffd
	v_cndmask_b32_e32 v6, v3, v6, vcc_lo
	v_cmpx_ne_u32_e64 v2, v6
	s_cbranch_execz .LBB2_26
; %bb.32:                               ;   in Loop: Header=BB2_27 Depth=1
	v_ashrrev_i32_e32 v7, 31, v6
	v_add_co_u32 v3, vcc_lo, s12, v4
	s_wait_alu 0xfffd
	v_add_co_ci_u32_e64 v4, null, s13, v5, vcc_lo
	s_delay_alu instid0(VALU_DEP_3)
	v_lshlrev_b64_e32 v[5:6], 2, v[6:7]
	global_load_b32 v7, v[3:4], off
	v_add_co_u32 v3, vcc_lo, s14, v5
	s_wait_alu 0xfffd
	v_add_co_ci_u32_e64 v4, null, s15, v6, vcc_lo
	global_load_b32 v4, v[3:4], off
	v_ashrrev_i32_e32 v3, 31, v2
	s_delay_alu instid0(VALU_DEP_1) | instskip(NEXT) | instid1(VALU_DEP_1)
	v_lshlrev_b64_e32 v[2:3], 2, v[2:3]
	v_add_co_u32 v2, vcc_lo, s16, v2
	s_wait_alu 0xfffd
	s_delay_alu instid0(VALU_DEP_2) | instskip(SKIP_3) | instid1(VALU_DEP_1)
	v_add_co_ci_u32_e64 v3, null, s17, v3, vcc_lo
	s_wait_loadcnt 0x1
	v_mul_f32_e32 v5, s22, v7
	s_wait_loadcnt 0x0
	v_mul_f32_e32 v4, v5, v4
	global_atomic_add_f32 v[2:3], v4, off scope:SCOPE_DEV
	s_branch .LBB2_26
.LBB2_33:
	s_or_b32 exec_lo, exec_lo, s4
	s_mov_b32 s2, 0
.LBB2_34:
	s_wait_alu 0xfffe
	s_and_b32 vcc_lo, exec_lo, s2
	s_wait_alu 0xfffe
	s_cbranch_vccz .LBB2_141
; %bb.35:
	s_ashr_i32 s3, s18, 31
	s_mov_b32 s2, s18
	s_cvt_f32_u32 s4, s21
	s_wait_alu 0xfffe
	s_lshl_b64 s[2:3], s[2:3], 2
	s_mov_b32 s5, 0
	s_wait_alu 0xfffe
	s_add_nc_u64 s[2:3], s[8:9], s[2:3]
	v_rcp_iflag_f32_e32 v1, s4
	s_load_b32 s23, s[2:3], 0x0
	s_clause 0x1
	s_load_b64 s[6:7], s[0:1], 0x4
	s_load_b32 s1, s[0:1], 0x64
	s_delay_alu instid0(TRANS32_DEP_1) | instskip(SKIP_1) | instid1(SALU_CYCLE_3)
	v_readfirstlane_b32 s0, v1
	s_mul_f32 s0, s0, 0x4f7ffffe
	s_cvt_u32_f32 s24, s0
	s_sub_co_i32 s0, 0, s21
	s_wait_kmcnt 0x0
	v_add_nc_u32_e32 v1, s23, v9
	s_mul_i32 s0, s0, s24
	s_delay_alu instid0(VALU_DEP_1) | instskip(NEXT) | instid1(VALU_DEP_1)
	v_add_nc_u32_e32 v9, 0x300, v1
	v_cmp_le_i32_e32 vcc_lo, s6, v9
	s_mul_hi_u32 s6, s24, s0
	s_and_saveexec_b32 s0, vcc_lo
	s_delay_alu instid0(SALU_CYCLE_1)
	s_xor_b32 s4, exec_lo, s0
	s_cbranch_execz .LBB2_40
; %bb.36:
	s_ashr_i32 s27, s19, 31
	s_mov_b32 s26, s19
	s_delay_alu instid0(SALU_CYCLE_1) | instskip(NEXT) | instid1(SALU_CYCLE_1)
	s_lshl_b64 s[26:27], s[26:27], 2
	s_add_nc_u64 s[26:27], s[8:9], s[26:27]
	s_load_b32 s0, s[26:27], 0x0
	s_mov_b32 s26, exec_lo
	s_wait_kmcnt 0x0
	s_sub_co_i32 s25, s0, s23
	s_delay_alu instid0(SALU_CYCLE_1)
	v_cmpx_gt_i32_e64 s25, v0
	s_cbranch_execz .LBB2_39
; %bb.37:
	v_dual_mov_b32 v2, v8 :: v_dual_mov_b32 v3, v0
	s_sub_co_i32 s27, s23, s20
	s_mov_b32 s28, 0
.LBB2_38:                               ; =>This Inner Loop Header: Depth=1
	s_delay_alu instid0(VALU_DEP_1) | instskip(NEXT) | instid1(VALU_DEP_1)
	v_add_nc_u32_e32 v4, s27, v3
	v_ashrrev_i32_e32 v5, 31, v4
	s_delay_alu instid0(VALU_DEP_1) | instskip(NEXT) | instid1(VALU_DEP_1)
	v_lshlrev_b64_e32 v[4:5], 2, v[4:5]
	v_add_co_u32 v4, s0, s12, v4
	s_wait_alu 0xf1ff
	s_delay_alu instid0(VALU_DEP_2) | instskip(SKIP_3) | instid1(VALU_DEP_1)
	v_add_co_ci_u32_e64 v5, null, s13, v5, s0
	global_load_b32 v4, v[4:5], off
	s_wait_loadcnt 0x0
	v_dual_mul_f32 v4, s22, v4 :: v_dual_add_nc_u32 v3, 0x100, v3
	v_cmp_le_i32_e64 s0, s25, v3
	ds_store_b32 v2, v4
	v_add_nc_u32_e32 v2, 0x400, v2
	s_or_b32 s28, s0, s28
	s_delay_alu instid0(SALU_CYCLE_1)
	s_and_not1_b32 exec_lo, exec_lo, s28
	s_cbranch_execnz .LBB2_38
.LBB2_39:
	s_or_b32 exec_lo, exec_lo, s26
.LBB2_40:
	s_wait_alu 0xfffe
	s_or_saveexec_b32 s25, s4
	v_ashrrev_i32_e32 v2, 31, v1
	s_and_b32 s4, s1, 0xffff
	s_add_co_i32 s24, s24, s6
	s_wait_alu 0xfffe
	s_xor_b32 exec_lo, exec_lo, s25
	s_cbranch_execz .LBB2_42
; %bb.41:
	v_lshlrev_b64_e32 v[3:4], 2, v[1:2]
	s_delay_alu instid0(VALU_DEP_1) | instskip(SKIP_1) | instid1(VALU_DEP_2)
	v_add_co_u32 v3, s0, s12, v3
	s_wait_alu 0xf1ff
	v_add_co_ci_u32_e64 v4, null, s13, v4, s0
	s_clause 0x3
	global_load_b32 v5, v[3:4], off
	global_load_b32 v6, v[3:4], off offset:1024
	global_load_b32 v7, v[3:4], off offset:2048
	;; [unrolled: 1-line block ×3, first 2 shown]
	s_wait_loadcnt 0x2
	v_dual_mul_f32 v4, s22, v5 :: v_dual_mul_f32 v5, s22, v6
	s_wait_loadcnt 0x1
	v_mul_f32_e32 v6, s22, v7
	s_wait_loadcnt 0x0
	v_mul_f32_e32 v3, s22, v3
	ds_store_2addr_stride64_b32 v8, v4, v5 offset1:4
	ds_store_2addr_stride64_b32 v8, v6, v3 offset0:8 offset1:12
.LBB2_42:
	s_or_b32 exec_lo, exec_lo, s25
	v_lshl_add_u32 v7, v0, 2, 0x1000
	s_mov_b32 s25, s5
	s_mov_b32 s1, exec_lo
	v_cmpx_gt_i32_e64 s7, v0
	s_cbranch_execz .LBB2_45
; %bb.43:
	v_lshl_add_u32 v3, v0, 2, 0x1000
	v_dual_mov_b32 v4, 0 :: v_dual_mov_b32 v5, v0
	s_mov_b32 s6, 0
.LBB2_44:                               ; =>This Inner Loop Header: Depth=1
	s_delay_alu instid0(VALU_DEP_1)
	v_add_nc_u32_e32 v5, 0x100, v5
	ds_store_b32 v3, v4
	v_add_nc_u32_e32 v3, 0x400, v3
	v_cmp_le_i32_e64 s0, s7, v5
	s_wait_alu 0xfffe
	s_or_b32 s6, s0, s6
	s_wait_alu 0xfffe
	s_and_not1_b32 exec_lo, exec_lo, s6
	s_cbranch_execnz .LBB2_44
.LBB2_45:
	s_wait_alu 0xfffe
	s_or_b32 exec_lo, exec_lo, s1
	s_mul_u64 s[0:1], s[4:5], s[24:25]
	s_sub_co_i32 s0, s19, s7
	s_cmp_ge_i32 s19, s7
	s_wait_storecnt 0x0
	s_wait_loadcnt_dscnt 0x0
	s_wait_alu 0xfffe
	s_cselect_b32 s5, s0, 0
	s_barrier_signal -1
	s_barrier_wait -1
	global_inv scope:SCOPE_SE
	s_and_saveexec_b32 s0, vcc_lo
	s_wait_alu 0xfffe
	s_xor_b32 s6, exec_lo, s0
	s_cbranch_execz .LBB2_62
; %bb.46:
	s_ashr_i32 s13, s19, 31
	s_mov_b32 s12, s19
	s_wait_alu 0xfffe
	s_lshl_b64 s[12:13], s[12:13], 2
	s_wait_alu 0xfffe
	s_add_nc_u64 s[12:13], s[8:9], s[12:13]
	s_load_b32 s0, s[12:13], 0x0
	s_mov_b32 s13, exec_lo
	s_wait_kmcnt 0x0
	s_sub_co_i32 s12, s0, s23
	s_wait_alu 0xfffe
	v_cmpx_gt_i32_e64 s12, v0
	s_cbranch_execz .LBB2_61
; %bb.47:
	s_add_co_i32 s24, s19, -2
	s_add_co_i32 s22, s19, -1
	s_wait_alu 0xfffe
	s_cmp_lg_u32 s18, s24
	s_mov_b32 s26, 0
	s_cselect_b32 s24, -1, 0
	s_sub_co_i32 s25, s0, s20
	s_mov_b32 s27, 0
	s_branch .LBB2_50
.LBB2_48:                               ;   in Loop: Header=BB2_50 Depth=1
	s_wait_alu 0xfffe
	s_or_b32 exec_lo, exec_lo, s0
.LBB2_49:                               ;   in Loop: Header=BB2_50 Depth=1
	s_delay_alu instid0(SALU_CYCLE_1) | instskip(SKIP_2) | instid1(VALU_DEP_1)
	s_or_b32 exec_lo, exec_lo, s28
	v_ashrrev_i32_e32 v4, 31, v3
	s_addk_co_i32 s27, 0x100
	v_lshlrev_b64_e32 v[3:4], 2, v[3:4]
	s_delay_alu instid0(VALU_DEP_1) | instskip(SKIP_1) | instid1(VALU_DEP_2)
	v_add_co_u32 v3, vcc_lo, s14, v3
	s_wait_alu 0xfffd
	v_add_co_ci_u32_e64 v4, null, s15, v4, vcc_lo
	global_load_b32 v3, v[3:4], off
	s_wait_loadcnt_dscnt 0x0
	s_wait_alu 0xfffe
	v_dual_mul_f32 v3, v3, v5 :: v_dual_add_nc_u32 v4, s27, v0
	s_delay_alu instid0(VALU_DEP_1)
	v_cmp_le_i32_e32 vcc_lo, s12, v4
	ds_store_b32 v2, v3
	s_or_b32 s26, vcc_lo, s26
	s_wait_alu 0xfffe
	s_and_not1_b32 exec_lo, exec_lo, s26
	s_cbranch_execz .LBB2_61
.LBB2_50:                               ; =>This Loop Header: Depth=1
                                        ;     Child Loop BB2_52 Depth 2
	s_wait_alu 0xfffe
	v_add_nc_u32_e32 v2, s27, v1
	v_mov_b32_e32 v6, s18
	v_mov_b32_e32 v4, s22
	s_and_not1_b32 vcc_lo, exec_lo, s24
	s_wait_alu 0xfffe
	s_cbranch_vccnz .LBB2_54
; %bb.51:                               ;   in Loop: Header=BB2_50 Depth=1
	v_mov_b32_e32 v6, s18
	v_mov_b32_e32 v4, s22
	s_mov_b32 s28, 0
.LBB2_52:                               ;   Parent Loop BB2_50 Depth=1
                                        ; =>  This Inner Loop Header: Depth=2
	s_delay_alu instid0(VALU_DEP_1) | instskip(NEXT) | instid1(VALU_DEP_1)
	v_add_nc_u32_e32 v3, v4, v6
	v_lshrrev_b32_e32 v5, 31, v3
	s_delay_alu instid0(VALU_DEP_1) | instskip(NEXT) | instid1(VALU_DEP_1)
	v_add_nc_u32_e32 v3, v3, v5
	v_ashrrev_i32_e32 v9, 1, v3
	s_delay_alu instid0(VALU_DEP_1) | instskip(NEXT) | instid1(VALU_DEP_1)
	v_ashrrev_i32_e32 v10, 31, v9
	v_lshlrev_b64_e32 v[10:11], 2, v[9:10]
	s_delay_alu instid0(VALU_DEP_1) | instskip(SKIP_1) | instid1(VALU_DEP_2)
	v_add_co_u32 v10, vcc_lo, s8, v10
	s_wait_alu 0xfffd
	v_add_co_ci_u32_e64 v11, null, s9, v11, vcc_lo
	global_load_b32 v3, v[10:11], off
	s_wait_loadcnt 0x0
	v_subrev_nc_u32_e32 v3, s20, v3
	s_delay_alu instid0(VALU_DEP_1) | instskip(SKIP_2) | instid1(VALU_DEP_1)
	v_cmp_lt_i32_e32 vcc_lo, v2, v3
	s_wait_alu 0xfffd
	v_cndmask_b32_e32 v4, v4, v9, vcc_lo
	v_dual_cndmask_b32 v6, v9, v6 :: v_dual_add_nc_u32 v3, -1, v4
	s_delay_alu instid0(VALU_DEP_1) | instskip(NEXT) | instid1(VALU_DEP_2)
	v_cmp_ge_i32_e32 vcc_lo, v6, v4
	v_cmp_eq_u32_e64 s0, v6, v3
	s_or_b32 s0, vcc_lo, s0
	s_wait_alu 0xfffe
	s_and_b32 s0, exec_lo, s0
	s_wait_alu 0xfffe
	s_or_b32 s28, s0, s28
	s_delay_alu instid0(SALU_CYCLE_1)
	s_and_not1_b32 exec_lo, exec_lo, s28
	s_cbranch_execnz .LBB2_52
; %bb.53:                               ;   in Loop: Header=BB2_50 Depth=1
	s_or_b32 exec_lo, exec_lo, s28
.LBB2_54:                               ;   in Loop: Header=BB2_50 Depth=1
	s_delay_alu instid0(VALU_DEP_1) | instskip(SKIP_2) | instid1(VALU_DEP_3)
	v_ashrrev_i32_e32 v5, 31, v4
	v_ashrrev_i32_e32 v3, 31, v2
	v_cmp_le_i32_e64 s0, s25, v2
	v_lshlrev_b64_e32 v[9:10], 2, v[4:5]
	s_delay_alu instid0(VALU_DEP_3) | instskip(NEXT) | instid1(VALU_DEP_2)
	v_lshlrev_b64_e32 v[11:12], 2, v[2:3]
	v_add_co_u32 v9, vcc_lo, s8, v9
	s_wait_alu 0xfffd
	s_delay_alu instid0(VALU_DEP_3) | instskip(NEXT) | instid1(VALU_DEP_3)
	v_add_co_ci_u32_e64 v10, null, s9, v10, vcc_lo
	v_add_co_u32 v11, vcc_lo, s10, v11
	s_wait_alu 0xfffd
	v_add_co_ci_u32_e64 v12, null, s11, v12, vcc_lo
	global_load_b32 v3, v[9:10], off
	global_load_b32 v5, v[11:12], off
	s_wait_loadcnt 0x1
	v_subrev_nc_u32_e32 v9, s20, v3
	s_wait_loadcnt 0x0
	v_subrev_nc_u32_e32 v3, s20, v5
                                        ; implicit-def: $vgpr5
	s_delay_alu instid0(VALU_DEP_2) | instskip(SKIP_3) | instid1(VALU_DEP_1)
	v_cmp_lt_i32_e32 vcc_lo, v2, v9
	v_lshl_add_u32 v2, s27, 2, v8
	s_wait_alu 0xfffd
	v_cndmask_b32_e32 v4, v4, v6, vcc_lo
	v_cmp_eq_u32_e32 vcc_lo, v3, v4
	s_or_b32 s0, vcc_lo, s0
	s_wait_alu 0xfffe
	s_and_saveexec_b32 s28, s0
	s_delay_alu instid0(SALU_CYCLE_1)
	s_xor_b32 s0, exec_lo, s28
; %bb.55:                               ;   in Loop: Header=BB2_50 Depth=1
	ds_load_b32 v5, v2
                                        ; implicit-def: $vgpr4
; %bb.56:                               ;   in Loop: Header=BB2_50 Depth=1
	s_wait_alu 0xfffe
	s_and_not1_saveexec_b32 s28, s0
	s_cbranch_execz .LBB2_49
; %bb.57:                               ;   in Loop: Header=BB2_50 Depth=1
	s_wait_dscnt 0x0
	v_ashrrev_i32_e32 v5, 31, v4
	v_cmp_le_i32_e64 s0, s19, v3
	s_delay_alu instid0(VALU_DEP_2) | instskip(NEXT) | instid1(VALU_DEP_1)
	v_lshlrev_b64_e32 v[4:5], 2, v[4:5]
	v_add_co_u32 v4, vcc_lo, s14, v4
	s_wait_alu 0xfffd
	s_delay_alu instid0(VALU_DEP_2)
	v_add_co_ci_u32_e64 v5, null, s15, v5, vcc_lo
	v_cmp_gt_i32_e32 vcc_lo, s5, v3
	global_load_b32 v4, v[4:5], off
	ds_load_b32 v5, v2
	s_or_b32 s0, vcc_lo, s0
	s_wait_loadcnt_dscnt 0x0
	v_mul_f32_e32 v6, v5, v4
	s_wait_alu 0xfffe
	s_and_saveexec_b32 s29, s0
	s_delay_alu instid0(SALU_CYCLE_1)
	s_xor_b32 s0, exec_lo, s29
	s_cbranch_execz .LBB2_59
; %bb.58:                               ;   in Loop: Header=BB2_50 Depth=1
	v_ashrrev_i32_e32 v4, 31, v3
	s_delay_alu instid0(VALU_DEP_1) | instskip(NEXT) | instid1(VALU_DEP_1)
	v_lshlrev_b64_e32 v[9:10], 2, v[3:4]
	v_add_co_u32 v9, vcc_lo, s16, v9
	s_wait_alu 0xfffd
	s_delay_alu instid0(VALU_DEP_2)
	v_add_co_ci_u32_e64 v10, null, s17, v10, vcc_lo
	global_atomic_add_f32 v[9:10], v6, off scope:SCOPE_DEV
                                        ; implicit-def: $vgpr6
.LBB2_59:                               ;   in Loop: Header=BB2_50 Depth=1
	s_wait_alu 0xfffe
	s_and_not1_saveexec_b32 s0, s0
	s_cbranch_execz .LBB2_48
; %bb.60:                               ;   in Loop: Header=BB2_50 Depth=1
	v_subrev_nc_u32_e32 v4, s5, v3
	s_delay_alu instid0(VALU_DEP_1)
	v_lshl_add_u32 v4, v4, 2, 0x1000
	ds_add_f32 v4, v6
	s_branch .LBB2_48
.LBB2_61:
	s_or_b32 exec_lo, exec_lo, s13
                                        ; implicit-def: $vgpr9
                                        ; implicit-def: $vgpr1
.LBB2_62:
	s_wait_alu 0xfffe
	s_and_not1_saveexec_b32 s6, s6
	s_cbranch_execz .LBB2_116
; %bb.63:
	s_add_co_i32 s12, s19, -1
	s_add_co_i32 s0, s19, -2
	v_mov_b32_e32 v6, s18
	s_wait_alu 0xfffe
	v_mov_b32_e32 v4, s12
	s_cmp_lg_u32 s18, s0
	s_cselect_b32 s13, -1, 0
	s_cmp_eq_u32 s18, s0
	s_cbranch_scc1 .LBB2_67
; %bb.64:
	v_mov_b32_e32 v6, s18
	v_mov_b32_e32 v4, s12
	s_mov_b32 s22, 0
.LBB2_65:                               ; =>This Inner Loop Header: Depth=1
	s_delay_alu instid0(VALU_DEP_1) | instskip(NEXT) | instid1(VALU_DEP_1)
	v_add_nc_u32_e32 v3, v4, v6
	v_lshrrev_b32_e32 v5, 31, v3
	s_delay_alu instid0(VALU_DEP_1) | instskip(NEXT) | instid1(VALU_DEP_1)
	v_add_nc_u32_e32 v3, v3, v5
	v_ashrrev_i32_e32 v10, 1, v3
	s_delay_alu instid0(VALU_DEP_1) | instskip(NEXT) | instid1(VALU_DEP_1)
	v_ashrrev_i32_e32 v11, 31, v10
	v_lshlrev_b64_e32 v[11:12], 2, v[10:11]
	s_delay_alu instid0(VALU_DEP_1) | instskip(SKIP_1) | instid1(VALU_DEP_2)
	v_add_co_u32 v11, vcc_lo, s8, v11
	s_wait_alu 0xfffd
	v_add_co_ci_u32_e64 v12, null, s9, v12, vcc_lo
	global_load_b32 v3, v[11:12], off
	s_wait_loadcnt 0x0
	v_subrev_nc_u32_e32 v3, s20, v3
	s_delay_alu instid0(VALU_DEP_1) | instskip(SKIP_2) | instid1(VALU_DEP_1)
	v_cmp_lt_i32_e32 vcc_lo, v1, v3
	s_wait_alu 0xfffd
	v_cndmask_b32_e32 v4, v4, v10, vcc_lo
	v_dual_cndmask_b32 v6, v10, v6 :: v_dual_add_nc_u32 v3, -1, v4
	s_delay_alu instid0(VALU_DEP_1) | instskip(NEXT) | instid1(VALU_DEP_2)
	v_cmp_ge_i32_e32 vcc_lo, v6, v4
	v_cmp_eq_u32_e64 s0, v6, v3
	s_or_b32 s0, vcc_lo, s0
	s_wait_alu 0xfffe
	s_and_b32 s0, exec_lo, s0
	s_wait_alu 0xfffe
	s_or_b32 s22, s0, s22
	s_wait_alu 0xfffe
	s_and_not1_b32 exec_lo, exec_lo, s22
	s_cbranch_execnz .LBB2_65
; %bb.66:
	s_or_b32 exec_lo, exec_lo, s22
.LBB2_67:
	v_ashrrev_i32_e32 v5, 31, v4
	v_lshlrev_b64_e32 v[2:3], 2, v[1:2]
	s_mov_b32 s0, exec_lo
	s_delay_alu instid0(VALU_DEP_2) | instskip(NEXT) | instid1(VALU_DEP_1)
	v_lshlrev_b64_e32 v[10:11], 2, v[4:5]
	v_add_co_u32 v10, vcc_lo, s8, v10
	s_wait_alu 0xfffd
	s_delay_alu instid0(VALU_DEP_2)
	v_add_co_ci_u32_e64 v11, null, s9, v11, vcc_lo
	v_add_co_u32 v2, vcc_lo, s10, v2
	s_wait_alu 0xfffd
	v_add_co_ci_u32_e64 v3, null, s11, v3, vcc_lo
	global_load_b32 v5, v[10:11], off
	s_ashr_i32 s11, s19, 31
	s_mov_b32 s10, s19
	global_load_b32 v10, v[2:3], off
	s_wait_alu 0xfffe
	s_lshl_b64 s[10:11], s[10:11], 2
                                        ; implicit-def: $vgpr11
	s_wait_alu 0xfffe
	s_add_nc_u64 s[10:11], s[8:9], s[10:11]
	s_wait_loadcnt 0x1
	v_subrev_nc_u32_e32 v5, s20, v5
	s_delay_alu instid0(VALU_DEP_1) | instskip(SKIP_4) | instid1(VALU_DEP_1)
	v_cmp_lt_i32_e32 vcc_lo, v1, v5
	s_wait_alu 0xfffd
	v_cndmask_b32_e32 v5, v4, v6, vcc_lo
	s_wait_loadcnt 0x0
	v_subrev_nc_u32_e32 v4, s20, v10
	v_cmpx_ne_u32_e64 v4, v5
	s_xor_b32 s22, exec_lo, s0
	s_cbranch_execz .LBB2_74
; %bb.68:
	s_load_b32 s0, s[10:11], 0x0
	ds_load_b32 v11, v8
	s_mov_b32 s24, exec_lo
	s_wait_kmcnt 0x0
	s_sub_co_i32 s0, s0, s20
	s_wait_alu 0xfffe
	v_cmpx_gt_i32_e64 s0, v1
	s_cbranch_execz .LBB2_73
; %bb.69:
	v_ashrrev_i32_e32 v6, 31, v5
	v_cmp_le_i32_e64 s0, s19, v4
	s_delay_alu instid0(VALU_DEP_2) | instskip(NEXT) | instid1(VALU_DEP_1)
	v_lshlrev_b64_e32 v[5:6], 2, v[5:6]
	v_add_co_u32 v5, vcc_lo, s14, v5
	s_wait_alu 0xfffd
	s_delay_alu instid0(VALU_DEP_2)
	v_add_co_ci_u32_e64 v6, null, s15, v6, vcc_lo
	v_cmp_gt_i32_e32 vcc_lo, s5, v4
	global_load_b32 v5, v[5:6], off
	s_or_b32 s0, vcc_lo, s0
	s_wait_loadcnt_dscnt 0x0
	v_mul_f32_e32 v6, v11, v5
	s_wait_alu 0xfffe
	s_and_saveexec_b32 s25, s0
	s_wait_alu 0xfffe
	s_xor_b32 s0, exec_lo, s25
	s_cbranch_execz .LBB2_71
; %bb.70:
	v_ashrrev_i32_e32 v5, 31, v4
	s_delay_alu instid0(VALU_DEP_1) | instskip(NEXT) | instid1(VALU_DEP_1)
	v_lshlrev_b64_e32 v[12:13], 2, v[4:5]
	v_add_co_u32 v12, vcc_lo, s16, v12
	s_wait_alu 0xfffd
	s_delay_alu instid0(VALU_DEP_2)
	v_add_co_ci_u32_e64 v13, null, s17, v13, vcc_lo
	global_atomic_add_f32 v[12:13], v6, off scope:SCOPE_DEV
                                        ; implicit-def: $vgpr6
.LBB2_71:
	s_wait_alu 0xfffe
	s_and_not1_saveexec_b32 s0, s0
; %bb.72:
	v_subrev_nc_u32_e32 v5, s5, v4
	s_delay_alu instid0(VALU_DEP_1)
	v_lshl_add_u32 v5, v5, 2, 0x1000
	ds_add_f32 v5, v6
.LBB2_73:
	s_or_b32 exec_lo, exec_lo, s24
.LBB2_74:
	s_wait_alu 0xfffe
	s_and_not1_saveexec_b32 s0, s22
	s_cbranch_execz .LBB2_76
; %bb.75:
	s_wait_dscnt 0x0
	ds_load_b32 v11, v8
.LBB2_76:
	s_wait_alu 0xfffe
	s_or_b32 exec_lo, exec_lo, s0
	v_ashrrev_i32_e32 v5, 31, v4
	v_cndmask_b32_e64 v10, 0, 1, s13
	s_delay_alu instid0(VALU_DEP_2) | instskip(NEXT) | instid1(VALU_DEP_1)
	v_lshlrev_b64_e32 v[4:5], 2, v[4:5]
	v_add_co_u32 v4, vcc_lo, s14, v4
	s_wait_alu 0xfffd
	s_delay_alu instid0(VALU_DEP_2)
	v_add_co_ci_u32_e64 v5, null, s15, v5, vcc_lo
	s_and_not1_b32 vcc_lo, exec_lo, s13
	global_load_b32 v4, v[4:5], off
	s_wait_loadcnt_dscnt 0x0
	v_dual_mul_f32 v5, v4, v11 :: v_dual_add_nc_u32 v6, 0x100, v1
	v_dual_mov_b32 v11, s18 :: v_dual_mov_b32 v4, s12
	ds_store_b32 v8, v5
	s_wait_alu 0xfffe
	s_cbranch_vccnz .LBB2_80
; %bb.77:
	v_dual_mov_b32 v11, s18 :: v_dual_mov_b32 v4, s12
	s_mov_b32 s13, 0
.LBB2_78:                               ; =>This Inner Loop Header: Depth=1
	s_delay_alu instid0(VALU_DEP_1) | instskip(NEXT) | instid1(VALU_DEP_1)
	v_add_nc_u32_e32 v5, v4, v11
	v_lshrrev_b32_e32 v12, 31, v5
	s_delay_alu instid0(VALU_DEP_1) | instskip(NEXT) | instid1(VALU_DEP_1)
	v_add_nc_u32_e32 v5, v5, v12
	v_ashrrev_i32_e32 v12, 1, v5
	s_delay_alu instid0(VALU_DEP_1) | instskip(NEXT) | instid1(VALU_DEP_1)
	v_ashrrev_i32_e32 v13, 31, v12
	v_lshlrev_b64_e32 v[13:14], 2, v[12:13]
	s_delay_alu instid0(VALU_DEP_1) | instskip(SKIP_1) | instid1(VALU_DEP_2)
	v_add_co_u32 v13, vcc_lo, s8, v13
	s_wait_alu 0xfffd
	v_add_co_ci_u32_e64 v14, null, s9, v14, vcc_lo
	global_load_b32 v5, v[13:14], off
	s_wait_loadcnt 0x0
	v_subrev_nc_u32_e32 v5, s20, v5
	s_delay_alu instid0(VALU_DEP_1) | instskip(SKIP_3) | instid1(VALU_DEP_2)
	v_cmp_lt_i32_e32 vcc_lo, v6, v5
	s_wait_alu 0xfffd
	v_cndmask_b32_e32 v4, v4, v12, vcc_lo
	v_cndmask_b32_e32 v11, v12, v11, vcc_lo
	v_add_nc_u32_e32 v5, -1, v4
	s_delay_alu instid0(VALU_DEP_2) | instskip(NEXT) | instid1(VALU_DEP_2)
	v_cmp_ge_i32_e32 vcc_lo, v11, v4
	v_cmp_eq_u32_e64 s0, v11, v5
	s_or_b32 s0, vcc_lo, s0
	s_wait_alu 0xfffe
	s_and_b32 s0, exec_lo, s0
	s_wait_alu 0xfffe
	s_or_b32 s13, s0, s13
	s_wait_alu 0xfffe
	s_and_not1_b32 exec_lo, exec_lo, s13
	s_cbranch_execnz .LBB2_78
; %bb.79:
	s_or_b32 exec_lo, exec_lo, s13
.LBB2_80:
	v_ashrrev_i32_e32 v5, 31, v4
	s_mov_b32 s0, exec_lo
	s_delay_alu instid0(VALU_DEP_1) | instskip(NEXT) | instid1(VALU_DEP_1)
	v_lshlrev_b64_e32 v[12:13], 2, v[4:5]
	v_add_co_u32 v12, vcc_lo, s8, v12
	s_wait_alu 0xfffd
	s_delay_alu instid0(VALU_DEP_2) | instskip(SKIP_4) | instid1(VALU_DEP_1)
	v_add_co_ci_u32_e64 v13, null, s9, v13, vcc_lo
	global_load_b32 v5, v[12:13], off
	global_load_b32 v12, v[2:3], off offset:1024
	s_wait_loadcnt 0x1
	v_subrev_nc_u32_e32 v5, s20, v5
	v_cmp_lt_i32_e32 vcc_lo, v6, v5
	s_wait_alu 0xfffd
	v_cndmask_b32_e32 v5, v4, v11, vcc_lo
	s_wait_loadcnt 0x0
	v_subrev_nc_u32_e32 v4, s20, v12
                                        ; implicit-def: $vgpr11
	s_delay_alu instid0(VALU_DEP_1)
	v_cmpx_ne_u32_e64 v4, v5
	s_wait_alu 0xfffe
	s_xor_b32 s13, exec_lo, s0
	s_cbranch_execz .LBB2_87
; %bb.81:
	s_load_b32 s0, s[10:11], 0x0
	ds_load_b32 v11, v8 offset:1024
	s_mov_b32 s22, exec_lo
	s_wait_kmcnt 0x0
	s_sub_co_i32 s0, s0, s20
	s_wait_alu 0xfffe
	v_cmpx_gt_i32_e64 s0, v6
	s_cbranch_execz .LBB2_86
; %bb.82:
	v_ashrrev_i32_e32 v6, 31, v5
	v_cmp_le_i32_e64 s0, s19, v4
	s_delay_alu instid0(VALU_DEP_2) | instskip(NEXT) | instid1(VALU_DEP_1)
	v_lshlrev_b64_e32 v[5:6], 2, v[5:6]
	v_add_co_u32 v5, vcc_lo, s14, v5
	s_wait_alu 0xfffd
	s_delay_alu instid0(VALU_DEP_2)
	v_add_co_ci_u32_e64 v6, null, s15, v6, vcc_lo
	v_cmp_gt_i32_e32 vcc_lo, s5, v4
	global_load_b32 v5, v[5:6], off
	s_or_b32 s0, vcc_lo, s0
	s_wait_loadcnt_dscnt 0x0
	v_mul_f32_e32 v6, v11, v5
	s_wait_alu 0xfffe
	s_and_saveexec_b32 s24, s0
	s_wait_alu 0xfffe
	s_xor_b32 s0, exec_lo, s24
	s_cbranch_execz .LBB2_84
; %bb.83:
	v_ashrrev_i32_e32 v5, 31, v4
	s_delay_alu instid0(VALU_DEP_1) | instskip(NEXT) | instid1(VALU_DEP_1)
	v_lshlrev_b64_e32 v[12:13], 2, v[4:5]
	v_add_co_u32 v12, vcc_lo, s16, v12
	s_wait_alu 0xfffd
	s_delay_alu instid0(VALU_DEP_2)
	v_add_co_ci_u32_e64 v13, null, s17, v13, vcc_lo
	global_atomic_add_f32 v[12:13], v6, off scope:SCOPE_DEV
                                        ; implicit-def: $vgpr6
.LBB2_84:
	s_wait_alu 0xfffe
	s_and_not1_saveexec_b32 s0, s0
; %bb.85:
	v_subrev_nc_u32_e32 v5, s5, v4
	s_delay_alu instid0(VALU_DEP_1)
	v_lshl_add_u32 v5, v5, 2, 0x1000
	ds_add_f32 v5, v6
.LBB2_86:
	s_or_b32 exec_lo, exec_lo, s22
.LBB2_87:
	s_wait_alu 0xfffe
	s_and_not1_saveexec_b32 s0, s13
	s_cbranch_execz .LBB2_89
; %bb.88:
	s_wait_dscnt 0x0
	ds_load_b32 v11, v8 offset:1024
.LBB2_89:
	s_wait_alu 0xfffe
	s_or_b32 exec_lo, exec_lo, s0
	v_ashrrev_i32_e32 v5, 31, v4
	v_dual_mov_b32 v6, s18 :: v_dual_add_nc_u32 v1, 0x200, v1
	s_delay_alu instid0(VALU_DEP_2) | instskip(NEXT) | instid1(VALU_DEP_1)
	v_lshlrev_b64_e32 v[4:5], 2, v[4:5]
	v_add_co_u32 v4, vcc_lo, s14, v4
	s_wait_alu 0xfffd
	s_delay_alu instid0(VALU_DEP_2)
	v_add_co_ci_u32_e64 v5, null, s15, v5, vcc_lo
	v_cmp_ne_u32_e32 vcc_lo, 1, v10
	global_load_b32 v4, v[4:5], off
	s_wait_loadcnt_dscnt 0x0
	v_dual_mul_f32 v5, v4, v11 :: v_dual_mov_b32 v4, s12
	ds_store_b32 v8, v5 offset:1024
	s_cbranch_vccnz .LBB2_93
; %bb.90:
	v_mov_b32_e32 v6, s18
	v_mov_b32_e32 v4, s12
	s_mov_b32 s13, 0
.LBB2_91:                               ; =>This Inner Loop Header: Depth=1
	s_delay_alu instid0(VALU_DEP_1) | instskip(NEXT) | instid1(VALU_DEP_1)
	v_add_nc_u32_e32 v5, v4, v6
	v_lshrrev_b32_e32 v11, 31, v5
	s_delay_alu instid0(VALU_DEP_1) | instskip(NEXT) | instid1(VALU_DEP_1)
	v_add_nc_u32_e32 v5, v5, v11
	v_ashrrev_i32_e32 v11, 1, v5
	s_delay_alu instid0(VALU_DEP_1) | instskip(NEXT) | instid1(VALU_DEP_1)
	v_ashrrev_i32_e32 v12, 31, v11
	v_lshlrev_b64_e32 v[12:13], 2, v[11:12]
	s_delay_alu instid0(VALU_DEP_1) | instskip(SKIP_1) | instid1(VALU_DEP_2)
	v_add_co_u32 v12, vcc_lo, s8, v12
	s_wait_alu 0xfffd
	v_add_co_ci_u32_e64 v13, null, s9, v13, vcc_lo
	global_load_b32 v5, v[12:13], off
	s_wait_loadcnt 0x0
	v_subrev_nc_u32_e32 v5, s20, v5
	s_delay_alu instid0(VALU_DEP_1) | instskip(SKIP_2) | instid1(VALU_DEP_1)
	v_cmp_lt_i32_e32 vcc_lo, v1, v5
	s_wait_alu 0xfffd
	v_cndmask_b32_e32 v4, v4, v11, vcc_lo
	v_dual_cndmask_b32 v6, v11, v6 :: v_dual_add_nc_u32 v5, -1, v4
	s_delay_alu instid0(VALU_DEP_1) | instskip(NEXT) | instid1(VALU_DEP_2)
	v_cmp_ge_i32_e32 vcc_lo, v6, v4
	v_cmp_eq_u32_e64 s0, v6, v5
	s_or_b32 s0, vcc_lo, s0
	s_wait_alu 0xfffe
	s_and_b32 s0, exec_lo, s0
	s_wait_alu 0xfffe
	s_or_b32 s13, s0, s13
	s_wait_alu 0xfffe
	s_and_not1_b32 exec_lo, exec_lo, s13
	s_cbranch_execnz .LBB2_91
; %bb.92:
	s_or_b32 exec_lo, exec_lo, s13
.LBB2_93:
	v_ashrrev_i32_e32 v5, 31, v4
	s_mov_b32 s0, exec_lo
	s_delay_alu instid0(VALU_DEP_1) | instskip(NEXT) | instid1(VALU_DEP_1)
	v_lshlrev_b64_e32 v[11:12], 2, v[4:5]
	v_add_co_u32 v11, vcc_lo, s8, v11
	s_wait_alu 0xfffd
	s_delay_alu instid0(VALU_DEP_2) | instskip(SKIP_4) | instid1(VALU_DEP_1)
	v_add_co_ci_u32_e64 v12, null, s9, v12, vcc_lo
	global_load_b32 v5, v[11:12], off
	global_load_b32 v11, v[2:3], off offset:2048
	s_wait_loadcnt 0x1
	v_subrev_nc_u32_e32 v5, s20, v5
	v_cmp_lt_i32_e32 vcc_lo, v1, v5
	s_wait_alu 0xfffd
	v_cndmask_b32_e32 v5, v4, v6, vcc_lo
	s_wait_loadcnt 0x0
	v_subrev_nc_u32_e32 v4, s20, v11
                                        ; implicit-def: $vgpr11
	s_delay_alu instid0(VALU_DEP_1)
	v_cmpx_ne_u32_e64 v4, v5
	s_wait_alu 0xfffe
	s_xor_b32 s13, exec_lo, s0
	s_cbranch_execz .LBB2_100
; %bb.94:
	s_load_b32 s0, s[10:11], 0x0
	ds_load_b32 v11, v8 offset:2048
	s_mov_b32 s22, exec_lo
	s_wait_kmcnt 0x0
	s_sub_co_i32 s0, s0, s20
	s_wait_alu 0xfffe
	v_cmpx_gt_i32_e64 s0, v1
	s_cbranch_execz .LBB2_99
; %bb.95:
	v_ashrrev_i32_e32 v6, 31, v5
	v_cmp_le_i32_e64 s0, s19, v4
	s_delay_alu instid0(VALU_DEP_2) | instskip(NEXT) | instid1(VALU_DEP_1)
	v_lshlrev_b64_e32 v[5:6], 2, v[5:6]
	v_add_co_u32 v5, vcc_lo, s14, v5
	s_wait_alu 0xfffd
	s_delay_alu instid0(VALU_DEP_2)
	v_add_co_ci_u32_e64 v6, null, s15, v6, vcc_lo
	v_cmp_gt_i32_e32 vcc_lo, s5, v4
	global_load_b32 v1, v[5:6], off
	s_or_b32 s0, vcc_lo, s0
	s_wait_loadcnt_dscnt 0x0
	v_mul_f32_e32 v1, v11, v1
	s_wait_alu 0xfffe
	s_and_saveexec_b32 s24, s0
	s_wait_alu 0xfffe
	s_xor_b32 s0, exec_lo, s24
	s_cbranch_execz .LBB2_97
; %bb.96:
	v_ashrrev_i32_e32 v5, 31, v4
	s_delay_alu instid0(VALU_DEP_1) | instskip(NEXT) | instid1(VALU_DEP_1)
	v_lshlrev_b64_e32 v[5:6], 2, v[4:5]
	v_add_co_u32 v5, vcc_lo, s16, v5
	s_wait_alu 0xfffd
	s_delay_alu instid0(VALU_DEP_2)
	v_add_co_ci_u32_e64 v6, null, s17, v6, vcc_lo
	global_atomic_add_f32 v[5:6], v1, off scope:SCOPE_DEV
                                        ; implicit-def: $vgpr1
.LBB2_97:
	s_wait_alu 0xfffe
	s_and_not1_saveexec_b32 s0, s0
; %bb.98:
	v_subrev_nc_u32_e32 v5, s5, v4
	s_delay_alu instid0(VALU_DEP_1)
	v_lshl_add_u32 v5, v5, 2, 0x1000
	ds_add_f32 v5, v1
.LBB2_99:
	s_or_b32 exec_lo, exec_lo, s22
.LBB2_100:
	s_wait_alu 0xfffe
	s_and_not1_saveexec_b32 s0, s13
	s_cbranch_execz .LBB2_102
; %bb.101:
	s_wait_dscnt 0x0
	ds_load_b32 v11, v8 offset:2048
.LBB2_102:
	s_wait_alu 0xfffe
	s_or_b32 exec_lo, exec_lo, s0
	v_ashrrev_i32_e32 v5, 31, v4
	s_delay_alu instid0(VALU_DEP_1) | instskip(NEXT) | instid1(VALU_DEP_1)
	v_lshlrev_b64_e32 v[4:5], 2, v[4:5]
	v_add_co_u32 v4, vcc_lo, s14, v4
	s_wait_alu 0xfffd
	s_delay_alu instid0(VALU_DEP_2)
	v_add_co_ci_u32_e64 v5, null, s15, v5, vcc_lo
	v_cmp_ne_u32_e32 vcc_lo, 1, v10
	global_load_b32 v1, v[4:5], off
	v_mov_b32_e32 v4, s12
	s_and_b32 vcc_lo, exec_lo, vcc_lo
	s_wait_loadcnt_dscnt 0x0
	v_mul_f32_e32 v5, v1, v11
	v_mov_b32_e32 v1, s18
	ds_store_b32 v8, v5 offset:2048
	s_wait_alu 0xfffe
	s_cbranch_vccnz .LBB2_106
; %bb.103:
	v_dual_mov_b32 v1, s18 :: v_dual_mov_b32 v4, s12
	s_mov_b32 s12, 0
.LBB2_104:                              ; =>This Inner Loop Header: Depth=1
	s_delay_alu instid0(VALU_DEP_1) | instskip(NEXT) | instid1(VALU_DEP_1)
	v_add_nc_u32_e32 v5, v4, v1
	v_lshrrev_b32_e32 v6, 31, v5
	s_delay_alu instid0(VALU_DEP_1) | instskip(NEXT) | instid1(VALU_DEP_1)
	v_add_nc_u32_e32 v5, v5, v6
	v_ashrrev_i32_e32 v5, 1, v5
	s_delay_alu instid0(VALU_DEP_1) | instskip(NEXT) | instid1(VALU_DEP_1)
	v_ashrrev_i32_e32 v6, 31, v5
	v_lshlrev_b64_e32 v[10:11], 2, v[5:6]
	s_delay_alu instid0(VALU_DEP_1) | instskip(SKIP_1) | instid1(VALU_DEP_2)
	v_add_co_u32 v10, vcc_lo, s8, v10
	s_wait_alu 0xfffd
	v_add_co_ci_u32_e64 v11, null, s9, v11, vcc_lo
	global_load_b32 v6, v[10:11], off
	s_wait_loadcnt 0x0
	v_subrev_nc_u32_e32 v6, s20, v6
	s_delay_alu instid0(VALU_DEP_1) | instskip(SKIP_3) | instid1(VALU_DEP_2)
	v_cmp_lt_i32_e32 vcc_lo, v9, v6
	s_wait_alu 0xfffd
	v_cndmask_b32_e32 v4, v4, v5, vcc_lo
	v_cndmask_b32_e32 v1, v5, v1, vcc_lo
	v_add_nc_u32_e32 v5, -1, v4
	s_delay_alu instid0(VALU_DEP_2) | instskip(NEXT) | instid1(VALU_DEP_2)
	v_cmp_ge_i32_e32 vcc_lo, v1, v4
	v_cmp_eq_u32_e64 s0, v1, v5
	s_or_b32 s0, vcc_lo, s0
	s_wait_alu 0xfffe
	s_and_b32 s0, exec_lo, s0
	s_wait_alu 0xfffe
	s_or_b32 s12, s0, s12
	s_wait_alu 0xfffe
	s_and_not1_b32 exec_lo, exec_lo, s12
	s_cbranch_execnz .LBB2_104
; %bb.105:
	s_or_b32 exec_lo, exec_lo, s12
.LBB2_106:
	v_ashrrev_i32_e32 v5, 31, v4
	s_mov_b32 s0, exec_lo
	s_delay_alu instid0(VALU_DEP_1) | instskip(NEXT) | instid1(VALU_DEP_1)
	v_lshlrev_b64_e32 v[5:6], 2, v[4:5]
	v_add_co_u32 v5, vcc_lo, s8, v5
	s_wait_alu 0xfffd
	s_delay_alu instid0(VALU_DEP_2) | instskip(SKIP_4) | instid1(VALU_DEP_1)
	v_add_co_ci_u32_e64 v6, null, s9, v6, vcc_lo
	global_load_b32 v5, v[5:6], off
	global_load_b32 v3, v[2:3], off offset:3072
	s_wait_loadcnt 0x1
	v_subrev_nc_u32_e32 v2, s20, v5
	v_cmp_lt_i32_e32 vcc_lo, v9, v2
	s_wait_alu 0xfffd
	v_cndmask_b32_e32 v2, v4, v1, vcc_lo
	s_wait_loadcnt 0x0
	v_subrev_nc_u32_e32 v1, s20, v3
                                        ; implicit-def: $vgpr4
	s_delay_alu instid0(VALU_DEP_1)
	v_cmpx_ne_u32_e64 v1, v2
	s_wait_alu 0xfffe
	s_xor_b32 s12, exec_lo, s0
	s_cbranch_execz .LBB2_113
; %bb.107:
	s_load_b32 s0, s[10:11], 0x0
	ds_load_b32 v4, v8 offset:3072
	s_mov_b32 s10, exec_lo
	s_wait_kmcnt 0x0
	s_sub_co_i32 s0, s0, s20
	s_wait_alu 0xfffe
	v_cmpx_gt_i32_e64 s0, v9
	s_cbranch_execz .LBB2_112
; %bb.108:
	v_ashrrev_i32_e32 v3, 31, v2
	v_cmp_le_i32_e64 s0, s19, v1
	s_delay_alu instid0(VALU_DEP_2) | instskip(NEXT) | instid1(VALU_DEP_1)
	v_lshlrev_b64_e32 v[2:3], 2, v[2:3]
	v_add_co_u32 v2, vcc_lo, s14, v2
	s_wait_alu 0xfffd
	s_delay_alu instid0(VALU_DEP_2)
	v_add_co_ci_u32_e64 v3, null, s15, v3, vcc_lo
	v_cmp_gt_i32_e32 vcc_lo, s5, v1
	global_load_b32 v2, v[2:3], off
	s_or_b32 s0, vcc_lo, s0
	s_wait_loadcnt_dscnt 0x0
	v_mul_f32_e32 v3, v4, v2
	s_wait_alu 0xfffe
	s_and_saveexec_b32 s11, s0
	s_wait_alu 0xfffe
	s_xor_b32 s0, exec_lo, s11
	s_cbranch_execz .LBB2_110
; %bb.109:
	v_ashrrev_i32_e32 v2, 31, v1
	s_delay_alu instid0(VALU_DEP_1) | instskip(NEXT) | instid1(VALU_DEP_1)
	v_lshlrev_b64_e32 v[5:6], 2, v[1:2]
	v_add_co_u32 v5, vcc_lo, s16, v5
	s_wait_alu 0xfffd
	s_delay_alu instid0(VALU_DEP_2)
	v_add_co_ci_u32_e64 v6, null, s17, v6, vcc_lo
	global_atomic_add_f32 v[5:6], v3, off scope:SCOPE_DEV
                                        ; implicit-def: $vgpr3
.LBB2_110:
	s_wait_alu 0xfffe
	s_and_not1_saveexec_b32 s0, s0
; %bb.111:
	v_subrev_nc_u32_e32 v2, s5, v1
	s_delay_alu instid0(VALU_DEP_1)
	v_lshl_add_u32 v2, v2, 2, 0x1000
	ds_add_f32 v2, v3
.LBB2_112:
	s_or_b32 exec_lo, exec_lo, s10
.LBB2_113:
	s_wait_alu 0xfffe
	s_and_not1_saveexec_b32 s0, s12
	s_cbranch_execz .LBB2_115
; %bb.114:
	s_wait_dscnt 0x0
	ds_load_b32 v4, v8 offset:3072
.LBB2_115:
	s_wait_alu 0xfffe
	s_or_b32 exec_lo, exec_lo, s0
	v_ashrrev_i32_e32 v2, 31, v1
	s_delay_alu instid0(VALU_DEP_1) | instskip(NEXT) | instid1(VALU_DEP_1)
	v_lshlrev_b64_e32 v[1:2], 2, v[1:2]
	v_add_co_u32 v1, vcc_lo, s14, v1
	s_wait_alu 0xfffd
	s_delay_alu instid0(VALU_DEP_2)
	v_add_co_ci_u32_e64 v2, null, s15, v2, vcc_lo
	global_load_b32 v1, v[1:2], off
	s_wait_loadcnt_dscnt 0x0
	v_mul_f32_e32 v1, v1, v4
	ds_store_b32 v8, v1 offset:3072
.LBB2_116:
	s_wait_alu 0xfffe
	s_or_b32 exec_lo, exec_lo, s6
	s_min_i32 s6, s19, s7
	s_mov_b32 s7, exec_lo
	s_wait_alu 0xfffe
	s_sub_co_i32 s0, s6, s21
	s_wait_storecnt 0x0
	s_wait_loadcnt_dscnt 0x0
	s_barrier_signal -1
	s_barrier_wait -1
	global_inv scope:SCOPE_SE
	s_wait_alu 0xfffe
	v_cmpx_gt_i32_e64 s0, v0
	s_cbranch_execz .LBB2_119
; %bb.117:
	v_mov_b32_e32 v1, v0
	s_mov_b32 s10, 0
.LBB2_118:                              ; =>This Inner Loop Header: Depth=1
	s_delay_alu instid0(VALU_DEP_1) | instskip(SKIP_4) | instid1(VALU_DEP_1)
	v_add_nc_u32_e32 v2, s5, v1
	ds_load_b32 v4, v7
	v_add_nc_u32_e32 v1, 0x100, v1
	v_add_nc_u32_e32 v7, 0x400, v7
	v_ashrrev_i32_e32 v3, 31, v2
	v_lshlrev_b64_e32 v[2:3], 2, v[2:3]
	s_delay_alu instid0(VALU_DEP_1) | instskip(SKIP_1) | instid1(VALU_DEP_2)
	v_add_co_u32 v2, vcc_lo, s16, v2
	s_wait_alu 0xfffd
	v_add_co_ci_u32_e64 v3, null, s17, v3, vcc_lo
	v_cmp_le_i32_e32 vcc_lo, s0, v1
	s_wait_dscnt 0x0
	global_atomic_add_f32 v[2:3], v4, off scope:SCOPE_DEV
	s_wait_alu 0xfffe
	s_or_b32 s10, vcc_lo, s10
	s_wait_alu 0xfffe
	s_and_not1_b32 exec_lo, exec_lo, s10
	s_cbranch_execnz .LBB2_118
.LBB2_119:
	s_or_b32 exec_lo, exec_lo, s7
	s_mul_i32 s5, s1, s21
	s_add_co_i32 s7, s1, 1
	s_wait_alu 0xfffe
	s_sub_co_i32 s5, s4, s5
	v_add_nc_u32_e32 v1, s18, v0
	s_wait_alu 0xfffe
	s_sub_co_i32 s10, s5, s21
	s_cmp_ge_u32 s5, s21
	s_wait_loadcnt 0x0
	s_wait_storecnt 0x0
	s_cselect_b32 s1, s7, s1
	s_wait_alu 0xfffe
	s_cselect_b32 s5, s10, s5
	s_add_co_i32 s7, s1, 1
	s_wait_alu 0xfffe
	s_cmp_ge_u32 s5, s21
	s_barrier_signal -1
	s_cselect_b32 s1, s7, s1
	s_barrier_wait -1
	s_wait_alu 0xfffe
	s_add_co_i32 s1, s1, -1
	global_inv scope:SCOPE_SE
	s_wait_alu 0xfffe
	s_ashr_i32 s5, s1, 1
	s_wait_alu 0xfffe
	s_or_b32 s1, s5, s1
	s_wait_alu 0xfffe
	s_ashr_i32 s5, s1, 2
	s_wait_alu 0xfffe
	s_or_b32 s1, s5, s1
	;; [unrolled: 4-line block ×5, first 2 shown]
	s_mov_b32 s5, -1
	s_wait_alu 0xfffe
	s_add_co_i32 s1, s1, 1
	s_wait_alu 0xfffe
	s_ashr_i32 s1, s1, 1
	s_wait_alu 0xfffe
	s_cmp_gt_i32 s1, 1
	s_cbranch_scc1 .LBB2_128
; %bb.120:
	s_mov_b32 s5, exec_lo
	v_cmpx_gt_i32_e64 s19, v1
	s_cbranch_execz .LBB2_127
; %bb.121:
	s_sub_co_i32 s6, s6, s19
	v_mov_b32_e32 v2, v1
	s_lshl_b32 s10, s23, 2
	s_wait_alu 0xfffe
	s_lshl_b32 s6, s6, 2
	s_mov_b32 s7, 0
	s_wait_alu 0xfffe
	s_addk_co_i32 s6, 0x1000
	s_sub_co_i32 s10, 0, s10
	s_branch .LBB2_123
.LBB2_122:                              ;   in Loop: Header=BB2_123 Depth=1
	s_wait_alu 0xfffe
	s_or_b32 exec_lo, exec_lo, s11
	v_lshl_add_u32 v5, v2, 2, s6
	v_add_co_u32 v3, vcc_lo, s16, v3
	s_wait_alu 0xfffd
	v_add_co_ci_u32_e64 v4, null, s17, v4, vcc_lo
	ds_load_b32 v5, v5
	v_add_nc_u32_e32 v2, s4, v2
	s_delay_alu instid0(VALU_DEP_1)
	v_cmp_le_i32_e32 vcc_lo, s19, v2
	s_or_b32 s7, vcc_lo, s7
	s_wait_dscnt 0x0
	v_add_f32_e32 v5, v7, v5
	global_atomic_add_f32 v[3:4], v5, off scope:SCOPE_DEV
	s_wait_alu 0xfffe
	s_and_not1_b32 exec_lo, exec_lo, s7
	s_cbranch_execz .LBB2_127
.LBB2_123:                              ; =>This Loop Header: Depth=1
                                        ;     Child Loop BB2_125 Depth 2
	v_ashrrev_i32_e32 v3, 31, v2
	v_mov_b32_e32 v7, 0
	s_mov_b32 s11, exec_lo
	s_delay_alu instid0(VALU_DEP_2) | instskip(NEXT) | instid1(VALU_DEP_1)
	v_lshlrev_b64_e32 v[3:4], 2, v[2:3]
	v_add_co_u32 v5, vcc_lo, s8, v3
	s_wait_alu 0xfffd
	s_delay_alu instid0(VALU_DEP_2)
	v_add_co_ci_u32_e64 v6, null, s9, v4, vcc_lo
	global_load_b64 v[5:6], v[5:6], off
	s_wait_loadcnt 0x0
	v_cmpx_lt_i32_e64 v5, v6
	s_cbranch_execz .LBB2_122
; %bb.124:                              ;   in Loop: Header=BB2_123 Depth=1
	v_subrev_nc_u32_e32 v6, s23, v6
	v_subrev_nc_u32_e32 v9, s23, v5
	s_wait_alu 0xfffe
	v_lshl_add_u32 v5, v5, 2, s10
	v_mov_b32_e32 v7, 0
	s_mov_b32 s12, 0
.LBB2_125:                              ;   Parent Loop BB2_123 Depth=1
                                        ; =>  This Inner Loop Header: Depth=2
	ds_load_b32 v10, v5
	v_add_nc_u32_e32 v9, 1, v9
	v_add_nc_u32_e32 v5, 4, v5
	s_delay_alu instid0(VALU_DEP_2)
	v_cmp_ge_i32_e32 vcc_lo, v9, v6
	s_wait_alu 0xfffe
	s_or_b32 s12, vcc_lo, s12
	s_wait_dscnt 0x0
	v_add_f32_e32 v7, v7, v10
	s_wait_alu 0xfffe
	s_and_not1_b32 exec_lo, exec_lo, s12
	s_cbranch_execnz .LBB2_125
; %bb.126:                              ;   in Loop: Header=BB2_123 Depth=1
	s_or_b32 exec_lo, exec_lo, s12
	s_branch .LBB2_122
.LBB2_127:
	s_wait_alu 0xfffe
	s_or_b32 exec_lo, exec_lo, s5
	s_mov_b32 s5, 0
.LBB2_128:
	s_wait_alu 0xfffe
	s_and_not1_b32 vcc_lo, exec_lo, s5
	s_wait_alu 0xfffe
	s_cbranch_vccnz .LBB2_141
; %bb.129:
	s_cvt_f32_u32 s4, s1
	s_sub_co_i32 s5, 0, s1
	s_wait_alu 0xfffe
	s_delay_alu instid0(SALU_CYCLE_1) | instskip(NEXT) | instid1(TRANS32_DEP_1)
	v_rcp_iflag_f32_e32 v2, s4
	v_readfirstlane_b32 s4, v2
	s_mul_f32 s4, s4, 0x4f7ffffe
	s_wait_alu 0xfffe
	s_delay_alu instid0(SALU_CYCLE_2) | instskip(SKIP_1) | instid1(SALU_CYCLE_2)
	s_cvt_u32_f32 s4, s4
	s_wait_alu 0xfffe
	s_mul_i32 s5, s5, s4
	s_wait_alu 0xfffe
	s_mul_hi_u32 s5, s4, s5
	s_wait_alu 0xfffe
	s_add_co_i32 s4, s4, s5
	s_wait_alu 0xfffe
	v_mul_hi_u32 v2, v0, s4
	s_delay_alu instid0(VALU_DEP_1) | instskip(NEXT) | instid1(VALU_DEP_1)
	v_mul_lo_u32 v3, v2, s1
	v_sub_nc_u32_e32 v3, v0, v3
	s_delay_alu instid0(VALU_DEP_1) | instskip(SKIP_2) | instid1(VALU_DEP_2)
	v_subrev_nc_u32_e32 v5, s1, v3
	v_cmp_le_u32_e32 vcc_lo, s1, v3
	s_wait_alu 0xfffd
	v_dual_cndmask_b32 v3, v3, v5 :: v_dual_add_nc_u32 v4, 1, v2
	s_delay_alu instid0(VALU_DEP_1) | instskip(NEXT) | instid1(VALU_DEP_2)
	v_cndmask_b32_e32 v2, v2, v4, vcc_lo
	v_cmp_le_u32_e32 vcc_lo, s1, v3
	s_delay_alu instid0(VALU_DEP_2) | instskip(SKIP_1) | instid1(VALU_DEP_1)
	v_add_nc_u32_e32 v4, 1, v2
	s_wait_alu 0xfffd
	v_cndmask_b32_e32 v4, v2, v4, vcc_lo
	s_delay_alu instid0(VALU_DEP_1)
	v_lshlrev_b32_e32 v2, 2, v4
	global_load_b64 v[2:3], v2, s[2:3]
	s_abs_i32 s3, s1
	s_wait_alu 0xfffe
	s_cvt_f32_u32 s2, s3
	s_wait_alu 0xfffe
	s_delay_alu instid0(SALU_CYCLE_2) | instskip(SKIP_1) | instid1(TRANS32_DEP_1)
	v_rcp_iflag_f32_e32 v5, s2
	s_mov_b32 s2, exec_lo
	v_readfirstlane_b32 s4, v5
	v_mov_b32_e32 v5, 0
	v_cmpx_gt_i32_e64 s21, v4
	s_cbranch_execz .LBB2_137
; %bb.130:
	s_wait_loadcnt 0x0
	v_subrev_nc_u32_e32 v2, s23, v2
	v_subrev_nc_u32_e32 v4, s23, v3
	s_mul_f32 s4, s4, 0x4f7ffffe
	s_sub_co_i32 s5, 0, s3
	s_wait_alu 0xfffe
	s_delay_alu instid0(SALU_CYCLE_1) | instskip(SKIP_2) | instid1(SALU_CYCLE_1)
	s_cvt_u32_f32 s4, s4
	v_sub_nc_u32_e32 v3, v4, v2
	s_wait_alu 0xfffe
	s_mul_i32 s5, s5, s4
	s_delay_alu instid0(VALU_DEP_1)
	v_sub_nc_u32_e32 v5, 0, v3
	s_wait_alu 0xfffe
	s_mul_hi_u32 s5, s4, s5
	s_wait_alu 0xfffe
	s_add_co_i32 s4, s4, s5
	v_max_i32_e32 v7, v3, v5
	v_ashrrev_i32_e32 v3, 31, v3
	s_wait_alu 0xfffe
	s_delay_alu instid0(VALU_DEP_2) | instskip(SKIP_4) | instid1(VALU_DEP_1)
	v_mad_co_u64_u32 v[5:6], null, v7, s4, 0
	s_ashr_i32 s4, s1, 31
	s_wait_alu 0xfffe
	v_xor_b32_e32 v3, s4, v3
	v_mul_lo_u32 v5, v6, s3
	v_sub_nc_u32_e32 v5, v7, v5
	v_add_nc_u32_e32 v7, 1, v6
	s_delay_alu instid0(VALU_DEP_2) | instskip(SKIP_2) | instid1(VALU_DEP_2)
	v_subrev_nc_u32_e32 v9, s3, v5
	v_cmp_le_u32_e32 vcc_lo, s3, v5
	s_wait_alu 0xfffd
	v_dual_cndmask_b32 v6, v6, v7 :: v_dual_cndmask_b32 v5, v5, v9
	s_delay_alu instid0(VALU_DEP_1) | instskip(NEXT) | instid1(VALU_DEP_2)
	v_add_nc_u32_e32 v7, 1, v6
	v_cmp_le_u32_e32 vcc_lo, s3, v5
	s_add_co_i32 s3, s1, -1
	s_wait_alu 0xfffd
	s_delay_alu instid0(VALU_DEP_2) | instskip(SKIP_3) | instid1(VALU_DEP_2)
	v_cndmask_b32_e32 v5, v6, v7, vcc_lo
	s_wait_alu 0xfffe
	v_and_b32_e32 v7, s3, v0
	s_mov_b32 s3, exec_lo
	v_xor_b32_e32 v5, v5, v3
	s_delay_alu instid0(VALU_DEP_2) | instskip(NEXT) | instid1(VALU_DEP_2)
	v_lshlrev_b32_e32 v6, 2, v7
	v_sub_nc_u32_e32 v3, v5, v3
	v_mov_b32_e32 v5, 0
	s_delay_alu instid0(VALU_DEP_2)
	v_cmpx_lt_i32_e32 0, v3
	s_cbranch_execz .LBB2_134
; %bb.131:
	v_lshl_add_u32 v9, v2, 2, v6
	v_dual_mov_b32 v5, 0 :: v_dual_mov_b32 v10, v3
	s_lshl_b32 s5, s1, 2
	s_mov_b32 s4, 0
.LBB2_132:                              ; =>This Inner Loop Header: Depth=1
	ds_load_b32 v11, v9
	v_add_nc_u32_e32 v10, -1, v10
	s_wait_alu 0xfffe
	v_add_nc_u32_e32 v9, s5, v9
	s_wait_dscnt 0x0
	v_add_f32_e32 v5, v5, v11
	v_cmp_eq_u32_e32 vcc_lo, 0, v10
	s_or_b32 s4, vcc_lo, s4
	s_wait_alu 0xfffe
	s_and_not1_b32 exec_lo, exec_lo, s4
	s_cbranch_execnz .LBB2_132
; %bb.133:
	s_or_b32 exec_lo, exec_lo, s4
.LBB2_134:
	s_wait_alu 0xfffe
	s_or_b32 exec_lo, exec_lo, s3
	v_mad_co_u64_u32 v[2:3], null, v3, s1, v[2:3]
	s_mov_b32 s3, exec_lo
	v_sub_nc_u32_e32 v3, v4, v2
	s_delay_alu instid0(VALU_DEP_1)
	v_cmpx_lt_i32_e64 v7, v3
	s_cbranch_execz .LBB2_136
; %bb.135:
	v_lshl_add_u32 v2, v2, 2, v6
	ds_load_b32 v2, v2
	s_wait_dscnt 0x0
	v_add_f32_e32 v5, v5, v2
.LBB2_136:
	s_wait_alu 0xfffe
	s_or_b32 exec_lo, exec_lo, s3
.LBB2_137:
	s_wait_alu 0xfffe
	s_or_b32 exec_lo, exec_lo, s2
	s_wait_loadcnt 0x0
	s_wait_storecnt 0x0
	s_barrier_signal -1
	s_barrier_wait -1
	global_inv scope:SCOPE_SE
	ds_store_b32 v8, v5
	s_wait_loadcnt_dscnt 0x0
	s_barrier_signal -1
	s_barrier_wait -1
	global_inv scope:SCOPE_SE
	s_mov_b32 s2, exec_lo
	v_cmpx_gt_i32_e64 s21, v0
	s_cbranch_execz .LBB2_141
; %bb.138:
	v_mul_lo_u32 v2, s1, v0
	s_delay_alu instid0(VALU_DEP_1)
	v_dual_mov_b32 v3, 0 :: v_dual_lshlrev_b32 v2, 2, v2
.LBB2_139:                              ; =>This Inner Loop Header: Depth=1
	ds_load_b32 v4, v2
	v_add_nc_u32_e32 v2, 4, v2
	s_add_co_i32 s1, s1, -1
	s_wait_alu 0xfffe
	s_cmp_eq_u32 s1, 0
	s_wait_dscnt 0x0
	v_add_f32_e32 v3, v3, v4
	s_cbranch_scc0 .LBB2_139
; %bb.140:
	v_lshlrev_b32_e32 v0, 2, v0
	s_lshl_b32 s0, s0, 2
	v_ashrrev_i32_e32 v2, 31, v1
	s_wait_alu 0xfffe
	s_delay_alu instid0(VALU_DEP_2) | instskip(SKIP_2) | instid1(VALU_DEP_1)
	v_add3_u32 v0, 0x1000, s0, v0
	ds_load_b32 v4, v0
	v_lshlrev_b64_e32 v[0:1], 2, v[1:2]
	v_add_co_u32 v0, vcc_lo, s16, v0
	s_wait_alu 0xfffd
	s_delay_alu instid0(VALU_DEP_2)
	v_add_co_ci_u32_e64 v1, null, s17, v1, vcc_lo
	s_wait_dscnt 0x0
	v_add_f32_e32 v2, v3, v4
	global_atomic_add_f32 v[0:1], v2, off scope:SCOPE_DEV
.LBB2_141:
	s_endpgm
	.section	.rodata,"a",@progbits
	.p2align	6, 0x0
	.amdhsa_kernel _ZN9rocsparseL27csrmvn_symm_adaptive_kernelIiiffffEEvbT_S1_PKS1_NS_24const_host_device_scalarIT4_EES3_PKT0_PKT1_PKT2_S6_PT3_21rocsparse_index_base_b
		.amdhsa_group_segment_fixed_size 4096
		.amdhsa_private_segment_fixed_size 0
		.amdhsa_kernarg_size 344
		.amdhsa_user_sgpr_count 2
		.amdhsa_user_sgpr_dispatch_ptr 0
		.amdhsa_user_sgpr_queue_ptr 0
		.amdhsa_user_sgpr_kernarg_segment_ptr 1
		.amdhsa_user_sgpr_dispatch_id 0
		.amdhsa_user_sgpr_private_segment_size 0
		.amdhsa_wavefront_size32 1
		.amdhsa_uses_dynamic_stack 0
		.amdhsa_enable_private_segment 0
		.amdhsa_system_sgpr_workgroup_id_x 1
		.amdhsa_system_sgpr_workgroup_id_y 0
		.amdhsa_system_sgpr_workgroup_id_z 0
		.amdhsa_system_sgpr_workgroup_info 0
		.amdhsa_system_vgpr_workitem_id 0
		.amdhsa_next_free_vgpr 15
		.amdhsa_next_free_sgpr 30
		.amdhsa_reserve_vcc 1
		.amdhsa_float_round_mode_32 0
		.amdhsa_float_round_mode_16_64 0
		.amdhsa_float_denorm_mode_32 3
		.amdhsa_float_denorm_mode_16_64 3
		.amdhsa_fp16_overflow 0
		.amdhsa_workgroup_processor_mode 1
		.amdhsa_memory_ordered 1
		.amdhsa_forward_progress 1
		.amdhsa_inst_pref_size 59
		.amdhsa_round_robin_scheduling 0
		.amdhsa_exception_fp_ieee_invalid_op 0
		.amdhsa_exception_fp_denorm_src 0
		.amdhsa_exception_fp_ieee_div_zero 0
		.amdhsa_exception_fp_ieee_overflow 0
		.amdhsa_exception_fp_ieee_underflow 0
		.amdhsa_exception_fp_ieee_inexact 0
		.amdhsa_exception_int_div_zero 0
	.end_amdhsa_kernel
	.section	.text._ZN9rocsparseL27csrmvn_symm_adaptive_kernelIiiffffEEvbT_S1_PKS1_NS_24const_host_device_scalarIT4_EES3_PKT0_PKT1_PKT2_S6_PT3_21rocsparse_index_base_b,"axG",@progbits,_ZN9rocsparseL27csrmvn_symm_adaptive_kernelIiiffffEEvbT_S1_PKS1_NS_24const_host_device_scalarIT4_EES3_PKT0_PKT1_PKT2_S6_PT3_21rocsparse_index_base_b,comdat
.Lfunc_end2:
	.size	_ZN9rocsparseL27csrmvn_symm_adaptive_kernelIiiffffEEvbT_S1_PKS1_NS_24const_host_device_scalarIT4_EES3_PKT0_PKT1_PKT2_S6_PT3_21rocsparse_index_base_b, .Lfunc_end2-_ZN9rocsparseL27csrmvn_symm_adaptive_kernelIiiffffEEvbT_S1_PKS1_NS_24const_host_device_scalarIT4_EES3_PKT0_PKT1_PKT2_S6_PT3_21rocsparse_index_base_b
                                        ; -- End function
	.set _ZN9rocsparseL27csrmvn_symm_adaptive_kernelIiiffffEEvbT_S1_PKS1_NS_24const_host_device_scalarIT4_EES3_PKT0_PKT1_PKT2_S6_PT3_21rocsparse_index_base_b.num_vgpr, 15
	.set _ZN9rocsparseL27csrmvn_symm_adaptive_kernelIiiffffEEvbT_S1_PKS1_NS_24const_host_device_scalarIT4_EES3_PKT0_PKT1_PKT2_S6_PT3_21rocsparse_index_base_b.num_agpr, 0
	.set _ZN9rocsparseL27csrmvn_symm_adaptive_kernelIiiffffEEvbT_S1_PKS1_NS_24const_host_device_scalarIT4_EES3_PKT0_PKT1_PKT2_S6_PT3_21rocsparse_index_base_b.numbered_sgpr, 30
	.set _ZN9rocsparseL27csrmvn_symm_adaptive_kernelIiiffffEEvbT_S1_PKS1_NS_24const_host_device_scalarIT4_EES3_PKT0_PKT1_PKT2_S6_PT3_21rocsparse_index_base_b.num_named_barrier, 0
	.set _ZN9rocsparseL27csrmvn_symm_adaptive_kernelIiiffffEEvbT_S1_PKS1_NS_24const_host_device_scalarIT4_EES3_PKT0_PKT1_PKT2_S6_PT3_21rocsparse_index_base_b.private_seg_size, 0
	.set _ZN9rocsparseL27csrmvn_symm_adaptive_kernelIiiffffEEvbT_S1_PKS1_NS_24const_host_device_scalarIT4_EES3_PKT0_PKT1_PKT2_S6_PT3_21rocsparse_index_base_b.uses_vcc, 1
	.set _ZN9rocsparseL27csrmvn_symm_adaptive_kernelIiiffffEEvbT_S1_PKS1_NS_24const_host_device_scalarIT4_EES3_PKT0_PKT1_PKT2_S6_PT3_21rocsparse_index_base_b.uses_flat_scratch, 0
	.set _ZN9rocsparseL27csrmvn_symm_adaptive_kernelIiiffffEEvbT_S1_PKS1_NS_24const_host_device_scalarIT4_EES3_PKT0_PKT1_PKT2_S6_PT3_21rocsparse_index_base_b.has_dyn_sized_stack, 0
	.set _ZN9rocsparseL27csrmvn_symm_adaptive_kernelIiiffffEEvbT_S1_PKS1_NS_24const_host_device_scalarIT4_EES3_PKT0_PKT1_PKT2_S6_PT3_21rocsparse_index_base_b.has_recursion, 0
	.set _ZN9rocsparseL27csrmvn_symm_adaptive_kernelIiiffffEEvbT_S1_PKS1_NS_24const_host_device_scalarIT4_EES3_PKT0_PKT1_PKT2_S6_PT3_21rocsparse_index_base_b.has_indirect_call, 0
	.section	.AMDGPU.csdata,"",@progbits
; Kernel info:
; codeLenInByte = 7452
; TotalNumSgprs: 32
; NumVgprs: 15
; ScratchSize: 0
; MemoryBound: 0
; FloatMode: 240
; IeeeMode: 1
; LDSByteSize: 4096 bytes/workgroup (compile time only)
; SGPRBlocks: 0
; VGPRBlocks: 1
; NumSGPRsForWavesPerEU: 32
; NumVGPRsForWavesPerEU: 15
; Occupancy: 16
; WaveLimiterHint : 1
; COMPUTE_PGM_RSRC2:SCRATCH_EN: 0
; COMPUTE_PGM_RSRC2:USER_SGPR: 2
; COMPUTE_PGM_RSRC2:TRAP_HANDLER: 0
; COMPUTE_PGM_RSRC2:TGID_X_EN: 1
; COMPUTE_PGM_RSRC2:TGID_Y_EN: 0
; COMPUTE_PGM_RSRC2:TGID_Z_EN: 0
; COMPUTE_PGM_RSRC2:TIDIG_COMP_CNT: 0
	.section	.text._ZL33csrmvn_symm_large_adaptive_kernelIiiffffEvbT_PKS0_N9rocsparse24const_host_device_scalarIT4_EES2_PKT0_PKT1_PKT2_S6_PT3_21rocsparse_index_base_b,"axG",@progbits,_ZL33csrmvn_symm_large_adaptive_kernelIiiffffEvbT_PKS0_N9rocsparse24const_host_device_scalarIT4_EES2_PKT0_PKT1_PKT2_S6_PT3_21rocsparse_index_base_b,comdat
	.globl	_ZL33csrmvn_symm_large_adaptive_kernelIiiffffEvbT_PKS0_N9rocsparse24const_host_device_scalarIT4_EES2_PKT0_PKT1_PKT2_S6_PT3_21rocsparse_index_base_b ; -- Begin function _ZL33csrmvn_symm_large_adaptive_kernelIiiffffEvbT_PKS0_N9rocsparse24const_host_device_scalarIT4_EES2_PKT0_PKT1_PKT2_S6_PT3_21rocsparse_index_base_b
	.p2align	8
	.type	_ZL33csrmvn_symm_large_adaptive_kernelIiiffffEvbT_PKS0_N9rocsparse24const_host_device_scalarIT4_EES2_PKT0_PKT1_PKT2_S6_PT3_21rocsparse_index_base_b,@function
_ZL33csrmvn_symm_large_adaptive_kernelIiiffffEvbT_PKS0_N9rocsparse24const_host_device_scalarIT4_EES2_PKT0_PKT1_PKT2_S6_PT3_21rocsparse_index_base_b: ; @_ZL33csrmvn_symm_large_adaptive_kernelIiiffffEvbT_PKS0_N9rocsparse24const_host_device_scalarIT4_EES2_PKT0_PKT1_PKT2_S6_PT3_21rocsparse_index_base_b
; %bb.0:
	s_clause 0x2
	s_load_b64 s[6:7], s[0:1], 0x48
	s_load_b64 s[16:17], s[0:1], 0x10
	;; [unrolled: 1-line block ×3, first 2 shown]
	s_wait_kmcnt 0x0
	s_bitcmp1_b32 s7, 0
	s_cselect_b32 s4, -1, 0
	s_delay_alu instid0(SALU_CYCLE_1)
	s_and_b32 vcc_lo, exec_lo, s4
	s_xor_b32 s4, s4, -1
	s_cbranch_vccnz .LBB3_2
; %bb.1:
	s_load_b32 s16, s[16:17], 0x0
.LBB3_2:
	s_and_not1_b32 vcc_lo, exec_lo, s4
	s_cbranch_vccnz .LBB3_4
; %bb.3:
	s_load_b32 s2, s[2:3], 0x0
.LBB3_4:
	s_wait_kmcnt 0x0
	s_cmp_neq_f32 s16, 0
	s_cselect_b32 s3, -1, 0
	s_cmp_neq_f32 s2, 1.0
	s_cselect_b32 s2, -1, 0
	s_delay_alu instid0(SALU_CYCLE_1) | instskip(NEXT) | instid1(SALU_CYCLE_1)
	s_or_b32 s2, s3, s2
	s_and_not1_b32 vcc_lo, exec_lo, s2
	s_cbranch_vccnz .LBB3_32
; %bb.5:
	s_load_b64 s[4:5], s[0:1], 0x8
	s_mov_b32 s2, ttmp9
	s_ashr_i32 s3, ttmp9, 31
	v_dual_mov_b32 v6, 0 :: v_dual_lshlrev_b32 v5, 2, v0
	s_lshl_b64 s[2:3], s[2:3], 2
	ds_store_2addr_stride64_b32 v5, v6, v6 offset1:4
	ds_store_2addr_stride64_b32 v5, v6, v6 offset0:8 offset1:12
	s_wait_dscnt 0x0
	s_barrier_signal -1
	s_barrier_wait -1
	global_inv scope:SCOPE_SE
	v_subrev_nc_u32_e32 v7, s6, v0
	s_wait_kmcnt 0x0
	s_add_nc_u64 s[2:3], s[4:5], s[2:3]
	s_load_b64 s[18:19], s[2:3], 0x0
	s_clause 0x1
	s_load_b256 s[8:15], s[0:1], 0x18
	s_load_b64 s[20:21], s[0:1], 0x40
	s_wait_kmcnt 0x0
	s_cmp_ge_i32 s18, s19
	s_cbranch_scc1 .LBB3_23
; %bb.6:
	v_cmp_gt_u32_e64 s0, 16, v0
	v_cmp_gt_u32_e64 s1, 4, v0
	v_cmp_eq_u32_e64 s2, 0, v0
	s_mov_b32 s22, s18
	v_cmp_gt_u32_e32 vcc_lo, 64, v0
	s_branch .LBB3_8
.LBB3_7:                                ;   in Loop: Header=BB3_8 Depth=1
	s_wait_alu 0xfffe
	s_or_b32 exec_lo, exec_lo, s4
	s_add_co_i32 s22, s22, 1
	s_delay_alu instid0(SALU_CYCLE_1)
	s_cmp_ge_i32 s22, s19
	s_cbranch_scc1 .LBB3_23
.LBB3_8:                                ; =>This Loop Header: Depth=1
                                        ;     Child Loop BB3_10 Depth 2
	s_ashr_i32 s23, s22, 31
	v_mov_b32_e32 v8, 0
	s_lshl_b64 s[24:25], s[22:23], 2
	s_delay_alu instid0(SALU_CYCLE_1)
	s_add_nc_u64 s[4:5], s[8:9], s[24:25]
	s_load_b64 s[4:5], s[4:5], 0x0
	s_wait_kmcnt 0x0
	v_add_nc_u32_e32 v0, s4, v7
	s_sub_co_i32 s7, s5, s6
	s_mov_b32 s5, exec_lo
	s_wait_alu 0xfffe
	s_delay_alu instid0(VALU_DEP_1)
	v_cmpx_gt_i32_e64 s7, v0
	s_cbranch_execz .LBB3_12
; %bb.9:                                ;   in Loop: Header=BB3_8 Depth=1
	v_ashrrev_i32_e32 v1, 31, v0
	v_mov_b32_e32 v8, 0
	s_mov_b32 s17, 0
	s_delay_alu instid0(VALU_DEP_2) | instskip(NEXT) | instid1(VALU_DEP_1)
	v_lshlrev_b64_e32 v[3:4], 2, v[0:1]
	v_add_co_u32 v1, s3, s10, v3
	s_wait_alu 0xf1ff
	s_delay_alu instid0(VALU_DEP_2)
	v_add_co_ci_u32_e64 v2, null, s11, v4, s3
	v_add_co_u32 v3, s3, s12, v3
	s_wait_alu 0xf1ff
	v_add_co_ci_u32_e64 v4, null, s13, v4, s3
.LBB3_10:                               ;   Parent Loop BB3_8 Depth=1
                                        ; =>  This Inner Loop Header: Depth=2
	global_load_b32 v9, v[1:2], off
	v_add_nc_u32_e32 v0, 0x100, v0
	s_delay_alu instid0(VALU_DEP_1) | instskip(SKIP_4) | instid1(VALU_DEP_1)
	v_cmp_le_i32_e64 s4, s7, v0
	s_wait_alu 0xfffe
	s_or_b32 s17, s4, s17
	s_wait_loadcnt 0x0
	v_subrev_nc_u32_e32 v9, s6, v9
	v_ashrrev_i32_e32 v10, 31, v9
	s_delay_alu instid0(VALU_DEP_1) | instskip(NEXT) | instid1(VALU_DEP_1)
	v_lshlrev_b64_e32 v[9:10], 2, v[9:10]
	v_add_co_u32 v9, s3, s14, v9
	s_wait_alu 0xf1ff
	s_delay_alu instid0(VALU_DEP_2)
	v_add_co_ci_u32_e64 v10, null, s15, v10, s3
	v_add_co_u32 v1, s3, 0x400, v1
	global_load_b32 v11, v[3:4], off
	global_load_b32 v9, v[9:10], off
	s_wait_alu 0xf1ff
	v_add_co_ci_u32_e64 v2, null, 0, v2, s3
	v_add_co_u32 v3, s3, 0x400, v3
	s_wait_alu 0xf1ff
	v_add_co_ci_u32_e64 v4, null, 0, v4, s3
	s_wait_loadcnt 0x0
	v_fmac_f32_e32 v8, v11, v9
	s_wait_alu 0xfffe
	s_and_not1_b32 exec_lo, exec_lo, s17
	s_cbranch_execnz .LBB3_10
; %bb.11:                               ;   in Loop: Header=BB3_8 Depth=1
	s_or_b32 exec_lo, exec_lo, s17
.LBB3_12:                               ;   in Loop: Header=BB3_8 Depth=1
	s_delay_alu instid0(SALU_CYCLE_1)
	s_or_b32 exec_lo, exec_lo, s5
	ds_store_b32 v5, v8
	s_wait_loadcnt_dscnt 0x0
	s_barrier_signal -1
	s_barrier_wait -1
	global_inv scope:SCOPE_SE
	ds_load_2addr_stride64_b32 v[0:1], v5 offset1:4
	ds_load_2addr_stride64_b32 v[2:3], v5 offset0:8 offset1:12
	s_wait_dscnt 0x0
	v_add_f32_e32 v1, v1, v2
	s_delay_alu instid0(VALU_DEP_1) | instskip(NEXT) | instid1(VALU_DEP_1)
	v_add_f32_e32 v1, v1, v3
	v_add_f32_e32 v0, v0, v1
	ds_store_b32 v5, v0
	s_wait_loadcnt_dscnt 0x0
	s_barrier_signal -1
	s_barrier_wait -1
	global_inv scope:SCOPE_SE
	s_and_saveexec_b32 s3, vcc_lo
	s_cbranch_execz .LBB3_14
; %bb.13:                               ;   in Loop: Header=BB3_8 Depth=1
	ds_load_2addr_stride64_b32 v[0:1], v5 offset1:1
	ds_load_2addr_stride64_b32 v[2:3], v5 offset0:2 offset1:3
	s_wait_dscnt 0x0
	v_add_f32_e32 v1, v1, v2
	s_delay_alu instid0(VALU_DEP_1) | instskip(NEXT) | instid1(VALU_DEP_1)
	v_add_f32_e32 v1, v1, v3
	v_add_f32_e32 v0, v0, v1
	ds_store_b32 v5, v0
.LBB3_14:                               ;   in Loop: Header=BB3_8 Depth=1
	s_wait_alu 0xfffe
	s_or_b32 exec_lo, exec_lo, s3
	s_wait_loadcnt_dscnt 0x0
	s_barrier_signal -1
	s_barrier_wait -1
	global_inv scope:SCOPE_SE
	s_and_saveexec_b32 s3, s0
	s_cbranch_execz .LBB3_16
; %bb.15:                               ;   in Loop: Header=BB3_8 Depth=1
	ds_load_2addr_b32 v[0:1], v5 offset1:16
	ds_load_2addr_b32 v[2:3], v5 offset0:32 offset1:48
	s_wait_dscnt 0x0
	v_add_f32_e32 v1, v1, v2
	s_delay_alu instid0(VALU_DEP_1) | instskip(NEXT) | instid1(VALU_DEP_1)
	v_add_f32_e32 v1, v1, v3
	v_add_f32_e32 v0, v0, v1
	ds_store_b32 v5, v0
.LBB3_16:                               ;   in Loop: Header=BB3_8 Depth=1
	s_wait_alu 0xfffe
	s_or_b32 exec_lo, exec_lo, s3
	s_wait_loadcnt_dscnt 0x0
	s_barrier_signal -1
	s_barrier_wait -1
	global_inv scope:SCOPE_SE
	s_and_saveexec_b32 s3, s1
	s_cbranch_execz .LBB3_18
; %bb.17:                               ;   in Loop: Header=BB3_8 Depth=1
	ds_load_2addr_b32 v[0:1], v5 offset1:4
	ds_load_2addr_b32 v[2:3], v5 offset0:8 offset1:12
	s_wait_dscnt 0x0
	v_add_f32_e32 v1, v1, v2
	s_delay_alu instid0(VALU_DEP_1) | instskip(NEXT) | instid1(VALU_DEP_1)
	v_add_f32_e32 v1, v1, v3
	v_add_f32_e32 v0, v0, v1
	ds_store_b32 v5, v0
.LBB3_18:                               ;   in Loop: Header=BB3_8 Depth=1
	s_wait_alu 0xfffe
	s_or_b32 exec_lo, exec_lo, s3
	s_wait_loadcnt_dscnt 0x0
	s_barrier_signal -1
	s_barrier_wait -1
	global_inv scope:SCOPE_SE
	s_and_saveexec_b32 s3, s2
	s_cbranch_execz .LBB3_20
; %bb.19:                               ;   in Loop: Header=BB3_8 Depth=1
	ds_load_2addr_b32 v[0:1], v6 offset0:1 offset1:2
	ds_load_b32 v2, v6 offset:12
	ds_load_b32 v3, v5
	s_wait_dscnt 0x2
	v_add_f32_e32 v0, v0, v1
	s_wait_dscnt 0x1
	s_delay_alu instid0(VALU_DEP_1) | instskip(SKIP_1) | instid1(VALU_DEP_1)
	v_add_f32_e32 v0, v0, v2
	s_wait_dscnt 0x0
	v_add_f32_e32 v0, v3, v0
	ds_store_b32 v5, v0
.LBB3_20:                               ;   in Loop: Header=BB3_8 Depth=1
	s_wait_alu 0xfffe
	s_or_b32 exec_lo, exec_lo, s3
	s_wait_loadcnt_dscnt 0x0
	s_barrier_signal -1
	s_barrier_wait -1
	global_inv scope:SCOPE_SE
	s_and_saveexec_b32 s4, s2
	s_cbranch_execz .LBB3_7
; %bb.21:                               ;   in Loop: Header=BB3_8 Depth=1
	s_mov_b32 s5, exec_lo
	s_wait_alu 0xfffe
	v_mbcnt_lo_u32_b32 v0, s5, 0
	s_delay_alu instid0(VALU_DEP_1)
	v_cmp_eq_u32_e64 s3, 0, v0
	s_and_b32 s3, exec_lo, s3
	s_wait_alu 0xfffe
	s_mov_b32 exec_lo, s3
	s_cbranch_execz .LBB3_7
; %bb.22:                               ;   in Loop: Header=BB3_8 Depth=1
	ds_load_b32 v0, v6
	s_bcnt1_i32_b32 s3, s5
	s_add_nc_u64 s[24:25], s[20:21], s[24:25]
	s_wait_alu 0xfffe
	v_cvt_f32_ubyte0_e32 v1, s3
	s_wait_dscnt 0x0
	v_mul_f32_e32 v0, s16, v0
	s_delay_alu instid0(VALU_DEP_1)
	v_mul_f32_e32 v0, v0, v1
	global_atomic_add_f32 v6, v0, s[24:25] scope:SCOPE_DEV
	s_branch .LBB3_7
.LBB3_23:
	s_ashr_i32 s1, s18, 31
	s_mov_b32 s0, s18
	s_ashr_i32 s3, s19, 31
	s_lshl_b64 s[0:1], s[0:1], 2
	s_mov_b32 s2, s19
	s_add_nc_u64 s[0:1], s[8:9], s[0:1]
	s_wait_alu 0xfffe
	s_lshl_b64 s[2:3], s[2:3], 2
	s_load_b32 s4, s[0:1], 0x0
	s_add_nc_u64 s[0:1], s[8:9], s[2:3]
	s_load_b32 s0, s[0:1], 0x0
	s_wait_kmcnt 0x0
	v_add_nc_u32_e32 v0, s4, v7
	s_sub_co_i32 s1, s0, s6
	s_mov_b32 s0, exec_lo
	s_delay_alu instid0(VALU_DEP_1)
	v_cmpx_gt_i32_e64 s1, v0
	s_cbranch_execz .LBB3_32
; %bb.24:
	s_add_co_i32 s2, s19, -1
	s_mov_b32 s4, 0
	s_wait_alu 0xfffe
	s_cmp_lt_i32 s18, s2
	s_cselect_b32 s0, -1, 0
	s_add_co_i32 s3, s19, -2
	s_wait_alu 0xfffe
	s_cmp_lg_u32 s18, s3
	s_cselect_b32 s3, -1, 0
	s_wait_alu 0xfffe
	s_and_b32 s3, s0, s3
	s_branch .LBB3_26
.LBB3_25:                               ;   in Loop: Header=BB3_26 Depth=1
	s_wait_alu 0xfffe
	s_or_b32 exec_lo, exec_lo, s0
	v_add_nc_u32_e32 v0, 0x100, v0
	s_delay_alu instid0(VALU_DEP_1)
	v_cmp_le_i32_e32 vcc_lo, s1, v0
	s_or_b32 s4, vcc_lo, s4
	s_wait_alu 0xfffe
	s_and_not1_b32 exec_lo, exec_lo, s4
	s_cbranch_execz .LBB3_32
.LBB3_26:                               ; =>This Loop Header: Depth=1
                                        ;     Child Loop BB3_28 Depth 2
	v_dual_mov_b32 v5, s18 :: v_dual_mov_b32 v2, s2
	s_wait_alu 0xfffe
	s_and_not1_b32 vcc_lo, exec_lo, s3
	s_wait_alu 0xfffe
	s_cbranch_vccnz .LBB3_30
; %bb.27:                               ;   in Loop: Header=BB3_26 Depth=1
	v_dual_mov_b32 v5, s18 :: v_dual_mov_b32 v2, s2
	s_mov_b32 s5, 0
.LBB3_28:                               ;   Parent Loop BB3_26 Depth=1
                                        ; =>  This Inner Loop Header: Depth=2
	s_delay_alu instid0(VALU_DEP_1) | instskip(NEXT) | instid1(VALU_DEP_1)
	v_add_nc_u32_e32 v1, v2, v5
	v_lshrrev_b32_e32 v3, 31, v1
	s_delay_alu instid0(VALU_DEP_1) | instskip(NEXT) | instid1(VALU_DEP_1)
	v_add_nc_u32_e32 v1, v1, v3
	v_ashrrev_i32_e32 v3, 1, v1
	s_delay_alu instid0(VALU_DEP_1) | instskip(NEXT) | instid1(VALU_DEP_1)
	v_ashrrev_i32_e32 v4, 31, v3
	v_lshlrev_b64_e32 v[6:7], 2, v[3:4]
	s_delay_alu instid0(VALU_DEP_1) | instskip(SKIP_1) | instid1(VALU_DEP_2)
	v_add_co_u32 v6, vcc_lo, s8, v6
	s_wait_alu 0xfffd
	v_add_co_ci_u32_e64 v7, null, s9, v7, vcc_lo
	global_load_b32 v1, v[6:7], off
	s_wait_loadcnt 0x0
	v_subrev_nc_u32_e32 v1, s6, v1
	s_delay_alu instid0(VALU_DEP_1) | instskip(SKIP_2) | instid1(VALU_DEP_1)
	v_cmp_lt_i32_e32 vcc_lo, v0, v1
	s_wait_alu 0xfffd
	v_dual_cndmask_b32 v2, v2, v3 :: v_dual_cndmask_b32 v5, v3, v5
	v_add_nc_u32_e32 v1, -1, v2
	s_delay_alu instid0(VALU_DEP_2) | instskip(NEXT) | instid1(VALU_DEP_2)
	v_cmp_ge_i32_e32 vcc_lo, v5, v2
	v_cmp_eq_u32_e64 s0, v5, v1
	s_or_b32 s0, vcc_lo, s0
	s_wait_alu 0xfffe
	s_and_b32 s0, exec_lo, s0
	s_wait_alu 0xfffe
	s_or_b32 s5, s0, s5
	s_wait_alu 0xfffe
	s_and_not1_b32 exec_lo, exec_lo, s5
	s_cbranch_execnz .LBB3_28
; %bb.29:                               ;   in Loop: Header=BB3_26 Depth=1
	s_or_b32 exec_lo, exec_lo, s5
.LBB3_30:                               ;   in Loop: Header=BB3_26 Depth=1
	v_ashrrev_i32_e32 v3, 31, v2
	v_ashrrev_i32_e32 v1, 31, v0
	s_mov_b32 s0, exec_lo
	s_delay_alu instid0(VALU_DEP_2) | instskip(NEXT) | instid1(VALU_DEP_1)
	v_lshlrev_b64_e32 v[3:4], 2, v[2:3]
	v_add_co_u32 v6, vcc_lo, s8, v3
	s_wait_alu 0xfffd
	s_delay_alu instid0(VALU_DEP_2)
	v_add_co_ci_u32_e64 v7, null, s9, v4, vcc_lo
	v_lshlrev_b64_e32 v[3:4], 2, v[0:1]
	global_load_b32 v1, v[6:7], off
	v_add_co_u32 v6, vcc_lo, s10, v3
	s_wait_alu 0xfffd
	v_add_co_ci_u32_e64 v7, null, s11, v4, vcc_lo
	global_load_b32 v6, v[6:7], off
	s_wait_loadcnt 0x1
	v_subrev_nc_u32_e32 v1, s6, v1
	s_delay_alu instid0(VALU_DEP_1) | instskip(SKIP_4) | instid1(VALU_DEP_1)
	v_cmp_lt_i32_e32 vcc_lo, v0, v1
	s_wait_loadcnt 0x0
	v_subrev_nc_u32_e32 v1, s6, v6
	s_wait_alu 0xfffd
	v_cndmask_b32_e32 v5, v2, v5, vcc_lo
	v_cmpx_ne_u32_e64 v1, v5
	s_cbranch_execz .LBB3_25
; %bb.31:                               ;   in Loop: Header=BB3_26 Depth=1
	v_ashrrev_i32_e32 v6, 31, v5
	v_add_co_u32 v2, vcc_lo, s12, v3
	s_wait_alu 0xfffd
	v_add_co_ci_u32_e64 v3, null, s13, v4, vcc_lo
	s_delay_alu instid0(VALU_DEP_3)
	v_lshlrev_b64_e32 v[4:5], 2, v[5:6]
	global_load_b32 v6, v[2:3], off
	v_add_co_u32 v2, vcc_lo, s14, v4
	s_wait_alu 0xfffd
	v_add_co_ci_u32_e64 v3, null, s15, v5, vcc_lo
	global_load_b32 v3, v[2:3], off
	v_ashrrev_i32_e32 v2, 31, v1
	s_delay_alu instid0(VALU_DEP_1) | instskip(NEXT) | instid1(VALU_DEP_1)
	v_lshlrev_b64_e32 v[1:2], 2, v[1:2]
	v_add_co_u32 v1, vcc_lo, s20, v1
	s_wait_alu 0xfffd
	s_delay_alu instid0(VALU_DEP_2) | instskip(SKIP_3) | instid1(VALU_DEP_1)
	v_add_co_ci_u32_e64 v2, null, s21, v2, vcc_lo
	s_wait_loadcnt 0x1
	v_mul_f32_e32 v4, s16, v6
	s_wait_loadcnt 0x0
	v_mul_f32_e32 v3, v4, v3
	global_atomic_add_f32 v[1:2], v3, off scope:SCOPE_DEV
	s_branch .LBB3_25
.LBB3_32:
	s_endpgm
	.section	.rodata,"a",@progbits
	.p2align	6, 0x0
	.amdhsa_kernel _ZL33csrmvn_symm_large_adaptive_kernelIiiffffEvbT_PKS0_N9rocsparse24const_host_device_scalarIT4_EES2_PKT0_PKT1_PKT2_S6_PT3_21rocsparse_index_base_b
		.amdhsa_group_segment_fixed_size 4096
		.amdhsa_private_segment_fixed_size 0
		.amdhsa_kernarg_size 80
		.amdhsa_user_sgpr_count 2
		.amdhsa_user_sgpr_dispatch_ptr 0
		.amdhsa_user_sgpr_queue_ptr 0
		.amdhsa_user_sgpr_kernarg_segment_ptr 1
		.amdhsa_user_sgpr_dispatch_id 0
		.amdhsa_user_sgpr_private_segment_size 0
		.amdhsa_wavefront_size32 1
		.amdhsa_uses_dynamic_stack 0
		.amdhsa_enable_private_segment 0
		.amdhsa_system_sgpr_workgroup_id_x 1
		.amdhsa_system_sgpr_workgroup_id_y 0
		.amdhsa_system_sgpr_workgroup_id_z 0
		.amdhsa_system_sgpr_workgroup_info 0
		.amdhsa_system_vgpr_workitem_id 0
		.amdhsa_next_free_vgpr 12
		.amdhsa_next_free_sgpr 26
		.amdhsa_reserve_vcc 1
		.amdhsa_float_round_mode_32 0
		.amdhsa_float_round_mode_16_64 0
		.amdhsa_float_denorm_mode_32 3
		.amdhsa_float_denorm_mode_16_64 3
		.amdhsa_fp16_overflow 0
		.amdhsa_workgroup_processor_mode 1
		.amdhsa_memory_ordered 1
		.amdhsa_forward_progress 1
		.amdhsa_inst_pref_size 15
		.amdhsa_round_robin_scheduling 0
		.amdhsa_exception_fp_ieee_invalid_op 0
		.amdhsa_exception_fp_denorm_src 0
		.amdhsa_exception_fp_ieee_div_zero 0
		.amdhsa_exception_fp_ieee_overflow 0
		.amdhsa_exception_fp_ieee_underflow 0
		.amdhsa_exception_fp_ieee_inexact 0
		.amdhsa_exception_int_div_zero 0
	.end_amdhsa_kernel
	.section	.text._ZL33csrmvn_symm_large_adaptive_kernelIiiffffEvbT_PKS0_N9rocsparse24const_host_device_scalarIT4_EES2_PKT0_PKT1_PKT2_S6_PT3_21rocsparse_index_base_b,"axG",@progbits,_ZL33csrmvn_symm_large_adaptive_kernelIiiffffEvbT_PKS0_N9rocsparse24const_host_device_scalarIT4_EES2_PKT0_PKT1_PKT2_S6_PT3_21rocsparse_index_base_b,comdat
.Lfunc_end3:
	.size	_ZL33csrmvn_symm_large_adaptive_kernelIiiffffEvbT_PKS0_N9rocsparse24const_host_device_scalarIT4_EES2_PKT0_PKT1_PKT2_S6_PT3_21rocsparse_index_base_b, .Lfunc_end3-_ZL33csrmvn_symm_large_adaptive_kernelIiiffffEvbT_PKS0_N9rocsparse24const_host_device_scalarIT4_EES2_PKT0_PKT1_PKT2_S6_PT3_21rocsparse_index_base_b
                                        ; -- End function
	.set _ZL33csrmvn_symm_large_adaptive_kernelIiiffffEvbT_PKS0_N9rocsparse24const_host_device_scalarIT4_EES2_PKT0_PKT1_PKT2_S6_PT3_21rocsparse_index_base_b.num_vgpr, 12
	.set _ZL33csrmvn_symm_large_adaptive_kernelIiiffffEvbT_PKS0_N9rocsparse24const_host_device_scalarIT4_EES2_PKT0_PKT1_PKT2_S6_PT3_21rocsparse_index_base_b.num_agpr, 0
	.set _ZL33csrmvn_symm_large_adaptive_kernelIiiffffEvbT_PKS0_N9rocsparse24const_host_device_scalarIT4_EES2_PKT0_PKT1_PKT2_S6_PT3_21rocsparse_index_base_b.numbered_sgpr, 26
	.set _ZL33csrmvn_symm_large_adaptive_kernelIiiffffEvbT_PKS0_N9rocsparse24const_host_device_scalarIT4_EES2_PKT0_PKT1_PKT2_S6_PT3_21rocsparse_index_base_b.num_named_barrier, 0
	.set _ZL33csrmvn_symm_large_adaptive_kernelIiiffffEvbT_PKS0_N9rocsparse24const_host_device_scalarIT4_EES2_PKT0_PKT1_PKT2_S6_PT3_21rocsparse_index_base_b.private_seg_size, 0
	.set _ZL33csrmvn_symm_large_adaptive_kernelIiiffffEvbT_PKS0_N9rocsparse24const_host_device_scalarIT4_EES2_PKT0_PKT1_PKT2_S6_PT3_21rocsparse_index_base_b.uses_vcc, 1
	.set _ZL33csrmvn_symm_large_adaptive_kernelIiiffffEvbT_PKS0_N9rocsparse24const_host_device_scalarIT4_EES2_PKT0_PKT1_PKT2_S6_PT3_21rocsparse_index_base_b.uses_flat_scratch, 0
	.set _ZL33csrmvn_symm_large_adaptive_kernelIiiffffEvbT_PKS0_N9rocsparse24const_host_device_scalarIT4_EES2_PKT0_PKT1_PKT2_S6_PT3_21rocsparse_index_base_b.has_dyn_sized_stack, 0
	.set _ZL33csrmvn_symm_large_adaptive_kernelIiiffffEvbT_PKS0_N9rocsparse24const_host_device_scalarIT4_EES2_PKT0_PKT1_PKT2_S6_PT3_21rocsparse_index_base_b.has_recursion, 0
	.set _ZL33csrmvn_symm_large_adaptive_kernelIiiffffEvbT_PKS0_N9rocsparse24const_host_device_scalarIT4_EES2_PKT0_PKT1_PKT2_S6_PT3_21rocsparse_index_base_b.has_indirect_call, 0
	.section	.AMDGPU.csdata,"",@progbits
; Kernel info:
; codeLenInByte = 1820
; TotalNumSgprs: 28
; NumVgprs: 12
; ScratchSize: 0
; MemoryBound: 0
; FloatMode: 240
; IeeeMode: 1
; LDSByteSize: 4096 bytes/workgroup (compile time only)
; SGPRBlocks: 0
; VGPRBlocks: 1
; NumSGPRsForWavesPerEU: 28
; NumVGPRsForWavesPerEU: 12
; Occupancy: 16
; WaveLimiterHint : 1
; COMPUTE_PGM_RSRC2:SCRATCH_EN: 0
; COMPUTE_PGM_RSRC2:USER_SGPR: 2
; COMPUTE_PGM_RSRC2:TRAP_HANDLER: 0
; COMPUTE_PGM_RSRC2:TGID_X_EN: 1
; COMPUTE_PGM_RSRC2:TGID_Y_EN: 0
; COMPUTE_PGM_RSRC2:TGID_Z_EN: 0
; COMPUTE_PGM_RSRC2:TIDIG_COMP_CNT: 0
	.section	.text._ZN9rocsparseL22csrmvn_adaptive_kernelIliffffEEvbT_PKS1_PjPKT0_NS_24const_host_device_scalarIT4_EES3_S7_PKT1_PKT2_SA_PT3_21rocsparse_index_base_b,"axG",@progbits,_ZN9rocsparseL22csrmvn_adaptive_kernelIliffffEEvbT_PKS1_PjPKT0_NS_24const_host_device_scalarIT4_EES3_S7_PKT1_PKT2_SA_PT3_21rocsparse_index_base_b,comdat
	.globl	_ZN9rocsparseL22csrmvn_adaptive_kernelIliffffEEvbT_PKS1_PjPKT0_NS_24const_host_device_scalarIT4_EES3_S7_PKT1_PKT2_SA_PT3_21rocsparse_index_base_b ; -- Begin function _ZN9rocsparseL22csrmvn_adaptive_kernelIliffffEEvbT_PKS1_PjPKT0_NS_24const_host_device_scalarIT4_EES3_S7_PKT1_PKT2_SA_PT3_21rocsparse_index_base_b
	.p2align	8
	.type	_ZN9rocsparseL22csrmvn_adaptive_kernelIliffffEEvbT_PKS1_PjPKT0_NS_24const_host_device_scalarIT4_EES3_S7_PKT1_PKT2_SA_PT3_21rocsparse_index_base_b,@function
_ZN9rocsparseL22csrmvn_adaptive_kernelIliffffEEvbT_PKS1_PjPKT0_NS_24const_host_device_scalarIT4_EES3_S7_PKT1_PKT2_SA_PT3_21rocsparse_index_base_b: ; @_ZN9rocsparseL22csrmvn_adaptive_kernelIliffffEEvbT_PKS1_PjPKT0_NS_24const_host_device_scalarIT4_EES3_S7_PKT1_PKT2_SA_PT3_21rocsparse_index_base_b
; %bb.0:
	s_clause 0x2
	s_load_b64 s[38:39], s[0:1], 0x60
	s_load_b64 s[36:37], s[0:1], 0x28
	;; [unrolled: 1-line block ×3, first 2 shown]
	s_wait_kmcnt 0x0
	s_bitcmp1_b32 s39, 0
	s_cselect_b32 s2, -1, 0
	s_delay_alu instid0(SALU_CYCLE_1)
	s_and_b32 vcc_lo, exec_lo, s2
	s_xor_b32 s2, s2, -1
	s_cbranch_vccnz .LBB4_2
; %bb.1:
	s_load_b32 s36, s[36:37], 0x0
.LBB4_2:
	s_and_not1_b32 vcc_lo, exec_lo, s2
	s_cbranch_vccnz .LBB4_4
; %bb.3:
	s_load_b32 s24, s[24:25], 0x0
.LBB4_4:
	s_wait_kmcnt 0x0
	s_cmp_neq_f32 s36, 0
	s_cselect_b32 s2, -1, 0
	s_cmp_neq_f32 s24, 1.0
	s_cselect_b32 s3, -1, 0
	s_delay_alu instid0(SALU_CYCLE_1) | instskip(NEXT) | instid1(SALU_CYCLE_1)
	s_or_b32 s2, s2, s3
	s_and_not1_b32 vcc_lo, exec_lo, s2
	s_cbranch_vccnz .LBB4_115
; %bb.5:
	s_clause 0x1
	s_load_b64 s[2:3], s[0:1], 0x10
	s_load_b64 s[6:7], s[0:1], 0x20
	s_mov_b32 s40, ttmp9
	s_ashr_i32 s41, ttmp9, 31
	s_delay_alu instid0(SALU_CYCLE_1)
	s_lshl_b64 s[4:5], s[40:41], 3
	s_lshl_b64 s[42:43], s[40:41], 2
	s_wait_kmcnt 0x0
	s_add_nc_u64 s[2:3], s[2:3], s[4:5]
	s_add_nc_u64 s[4:5], s[6:7], s[42:43]
	s_load_b128 s[20:23], s[2:3], 0x0
	s_clause 0x1
	s_load_b256 s[12:19], s[0:1], 0x30
	s_load_b64 s[26:27], s[0:1], 0x58
	s_wait_kmcnt 0x0
	s_lshl_b64 s[2:3], s[20:21], 3
	s_delay_alu instid0(SALU_CYCLE_1)
	s_add_nc_u64 s[30:31], s[12:13], s[2:3]
	s_load_b32 s28, s[4:5], 0x0
	s_load_b64 s[34:35], s[30:31], 0x0
	s_sub_co_i32 s3, s22, s20
	s_mov_b32 s2, -1
	s_cmp_lt_i32 s3, 2
	s_cbranch_scc0 .LBB4_71
; %bb.6:
	s_cmp_lg_u32 s3, 1
	s_cselect_b32 s2, -1, 0
	s_wait_kmcnt 0x0
	s_cmp_lg_u32 s28, 0
	s_cselect_b32 s3, -1, 0
	s_delay_alu instid0(SALU_CYCLE_1) | instskip(NEXT) | instid1(SALU_CYCLE_1)
	s_or_b32 s2, s2, s3
	s_and_b32 vcc_lo, exec_lo, s2
	s_mov_b32 s2, -1
	s_cbranch_vccnz .LBB4_35
; %bb.7:
	v_cmp_le_i64_e64 s2, s[22:23], s[20:21]
	s_and_b32 vcc_lo, exec_lo, s2
	s_cbranch_vccnz .LBB4_34
; %bb.8:
	v_sub_co_u32 v8, s2, v0, s38
	s_cmp_neq_f32 s24, 0
	v_dual_mov_b32 v7, 0 :: v_dual_lshlrev_b32 v10, 2, v0
	v_sub_co_ci_u32_e64 v9, null, 0, 0, s2
	v_cmp_gt_u32_e64 s2, 0x80, v0
	v_cmp_gt_u32_e64 s3, 64, v0
	;; [unrolled: 1-line block ×7, first 2 shown]
	v_cmp_eq_u32_e64 s9, 0, v0
	s_cselect_b32 s11, -1, 0
	s_mov_b32 s39, 0
	s_mov_b64 s[44:45], s[20:21]
	s_branch .LBB4_11
.LBB4_9:                                ;   in Loop: Header=BB4_11 Depth=1
	s_lshl_b64 s[46:47], s[44:45], 2
	s_wait_alu 0xfffe
	s_add_nc_u64 s[46:47], s[26:27], s[46:47]
	s_wait_dscnt 0x0
	global_store_b32 v7, v1, s[46:47]
.LBB4_10:                               ;   in Loop: Header=BB4_11 Depth=1
	s_wait_alu 0xfffe
	s_or_b32 exec_lo, exec_lo, s10
	s_add_nc_u64 s[44:45], s[44:45], 1
	s_wait_alu 0xfffe
	v_cmp_ge_i64_e64 s10, s[44:45], s[22:23]
	s_and_b32 vcc_lo, exec_lo, s10
	s_wait_alu 0xfffe
	s_cbranch_vccnz .LBB4_34
.LBB4_11:                               ; =>This Loop Header: Depth=1
                                        ;     Child Loop BB4_13 Depth 2
	s_lshl_b64 s[46:47], s[44:45], 3
	v_mov_b32_e32 v11, 0
	s_wait_alu 0xfffe
	s_add_nc_u64 s[46:47], s[12:13], s[46:47]
	s_mov_b32 s25, exec_lo
	s_load_b128 s[48:51], s[46:47], 0x0
	s_wait_kmcnt 0x0
	v_add_co_u32 v1, vcc_lo, s48, v8
	s_wait_alu 0xfffd
	v_add_co_ci_u32_e64 v2, null, s49, v9, vcc_lo
	s_sub_nc_u64 s[46:47], s[50:51], s[38:39]
	s_wait_alu 0xfffe
	v_cmpx_gt_i64_e64 s[46:47], v[1:2]
	s_cbranch_execz .LBB4_15
; %bb.12:                               ;   in Loop: Header=BB4_11 Depth=1
	v_lshlrev_b64_e32 v[5:6], 2, v[1:2]
	v_mov_b32_e32 v11, 0
	s_mov_b32 s29, 0
	s_delay_alu instid0(VALU_DEP_2) | instskip(SKIP_1) | instid1(VALU_DEP_3)
	v_add_co_u32 v3, vcc_lo, s16, v5
	s_wait_alu 0xfffd
	v_add_co_ci_u32_e64 v4, null, s17, v6, vcc_lo
	v_add_co_u32 v5, vcc_lo, s14, v5
	s_wait_alu 0xfffd
	v_add_co_ci_u32_e64 v6, null, s15, v6, vcc_lo
.LBB4_13:                               ;   Parent Loop BB4_11 Depth=1
                                        ; =>  This Inner Loop Header: Depth=2
	global_load_b32 v12, v[5:6], off
	global_load_b32 v14, v[3:4], off
	v_add_co_u32 v5, s10, 0x400, v5
	s_wait_alu 0xf1ff
	v_add_co_ci_u32_e64 v6, null, 0, v6, s10
	s_wait_loadcnt 0x1
	v_subrev_nc_u32_e32 v12, s38, v12
	s_delay_alu instid0(VALU_DEP_1) | instskip(NEXT) | instid1(VALU_DEP_1)
	v_ashrrev_i32_e32 v13, 31, v12
	v_lshlrev_b64_e32 v[12:13], 2, v[12:13]
	s_delay_alu instid0(VALU_DEP_1) | instskip(SKIP_1) | instid1(VALU_DEP_2)
	v_add_co_u32 v12, vcc_lo, s18, v12
	s_wait_alu 0xfffd
	v_add_co_ci_u32_e64 v13, null, s19, v13, vcc_lo
	v_add_co_u32 v1, vcc_lo, 0x100, v1
	s_wait_alu 0xfffd
	v_add_co_ci_u32_e64 v2, null, 0, v2, vcc_lo
	global_load_b32 v12, v[12:13], off
	v_add_co_u32 v3, vcc_lo, 0x400, v3
	s_wait_loadcnt 0x1
	v_mul_f32_e32 v13, s36, v14
	s_wait_alu 0xfffd
	v_add_co_ci_u32_e64 v4, null, 0, v4, vcc_lo
	v_cmp_le_i64_e32 vcc_lo, s[46:47], v[1:2]
	s_or_b32 s29, vcc_lo, s29
	s_wait_loadcnt 0x0
	v_fmac_f32_e32 v11, v13, v12
	s_and_not1_b32 exec_lo, exec_lo, s29
	s_cbranch_execnz .LBB4_13
; %bb.14:                               ;   in Loop: Header=BB4_11 Depth=1
	s_or_b32 exec_lo, exec_lo, s29
.LBB4_15:                               ;   in Loop: Header=BB4_11 Depth=1
	s_delay_alu instid0(SALU_CYCLE_1)
	s_or_b32 exec_lo, exec_lo, s25
	ds_store_b32 v10, v11
	s_wait_dscnt 0x0
	s_barrier_signal -1
	s_barrier_wait -1
	global_inv scope:SCOPE_SE
	s_and_saveexec_b32 s10, s2
	s_cbranch_execz .LBB4_17
; %bb.16:                               ;   in Loop: Header=BB4_11 Depth=1
	ds_load_2addr_stride64_b32 v[1:2], v10 offset1:2
	s_wait_dscnt 0x0
	v_add_f32_e32 v1, v1, v2
	ds_store_b32 v10, v1
.LBB4_17:                               ;   in Loop: Header=BB4_11 Depth=1
	s_wait_alu 0xfffe
	s_or_b32 exec_lo, exec_lo, s10
	s_wait_loadcnt_dscnt 0x0
	s_barrier_signal -1
	s_barrier_wait -1
	global_inv scope:SCOPE_SE
	s_and_saveexec_b32 s10, s3
	s_cbranch_execz .LBB4_19
; %bb.18:                               ;   in Loop: Header=BB4_11 Depth=1
	ds_load_2addr_stride64_b32 v[1:2], v10 offset1:1
	s_wait_dscnt 0x0
	v_add_f32_e32 v1, v1, v2
	ds_store_b32 v10, v1
.LBB4_19:                               ;   in Loop: Header=BB4_11 Depth=1
	s_wait_alu 0xfffe
	s_or_b32 exec_lo, exec_lo, s10
	s_wait_loadcnt_dscnt 0x0
	s_barrier_signal -1
	s_barrier_wait -1
	global_inv scope:SCOPE_SE
	s_and_saveexec_b32 s10, s4
	s_cbranch_execz .LBB4_21
; %bb.20:                               ;   in Loop: Header=BB4_11 Depth=1
	ds_load_2addr_b32 v[1:2], v10 offset1:32
	s_wait_dscnt 0x0
	v_add_f32_e32 v1, v1, v2
	ds_store_b32 v10, v1
.LBB4_21:                               ;   in Loop: Header=BB4_11 Depth=1
	s_wait_alu 0xfffe
	s_or_b32 exec_lo, exec_lo, s10
	s_wait_loadcnt_dscnt 0x0
	s_barrier_signal -1
	s_barrier_wait -1
	global_inv scope:SCOPE_SE
	s_and_saveexec_b32 s10, s5
	s_cbranch_execz .LBB4_23
; %bb.22:                               ;   in Loop: Header=BB4_11 Depth=1
	ds_load_2addr_b32 v[1:2], v10 offset1:16
	s_wait_dscnt 0x0
	v_add_f32_e32 v1, v1, v2
	ds_store_b32 v10, v1
.LBB4_23:                               ;   in Loop: Header=BB4_11 Depth=1
	;; [unrolled: 14-line block ×5, first 2 shown]
	s_wait_alu 0xfffe
	s_or_b32 exec_lo, exec_lo, s10
	s_wait_loadcnt_dscnt 0x0
	s_barrier_signal -1
	s_barrier_wait -1
	global_inv scope:SCOPE_SE
	s_and_saveexec_b32 s10, s9
	s_cbranch_execz .LBB4_31
; %bb.30:                               ;   in Loop: Header=BB4_11 Depth=1
	ds_load_b64 v[1:2], v7
	s_wait_dscnt 0x0
	v_add_f32_e32 v1, v1, v2
	ds_store_b32 v7, v1
.LBB4_31:                               ;   in Loop: Header=BB4_11 Depth=1
	s_wait_alu 0xfffe
	s_or_b32 exec_lo, exec_lo, s10
	s_wait_loadcnt_dscnt 0x0
	s_barrier_signal -1
	s_barrier_wait -1
	global_inv scope:SCOPE_SE
	s_and_saveexec_b32 s10, s9
	s_cbranch_execz .LBB4_10
; %bb.32:                               ;   in Loop: Header=BB4_11 Depth=1
	ds_load_b32 v1, v7
	s_and_not1_b32 vcc_lo, exec_lo, s11
	s_wait_alu 0xfffe
	s_cbranch_vccnz .LBB4_9
; %bb.33:                               ;   in Loop: Header=BB4_11 Depth=1
	s_lshl_b64 s[46:47], s[44:45], 2
	s_wait_alu 0xfffe
	s_add_nc_u64 s[46:47], s[26:27], s[46:47]
	global_load_b32 v2, v7, s[46:47]
	s_wait_loadcnt_dscnt 0x0
	v_fmac_f32_e32 v1, s24, v2
	s_branch .LBB4_9
.LBB4_34:
	s_mov_b32 s2, 0
.LBB4_35:
	s_wait_alu 0xfffe
	s_and_not1_b32 vcc_lo, exec_lo, s2
	s_wait_alu 0xfffe
	s_cbranch_vccnz .LBB4_70
; %bb.36:
	s_load_b64 s[6:7], s[0:1], 0x18
	v_mov_b32_e32 v8, 0
	v_or_b32_e32 v1, s28, v0
	s_sub_co_i32 s8, s40, s28
	s_mov_b32 s39, 0
	s_mov_b32 s2, exec_lo
	s_wait_kmcnt 0x0
	s_add_nc_u64 s[4:5], s[6:7], s[42:43]
	global_load_b32 v7, v8, s[4:5]
	v_cmpx_eq_u32_e32 0, v1
	s_cbranch_execz .LBB4_40
; %bb.37:
	v_mov_b32_e32 v1, 0
	s_lshl_b64 s[10:11], s[20:21], 2
	s_mov_b32 s3, exec_lo
	s_wait_alu 0xfffe
	s_add_nc_u64 s[10:11], s[26:27], s[10:11]
	v_mbcnt_lo_u32_b32 v3, s3, 0
	global_load_b32 v2, v1, s[10:11]
	s_add_f32 s10, s24, -1.0
	s_mov_b32 s11, exec_lo
	s_wait_loadcnt 0x0
	s_wait_storecnt 0x0
	global_inv scope:SCOPE_DEV
	v_cmpx_eq_u32_e32 0, v3
	s_cbranch_execz .LBB4_39
; %bb.38:
	s_bcnt1_i32_b32 s3, s3
	s_ashr_i32 s9, s8, 31
	s_wait_alu 0xfffe
	s_and_b32 s3, s3, 1
	s_lshl_b64 s[40:41], s[8:9], 2
	s_wait_alu 0xfffe
	v_mov_b32_e32 v3, s3
	s_add_nc_u64 s[40:41], s[6:7], s[40:41]
	global_atomic_xor_b32 v1, v3, s[40:41] scope:SCOPE_DEV
.LBB4_39:
	s_wait_alu 0xfffe
	s_or_b32 exec_lo, exec_lo, s11
	v_mul_f32_e32 v8, s10, v2
.LBB4_40:
	s_wait_alu 0xfffe
	s_or_b32 exec_lo, exec_lo, s2
	s_load_b64 s[2:3], s[30:31], 0x8
	s_ashr_i32 s29, s28, 31
	s_sub_nc_u64 s[40:41], s[34:35], s[38:39]
	s_wait_alu 0xfffe
	s_mul_u64 s[10:11], s[28:29], 0xc00
	s_wait_alu 0xfffe
	s_add_nc_u64 s[10:11], s[40:41], s[10:11]
	s_wait_alu 0xfffe
	v_add_co_u32 v1, s9, s10, v0
	s_delay_alu instid0(VALU_DEP_1)
	v_add_co_ci_u32_e64 v2, null, s11, 0, s9
	s_mov_b32 s9, exec_lo
	s_wait_kmcnt 0x0
	s_sub_nc_u64 s[2:3], s[2:3], s[38:39]
	s_wait_alu 0xfffe
	v_cmpx_gt_i64_e64 s[2:3], v[1:2]
	s_cbranch_execz .LBB4_44
; %bb.41:
	v_lshlrev_b64_e32 v[5:6], 2, v[1:2]
	s_add_nc_u64 s[10:11], s[10:11], 0xc00
	s_wait_alu 0xfffe
	v_cmp_lt_i64_e64 s25, s[10:11], s[2:3]
	s_delay_alu instid0(VALU_DEP_2)
	v_add_co_u32 v3, vcc_lo, s16, v5
	s_wait_alu 0xfffd
	v_add_co_ci_u32_e64 v4, null, s17, v6, vcc_lo
	v_add_co_u32 v5, vcc_lo, s14, v5
	s_wait_alu 0xfffd
	v_add_co_ci_u32_e64 v6, null, s15, v6, vcc_lo
	s_and_b32 s25, s25, exec_lo
	s_cselect_b32 s11, s11, s3
	s_cselect_b32 s10, s10, s2
	s_mov_b32 s3, 0
.LBB4_42:                               ; =>This Inner Loop Header: Depth=1
	global_load_b32 v9, v[5:6], off
	global_load_b32 v11, v[3:4], off
	v_add_co_u32 v5, s2, 0x400, v5
	s_wait_alu 0xf1ff
	v_add_co_ci_u32_e64 v6, null, 0, v6, s2
	s_wait_loadcnt 0x1
	v_subrev_nc_u32_e32 v9, s38, v9
	s_delay_alu instid0(VALU_DEP_1) | instskip(NEXT) | instid1(VALU_DEP_1)
	v_ashrrev_i32_e32 v10, 31, v9
	v_lshlrev_b64_e32 v[9:10], 2, v[9:10]
	s_delay_alu instid0(VALU_DEP_1) | instskip(SKIP_1) | instid1(VALU_DEP_2)
	v_add_co_u32 v9, vcc_lo, s18, v9
	s_wait_alu 0xfffd
	v_add_co_ci_u32_e64 v10, null, s19, v10, vcc_lo
	v_add_co_u32 v1, vcc_lo, 0x100, v1
	s_wait_alu 0xfffd
	v_add_co_ci_u32_e64 v2, null, 0, v2, vcc_lo
	global_load_b32 v9, v[9:10], off
	v_add_co_u32 v3, vcc_lo, 0x400, v3
	s_wait_loadcnt 0x1
	v_mul_f32_e32 v10, s36, v11
	s_wait_alu 0xfffd
	v_add_co_ci_u32_e64 v4, null, 0, v4, vcc_lo
	s_wait_alu 0xfffe
	v_cmp_le_i64_e32 vcc_lo, s[10:11], v[1:2]
	s_or_b32 s3, vcc_lo, s3
	s_wait_loadcnt 0x0
	v_fmac_f32_e32 v8, v10, v9
	s_wait_alu 0xfffe
	s_and_not1_b32 exec_lo, exec_lo, s3
	s_cbranch_execnz .LBB4_42
; %bb.43:
	s_or_b32 exec_lo, exec_lo, s3
.LBB4_44:
	s_delay_alu instid0(SALU_CYCLE_1)
	s_or_b32 exec_lo, exec_lo, s9
	v_lshlrev_b32_e32 v1, 2, v0
	s_mov_b32 s2, exec_lo
	ds_store_b32 v1, v8
	s_wait_storecnt 0x0
	s_wait_loadcnt_dscnt 0x0
	s_barrier_signal -1
	s_barrier_wait -1
	global_inv scope:SCOPE_SE
	v_cmpx_gt_u32_e32 0x80, v0
	s_cbranch_execz .LBB4_46
; %bb.45:
	ds_load_2addr_stride64_b32 v[2:3], v1 offset1:2
	s_wait_dscnt 0x0
	v_add_f32_e32 v2, v2, v3
	ds_store_b32 v1, v2
.LBB4_46:
	s_wait_alu 0xfffe
	s_or_b32 exec_lo, exec_lo, s2
	s_delay_alu instid0(SALU_CYCLE_1)
	s_mov_b32 s2, exec_lo
	s_wait_loadcnt_dscnt 0x0
	s_barrier_signal -1
	s_barrier_wait -1
	global_inv scope:SCOPE_SE
	v_cmpx_gt_u32_e32 64, v0
	s_cbranch_execz .LBB4_48
; %bb.47:
	ds_load_2addr_stride64_b32 v[2:3], v1 offset1:1
	s_wait_dscnt 0x0
	v_add_f32_e32 v2, v2, v3
	ds_store_b32 v1, v2
.LBB4_48:
	s_wait_alu 0xfffe
	s_or_b32 exec_lo, exec_lo, s2
	s_delay_alu instid0(SALU_CYCLE_1)
	s_mov_b32 s2, exec_lo
	s_wait_loadcnt_dscnt 0x0
	s_barrier_signal -1
	s_barrier_wait -1
	global_inv scope:SCOPE_SE
	v_cmpx_gt_u32_e32 32, v0
	s_cbranch_execz .LBB4_50
; %bb.49:
	ds_load_2addr_b32 v[2:3], v1 offset1:32
	s_wait_dscnt 0x0
	v_add_f32_e32 v2, v2, v3
	ds_store_b32 v1, v2
.LBB4_50:
	s_wait_alu 0xfffe
	s_or_b32 exec_lo, exec_lo, s2
	s_delay_alu instid0(SALU_CYCLE_1)
	s_mov_b32 s2, exec_lo
	s_wait_loadcnt_dscnt 0x0
	s_barrier_signal -1
	s_barrier_wait -1
	global_inv scope:SCOPE_SE
	v_cmpx_gt_u32_e32 16, v0
	s_cbranch_execz .LBB4_52
; %bb.51:
	ds_load_2addr_b32 v[2:3], v1 offset1:16
	s_wait_dscnt 0x0
	v_add_f32_e32 v2, v2, v3
	ds_store_b32 v1, v2
.LBB4_52:
	;; [unrolled: 16-line block ×5, first 2 shown]
	s_wait_alu 0xfffe
	s_or_b32 exec_lo, exec_lo, s2
	v_cmp_eq_u32_e32 vcc_lo, 0, v0
	s_wait_loadcnt_dscnt 0x0
	s_barrier_signal -1
	s_barrier_wait -1
	global_inv scope:SCOPE_SE
	s_and_saveexec_b32 s2, vcc_lo
	s_cbranch_execz .LBB4_60
; %bb.59:
	v_mov_b32_e32 v3, 0
	ds_load_b64 v[1:2], v3
	s_wait_dscnt 0x0
	v_add_f32_e32 v1, v1, v2
	ds_store_b32 v3, v1
.LBB4_60:
	s_wait_alu 0xfffe
	s_or_b32 exec_lo, exec_lo, s2
	s_wait_loadcnt_dscnt 0x0
	s_barrier_signal -1
	s_barrier_wait -1
	global_inv scope:SCOPE_SE
	s_and_saveexec_b32 s10, vcc_lo
	s_cbranch_execz .LBB4_69
; %bb.61:
	s_cmp_eq_u32 s28, 0
	s_cbranch_scc1 .LBB4_67
; %bb.62:
	s_ashr_i32 s9, s8, 31
	v_mov_b32_e32 v1, 0
	s_wait_alu 0xfffe
	s_lshl_b64 s[2:3], s[8:9], 2
	s_wait_alu 0xfffe
	s_add_nc_u64 s[2:3], s[6:7], s[2:3]
	s_branch .LBB4_64
.LBB4_63:                               ;   in Loop: Header=BB4_64 Depth=1
	s_wait_alu 0xfffe
	s_or_b32 exec_lo, exec_lo, s6
	s_wait_loadcnt 0x0
	v_readfirstlane_b32 s6, v2
	s_wait_alu 0xf1ff
	s_delay_alu instid0(VALU_DEP_1)
	v_cmp_eq_u32_e32 vcc_lo, s6, v7
	s_cbranch_vccz .LBB4_66
.LBB4_64:                               ; =>This Inner Loop Header: Depth=1
	v_mbcnt_lo_u32_b32 v2, exec_lo, 0
	s_delay_alu instid0(VALU_DEP_1)
	v_cmp_eq_u32_e32 vcc_lo, 0, v2
                                        ; implicit-def: $vgpr2
	s_and_saveexec_b32 s6, vcc_lo
	s_cbranch_execz .LBB4_63
; %bb.65:                               ;   in Loop: Header=BB4_64 Depth=1
	global_load_b32 v2, v1, s[2:3] scope:SCOPE_DEV
	s_branch .LBB4_63
.LBB4_66:
	v_mov_b32_e32 v1, 0
	global_load_u16 v2, v1, s[4:5]
	s_wait_loadcnt 0x0
	v_xor_b32_e32 v2, 1, v2
	global_store_b16 v1, v2, s[4:5]
.LBB4_67:
	s_mov_b32 s2, exec_lo
	s_wait_alu 0xfffe
	v_mbcnt_lo_u32_b32 v1, s2, 0
	s_delay_alu instid0(VALU_DEP_1)
	v_cmp_eq_u32_e32 vcc_lo, 0, v1
	s_and_b32 s3, exec_lo, vcc_lo
	s_wait_alu 0xfffe
	s_mov_b32 exec_lo, s3
	s_cbranch_execz .LBB4_69
; %bb.68:
	s_bcnt1_i32_b32 s2, s2
	s_wait_alu 0xfffe
	v_cvt_f32_ubyte0_e32 v3, s2
	v_mov_b32_e32 v1, 0
	s_lshl_b64 s[2:3], s[20:21], 2
	s_wait_alu 0xfffe
	s_add_nc_u64 s[2:3], s[26:27], s[2:3]
	ds_load_b32 v2, v1
	s_wait_dscnt 0x0
	v_mul_f32_e32 v2, v2, v3
	global_atomic_add_f32 v1, v2, s[2:3] scope:SCOPE_DEV
.LBB4_69:
	s_wait_alu 0xfffe
	s_or_b32 exec_lo, exec_lo, s10
.LBB4_70:
	s_mov_b32 s2, 0
.LBB4_71:
	s_wait_alu 0xfffe
	s_and_not1_b32 vcc_lo, exec_lo, s2
	s_wait_alu 0xfffe
	s_cbranch_vccnz .LBB4_115
; %bb.72:
	s_load_b64 s[0:1], s[0:1], 0x8
	v_sub_co_u32 v1, s2, v0, s38
	s_wait_alu 0xf1ff
	v_sub_co_ci_u32_e64 v2, null, 0, 0, s2
	s_mov_b32 s39, 0
	s_wait_kmcnt 0x0
	v_add_co_u32 v1, vcc_lo, s34, v1
	s_wait_alu 0xfffd
	v_add_co_ci_u32_e64 v2, null, s35, v2, vcc_lo
	s_delay_alu instid0(VALU_DEP_2) | instskip(SKIP_1) | instid1(VALU_DEP_2)
	v_add_co_u32 v3, vcc_lo, 0x300, v1
	s_wait_alu 0xfffd
	v_add_co_ci_u32_e64 v4, null, 0, v2, vcc_lo
	s_delay_alu instid0(VALU_DEP_1)
	v_cmp_le_i64_e32 vcc_lo, s[0:1], v[3:4]
	s_and_saveexec_b32 s0, vcc_lo
	s_wait_alu 0xfffe
	s_xor_b32 s1, exec_lo, s0
	s_cbranch_execz .LBB4_77
; %bb.73:
	s_lshl_b64 s[2:3], s[22:23], 3
	s_mov_b32 s4, exec_lo
	s_wait_alu 0xfffe
	s_add_nc_u64 s[2:3], s[12:13], s[2:3]
	s_load_b64 s[2:3], s[2:3], 0x0
	s_wait_kmcnt 0x0
	s_sub_nc_u64 s[2:3], s[2:3], s[38:39]
	s_wait_alu 0xfffe
	v_cmpx_gt_i64_e64 s[2:3], v[1:2]
	s_cbranch_execz .LBB4_76
; %bb.74:
	v_lshlrev_b64_e32 v[5:6], 2, v[1:2]
	v_lshlrev_b32_e32 v7, 2, v0
	s_mov_b32 s5, 0
	s_delay_alu instid0(VALU_DEP_2) | instskip(SKIP_1) | instid1(VALU_DEP_3)
	v_add_co_u32 v3, vcc_lo, s16, v5
	s_wait_alu 0xfffd
	v_add_co_ci_u32_e64 v4, null, s17, v6, vcc_lo
	v_add_co_u32 v5, vcc_lo, s14, v5
	s_wait_alu 0xfffd
	v_add_co_ci_u32_e64 v6, null, s15, v6, vcc_lo
.LBB4_75:                               ; =>This Inner Loop Header: Depth=1
	global_load_b32 v8, v[5:6], off
	global_load_b32 v10, v[3:4], off
	s_wait_loadcnt 0x1
	v_subrev_nc_u32_e32 v8, s38, v8
	s_delay_alu instid0(VALU_DEP_1) | instskip(NEXT) | instid1(VALU_DEP_1)
	v_ashrrev_i32_e32 v9, 31, v8
	v_lshlrev_b64_e32 v[8:9], 2, v[8:9]
	s_delay_alu instid0(VALU_DEP_1) | instskip(SKIP_1) | instid1(VALU_DEP_2)
	v_add_co_u32 v8, vcc_lo, s18, v8
	s_wait_alu 0xfffd
	v_add_co_ci_u32_e64 v9, null, s19, v9, vcc_lo
	v_add_co_u32 v1, vcc_lo, 0x100, v1
	s_wait_alu 0xfffd
	v_add_co_ci_u32_e64 v2, null, 0, v2, vcc_lo
	global_load_b32 v8, v[8:9], off
	s_wait_loadcnt 0x1
	v_mul_f32_e32 v9, s36, v10
	v_add_co_u32 v3, vcc_lo, 0x400, v3
	v_cmp_le_i64_e64 s0, s[2:3], v[1:2]
	s_wait_alu 0xfffd
	v_add_co_ci_u32_e64 v4, null, 0, v4, vcc_lo
	v_add_co_u32 v5, vcc_lo, 0x400, v5
	s_wait_alu 0xfffd
	v_add_co_ci_u32_e64 v6, null, 0, v6, vcc_lo
	s_or_b32 s5, s0, s5
	s_wait_loadcnt 0x0
	v_mul_f32_e32 v8, v9, v8
	ds_store_b32 v7, v8
	v_add_nc_u32_e32 v7, 0x400, v7
	s_and_not1_b32 exec_lo, exec_lo, s5
	s_cbranch_execnz .LBB4_75
.LBB4_76:
	s_or_b32 exec_lo, exec_lo, s4
                                        ; implicit-def: $vgpr1_vgpr2
.LBB4_77:
	s_wait_alu 0xfffe
	s_or_saveexec_b32 s0, s1
	v_lshlrev_b32_e32 v7, 2, v0
	s_wait_alu 0xfffe
	s_xor_b32 exec_lo, exec_lo, s0
	s_cbranch_execz .LBB4_79
; %bb.78:
	v_lshlrev_b64_e32 v[1:2], 2, v[1:2]
	s_delay_alu instid0(VALU_DEP_1) | instskip(SKIP_1) | instid1(VALU_DEP_2)
	v_add_co_u32 v3, vcc_lo, s14, v1
	s_wait_alu 0xfffd
	v_add_co_ci_u32_e64 v4, null, s15, v2, vcc_lo
	v_add_co_u32 v1, vcc_lo, s16, v1
	s_wait_alu 0xfffd
	v_add_co_ci_u32_e64 v2, null, s17, v2, vcc_lo
	s_clause 0x3
	global_load_b32 v5, v[3:4], off
	global_load_b32 v6, v[3:4], off offset:1024
	global_load_b32 v8, v[3:4], off offset:2048
	;; [unrolled: 1-line block ×3, first 2 shown]
	s_clause 0x3
	global_load_b32 v12, v[1:2], off
	global_load_b32 v13, v[1:2], off offset:1024
	global_load_b32 v14, v[1:2], off offset:2048
	;; [unrolled: 1-line block ×3, first 2 shown]
	s_wait_loadcnt 0x7
	v_subrev_nc_u32_e32 v3, s38, v5
	s_wait_loadcnt 0x6
	v_subrev_nc_u32_e32 v5, s38, v6
	;; [unrolled: 2-line block ×4, first 2 shown]
	v_ashrrev_i32_e32 v4, 31, v3
	v_ashrrev_i32_e32 v6, 31, v5
	;; [unrolled: 1-line block ×3, first 2 shown]
	s_delay_alu instid0(VALU_DEP_4) | instskip(NEXT) | instid1(VALU_DEP_4)
	v_ashrrev_i32_e32 v11, 31, v10
	v_lshlrev_b64_e32 v[3:4], 2, v[3:4]
	s_delay_alu instid0(VALU_DEP_4) | instskip(NEXT) | instid1(VALU_DEP_4)
	v_lshlrev_b64_e32 v[1:2], 2, v[5:6]
	v_lshlrev_b64_e32 v[5:6], 2, v[8:9]
	s_delay_alu instid0(VALU_DEP_4) | instskip(NEXT) | instid1(VALU_DEP_4)
	v_lshlrev_b64_e32 v[8:9], 2, v[10:11]
	v_add_co_u32 v3, vcc_lo, s18, v3
	s_wait_alu 0xfffd
	v_add_co_ci_u32_e64 v4, null, s19, v4, vcc_lo
	v_add_co_u32 v1, vcc_lo, s18, v1
	s_wait_alu 0xfffd
	v_add_co_ci_u32_e64 v2, null, s19, v2, vcc_lo
	;; [unrolled: 3-line block ×4, first 2 shown]
	s_clause 0x3
	global_load_b32 v3, v[3:4], off
	global_load_b32 v1, v[1:2], off
	;; [unrolled: 1-line block ×4, first 2 shown]
	s_wait_loadcnt 0x6
	v_dual_mul_f32 v5, s36, v12 :: v_dual_mul_f32 v6, s36, v13
	s_wait_loadcnt 0x4
	v_dual_mul_f32 v8, s36, v14 :: v_dual_mul_f32 v9, s36, v15
	s_wait_loadcnt 0x3
	s_delay_alu instid0(VALU_DEP_2) | instskip(SKIP_1) | instid1(VALU_DEP_2)
	v_mul_f32_e32 v3, v5, v3
	s_wait_loadcnt 0x1
	v_dual_mul_f32 v1, v6, v1 :: v_dual_mul_f32 v2, v8, v2
	s_wait_loadcnt 0x0
	v_mul_f32_e32 v4, v9, v4
	ds_store_2addr_stride64_b32 v7, v3, v1 offset1:4
	ds_store_2addr_stride64_b32 v7, v2, v4 offset0:8 offset1:12
.LBB4_79:
	s_or_b32 exec_lo, exec_lo, s0
	s_cmp_lt_i32 s28, 2
	s_mov_b32 s0, -1
	s_wait_storecnt 0x0
	s_wait_loadcnt_dscnt 0x0
	s_barrier_signal -1
	s_barrier_wait -1
	global_inv scope:SCOPE_SE
	s_cbranch_scc0 .LBB4_90
; %bb.80:
	v_add_co_u32 v5, s0, s20, v0
	s_wait_alu 0xf1fe
	v_add_co_ci_u32_e64 v6, null, s21, 0, s0
	s_mov_b32 s1, exec_lo
	v_cmpx_gt_i64_e64 s[22:23], v[5:6]
	s_cbranch_execz .LBB4_89
; %bb.81:
	s_cmp_neq_f32 s24, 0
	s_mov_b32 s3, 0
	s_cselect_b32 s2, -1, 0
	s_lshl_b32 s0, s34, 2
	s_wait_alu 0xfffe
	s_sub_co_i32 s4, 0, s0
	s_branch .LBB4_83
.LBB4_82:                               ;   in Loop: Header=BB4_83 Depth=1
	v_add_co_u32 v5, vcc_lo, 0x100, v5
	s_wait_alu 0xfffd
	v_add_co_ci_u32_e64 v6, null, 0, v6, vcc_lo
	v_add_co_u32 v1, s0, s26, v1
	s_wait_alu 0xf1ff
	v_add_co_ci_u32_e64 v2, null, s27, v2, s0
	s_delay_alu instid0(VALU_DEP_3)
	v_cmp_le_i64_e32 vcc_lo, s[22:23], v[5:6]
	global_store_b32 v[1:2], v3, off
	s_or_b32 s3, vcc_lo, s3
	s_wait_alu 0xfffe
	s_and_not1_b32 exec_lo, exec_lo, s3
	s_cbranch_execz .LBB4_89
.LBB4_83:                               ; =>This Loop Header: Depth=1
                                        ;     Child Loop BB4_85 Depth 2
	v_lshlrev_b64_e32 v[1:2], 3, v[5:6]
	s_mov_b32 s0, exec_lo
	s_delay_alu instid0(VALU_DEP_1) | instskip(SKIP_1) | instid1(VALU_DEP_2)
	v_add_co_u32 v1, vcc_lo, s12, v1
	s_wait_alu 0xfffd
	v_add_co_ci_u32_e64 v2, null, s13, v2, vcc_lo
	global_load_b128 v[1:4], v[1:2], off
	s_wait_loadcnt 0x0
	v_subrev_nc_u32_e32 v2, s34, v1
	v_subrev_nc_u32_e32 v4, s34, v3
	v_mov_b32_e32 v3, 0
	s_delay_alu instid0(VALU_DEP_2)
	v_cmpx_lt_i32_e64 v2, v4
	s_cbranch_execz .LBB4_87
; %bb.84:                               ;   in Loop: Header=BB4_83 Depth=1
	v_lshl_add_u32 v1, v1, 2, s4
	v_mov_b32_e32 v3, 0
	s_mov_b32 s5, 0
.LBB4_85:                               ;   Parent Loop BB4_83 Depth=1
                                        ; =>  This Inner Loop Header: Depth=2
	ds_load_b32 v8, v1
	v_add_nc_u32_e32 v2, 1, v2
	v_add_nc_u32_e32 v1, 4, v1
	s_wait_dscnt 0x0
	v_add_f32_e32 v3, v3, v8
	s_delay_alu instid0(VALU_DEP_3)
	v_cmp_ge_i32_e32 vcc_lo, v2, v4
	s_wait_alu 0xfffe
	s_or_b32 s5, vcc_lo, s5
	s_wait_alu 0xfffe
	s_and_not1_b32 exec_lo, exec_lo, s5
	s_cbranch_execnz .LBB4_85
; %bb.86:                               ;   in Loop: Header=BB4_83 Depth=1
	s_or_b32 exec_lo, exec_lo, s5
.LBB4_87:                               ;   in Loop: Header=BB4_83 Depth=1
	s_wait_alu 0xfffe
	s_or_b32 exec_lo, exec_lo, s0
	v_lshlrev_b64_e32 v[1:2], 2, v[5:6]
	s_and_b32 vcc_lo, exec_lo, s2
	s_wait_alu 0xfffe
	s_cbranch_vccz .LBB4_82
; %bb.88:                               ;   in Loop: Header=BB4_83 Depth=1
	s_delay_alu instid0(VALU_DEP_1)
	v_add_co_u32 v8, vcc_lo, s26, v1
	s_wait_alu 0xfffd
	v_add_co_ci_u32_e64 v9, null, s27, v2, vcc_lo
	global_load_b32 v4, v[8:9], off
	s_wait_loadcnt 0x0
	v_fmac_f32_e32 v3, s24, v4
	s_branch .LBB4_82
.LBB4_89:
	s_wait_alu 0xfffe
	s_or_b32 exec_lo, exec_lo, s1
	s_mov_b32 s0, 0
.LBB4_90:
	s_wait_alu 0xfffe
	s_and_not1_b32 vcc_lo, exec_lo, s0
	s_wait_alu 0xfffe
	s_cbranch_vccnz .LBB4_115
; %bb.91:
	s_clz_i32_u32 s0, s28
	s_add_co_i32 s1, s28, -1
	s_wait_alu 0xfffe
	s_xor_b32 s0, s0, 31
	v_mov_b32_e32 v3, 0
	s_wait_alu 0xfffe
	v_lshrrev_b32_e32 v4, s0, v0
	v_and_b32_e32 v0, s1, v0
	s_mov_b32 s1, exec_lo
	s_delay_alu instid0(VALU_DEP_2) | instskip(SKIP_2) | instid1(VALU_DEP_1)
	v_add_co_u32 v1, s0, s20, v4
	s_wait_alu 0xf1ff
	v_add_co_ci_u32_e64 v2, null, s21, 0, s0
	v_cmp_le_i64_e32 vcc_lo, s[22:23], v[1:2]
	v_cmpx_gt_i64_e64 s[22:23], v[1:2]
	s_cbranch_execz .LBB4_97
; %bb.92:
	v_lshlrev_b32_e32 v3, 3, v4
	s_mov_b32 s2, exec_lo
	s_clause 0x1
	global_load_b32 v4, v3, s[30:31]
	global_load_b32 v3, v3, s[30:31] offset:8
	s_wait_loadcnt 0x1
	v_subrev_nc_u32_e32 v5, s34, v4
	s_wait_loadcnt 0x0
	v_subrev_nc_u32_e32 v4, s34, v3
	v_mov_b32_e32 v3, 0
	s_delay_alu instid0(VALU_DEP_3) | instskip(NEXT) | instid1(VALU_DEP_1)
	v_add_nc_u32_e32 v5, v0, v5
	v_cmpx_lt_i32_e64 v5, v4
	s_cbranch_execz .LBB4_96
; %bb.93:
	v_dual_mov_b32 v3, 0 :: v_dual_lshlrev_b32 v6, 2, v5
	s_lshl_b32 s4, s28, 2
	s_mov_b32 s3, 0
.LBB4_94:                               ; =>This Inner Loop Header: Depth=1
	ds_load_b32 v8, v6
	v_add_nc_u32_e32 v5, s28, v5
	s_wait_alu 0xfffe
	v_add_nc_u32_e32 v6, s4, v6
	s_delay_alu instid0(VALU_DEP_2)
	v_cmp_ge_i32_e64 s0, v5, v4
	s_or_b32 s3, s0, s3
	s_wait_dscnt 0x0
	v_add_f32_e32 v3, v3, v8
	s_wait_alu 0xfffe
	s_and_not1_b32 exec_lo, exec_lo, s3
	s_cbranch_execnz .LBB4_94
; %bb.95:
	s_or_b32 exec_lo, exec_lo, s3
.LBB4_96:
	s_wait_alu 0xfffe
	s_or_b32 exec_lo, exec_lo, s2
.LBB4_97:
	s_wait_alu 0xfffe
	s_or_b32 exec_lo, exec_lo, s1
	s_cmp_lt_u32 s28, 0x81
	s_wait_loadcnt 0x0
	s_wait_storecnt 0x0
	s_barrier_signal -1
	s_barrier_wait -1
	global_inv scope:SCOPE_SE
	ds_store_b32 v7, v3
	s_wait_loadcnt_dscnt 0x0
	s_barrier_signal -1
	s_barrier_wait -1
	global_inv scope:SCOPE_SE
	s_cbranch_scc1 .LBB4_99
; %bb.98:
	ds_load_b32 v4, v7 offset:512
	s_wait_loadcnt_dscnt 0x0
	s_barrier_signal -1
	s_barrier_wait -1
	global_inv scope:SCOPE_SE
	v_add_f32_e32 v3, v3, v4
	ds_store_b32 v7, v3
.LBB4_99:
	s_cmp_lt_u32 s28, 0x41
	s_wait_loadcnt_dscnt 0x0
	s_barrier_signal -1
	s_barrier_wait -1
	global_inv scope:SCOPE_SE
	s_cbranch_scc1 .LBB4_101
; %bb.100:
	ds_load_b32 v4, v7 offset:256
	s_wait_loadcnt_dscnt 0x0
	s_barrier_signal -1
	s_barrier_wait -1
	global_inv scope:SCOPE_SE
	v_add_f32_e32 v3, v3, v4
	ds_store_b32 v7, v3
.LBB4_101:
	s_cmp_lt_u32 s28, 33
	;; [unrolled: 15-line block ×5, first 2 shown]
	s_wait_loadcnt_dscnt 0x0
	s_barrier_signal -1
	s_barrier_wait -1
	global_inv scope:SCOPE_SE
	s_cbranch_scc1 .LBB4_109
; %bb.108:
	ds_load_b32 v4, v7 offset:16
	s_wait_loadcnt_dscnt 0x0
	s_barrier_signal -1
	s_barrier_wait -1
	global_inv scope:SCOPE_SE
	v_add_f32_e32 v3, v3, v4
	ds_store_b32 v7, v3
.LBB4_109:
	s_cmp_eq_u32 s28, 2
	s_wait_loadcnt_dscnt 0x0
	s_barrier_signal -1
	s_barrier_wait -1
	global_inv scope:SCOPE_SE
	s_cbranch_scc1 .LBB4_111
; %bb.110:
	ds_load_b32 v4, v7 offset:8
	s_wait_loadcnt_dscnt 0x0
	s_barrier_signal -1
	s_barrier_wait -1
	global_inv scope:SCOPE_SE
	v_add_f32_e32 v3, v3, v4
	ds_store_b32 v7, v3
.LBB4_111:
	s_wait_loadcnt_dscnt 0x0
	s_barrier_signal -1
	s_barrier_wait -1
	global_inv scope:SCOPE_SE
	ds_load_b32 v4, v7 offset:4
	v_cmp_eq_u32_e64 s0, 0, v0
	s_xor_b32 s1, vcc_lo, -1
	s_wait_loadcnt_dscnt 0x0
	s_barrier_signal -1
	s_barrier_wait -1
	s_wait_alu 0xfffe
	s_and_b32 s0, s0, s1
	global_inv scope:SCOPE_SE
	v_add_f32_e32 v3, v3, v4
	ds_store_b32 v7, v3
	s_wait_alu 0xfffe
	s_and_saveexec_b32 s1, s0
	s_cbranch_execz .LBB4_115
; %bb.112:
	v_lshlrev_b64_e32 v[0:1], 2, v[1:2]
	s_cmp_eq_f32 s24, 0
	s_cbranch_scc1 .LBB4_114
; %bb.113:
	s_delay_alu instid0(VALU_DEP_1) | instskip(SKIP_1) | instid1(VALU_DEP_2)
	v_add_co_u32 v4, vcc_lo, s26, v0
	s_wait_alu 0xfffd
	v_add_co_ci_u32_e64 v5, null, s27, v1, vcc_lo
	global_load_b32 v2, v[4:5], off
	s_wait_loadcnt 0x0
	v_fmac_f32_e32 v3, s24, v2
.LBB4_114:
	s_delay_alu instid0(VALU_DEP_1) | instskip(SKIP_1) | instid1(VALU_DEP_2)
	v_add_co_u32 v0, vcc_lo, s26, v0
	s_wait_alu 0xfffd
	v_add_co_ci_u32_e64 v1, null, s27, v1, vcc_lo
	global_store_b32 v[0:1], v3, off
.LBB4_115:
	s_endpgm
	.section	.rodata,"a",@progbits
	.p2align	6, 0x0
	.amdhsa_kernel _ZN9rocsparseL22csrmvn_adaptive_kernelIliffffEEvbT_PKS1_PjPKT0_NS_24const_host_device_scalarIT4_EES3_S7_PKT1_PKT2_SA_PT3_21rocsparse_index_base_b
		.amdhsa_group_segment_fixed_size 4096
		.amdhsa_private_segment_fixed_size 0
		.amdhsa_kernarg_size 104
		.amdhsa_user_sgpr_count 2
		.amdhsa_user_sgpr_dispatch_ptr 0
		.amdhsa_user_sgpr_queue_ptr 0
		.amdhsa_user_sgpr_kernarg_segment_ptr 1
		.amdhsa_user_sgpr_dispatch_id 0
		.amdhsa_user_sgpr_private_segment_size 0
		.amdhsa_wavefront_size32 1
		.amdhsa_uses_dynamic_stack 0
		.amdhsa_enable_private_segment 0
		.amdhsa_system_sgpr_workgroup_id_x 1
		.amdhsa_system_sgpr_workgroup_id_y 0
		.amdhsa_system_sgpr_workgroup_id_z 0
		.amdhsa_system_sgpr_workgroup_info 0
		.amdhsa_system_vgpr_workitem_id 0
		.amdhsa_next_free_vgpr 16
		.amdhsa_next_free_sgpr 52
		.amdhsa_reserve_vcc 1
		.amdhsa_float_round_mode_32 0
		.amdhsa_float_round_mode_16_64 0
		.amdhsa_float_denorm_mode_32 3
		.amdhsa_float_denorm_mode_16_64 3
		.amdhsa_fp16_overflow 0
		.amdhsa_workgroup_processor_mode 1
		.amdhsa_memory_ordered 1
		.amdhsa_forward_progress 1
		.amdhsa_inst_pref_size 41
		.amdhsa_round_robin_scheduling 0
		.amdhsa_exception_fp_ieee_invalid_op 0
		.amdhsa_exception_fp_denorm_src 0
		.amdhsa_exception_fp_ieee_div_zero 0
		.amdhsa_exception_fp_ieee_overflow 0
		.amdhsa_exception_fp_ieee_underflow 0
		.amdhsa_exception_fp_ieee_inexact 0
		.amdhsa_exception_int_div_zero 0
	.end_amdhsa_kernel
	.section	.text._ZN9rocsparseL22csrmvn_adaptive_kernelIliffffEEvbT_PKS1_PjPKT0_NS_24const_host_device_scalarIT4_EES3_S7_PKT1_PKT2_SA_PT3_21rocsparse_index_base_b,"axG",@progbits,_ZN9rocsparseL22csrmvn_adaptive_kernelIliffffEEvbT_PKS1_PjPKT0_NS_24const_host_device_scalarIT4_EES3_S7_PKT1_PKT2_SA_PT3_21rocsparse_index_base_b,comdat
.Lfunc_end4:
	.size	_ZN9rocsparseL22csrmvn_adaptive_kernelIliffffEEvbT_PKS1_PjPKT0_NS_24const_host_device_scalarIT4_EES3_S7_PKT1_PKT2_SA_PT3_21rocsparse_index_base_b, .Lfunc_end4-_ZN9rocsparseL22csrmvn_adaptive_kernelIliffffEEvbT_PKS1_PjPKT0_NS_24const_host_device_scalarIT4_EES3_S7_PKT1_PKT2_SA_PT3_21rocsparse_index_base_b
                                        ; -- End function
	.set _ZN9rocsparseL22csrmvn_adaptive_kernelIliffffEEvbT_PKS1_PjPKT0_NS_24const_host_device_scalarIT4_EES3_S7_PKT1_PKT2_SA_PT3_21rocsparse_index_base_b.num_vgpr, 16
	.set _ZN9rocsparseL22csrmvn_adaptive_kernelIliffffEEvbT_PKS1_PjPKT0_NS_24const_host_device_scalarIT4_EES3_S7_PKT1_PKT2_SA_PT3_21rocsparse_index_base_b.num_agpr, 0
	.set _ZN9rocsparseL22csrmvn_adaptive_kernelIliffffEEvbT_PKS1_PjPKT0_NS_24const_host_device_scalarIT4_EES3_S7_PKT1_PKT2_SA_PT3_21rocsparse_index_base_b.numbered_sgpr, 52
	.set _ZN9rocsparseL22csrmvn_adaptive_kernelIliffffEEvbT_PKS1_PjPKT0_NS_24const_host_device_scalarIT4_EES3_S7_PKT1_PKT2_SA_PT3_21rocsparse_index_base_b.num_named_barrier, 0
	.set _ZN9rocsparseL22csrmvn_adaptive_kernelIliffffEEvbT_PKS1_PjPKT0_NS_24const_host_device_scalarIT4_EES3_S7_PKT1_PKT2_SA_PT3_21rocsparse_index_base_b.private_seg_size, 0
	.set _ZN9rocsparseL22csrmvn_adaptive_kernelIliffffEEvbT_PKS1_PjPKT0_NS_24const_host_device_scalarIT4_EES3_S7_PKT1_PKT2_SA_PT3_21rocsparse_index_base_b.uses_vcc, 1
	.set _ZN9rocsparseL22csrmvn_adaptive_kernelIliffffEEvbT_PKS1_PjPKT0_NS_24const_host_device_scalarIT4_EES3_S7_PKT1_PKT2_SA_PT3_21rocsparse_index_base_b.uses_flat_scratch, 0
	.set _ZN9rocsparseL22csrmvn_adaptive_kernelIliffffEEvbT_PKS1_PjPKT0_NS_24const_host_device_scalarIT4_EES3_S7_PKT1_PKT2_SA_PT3_21rocsparse_index_base_b.has_dyn_sized_stack, 0
	.set _ZN9rocsparseL22csrmvn_adaptive_kernelIliffffEEvbT_PKS1_PjPKT0_NS_24const_host_device_scalarIT4_EES3_S7_PKT1_PKT2_SA_PT3_21rocsparse_index_base_b.has_recursion, 0
	.set _ZN9rocsparseL22csrmvn_adaptive_kernelIliffffEEvbT_PKS1_PjPKT0_NS_24const_host_device_scalarIT4_EES3_S7_PKT1_PKT2_SA_PT3_21rocsparse_index_base_b.has_indirect_call, 0
	.section	.AMDGPU.csdata,"",@progbits
; Kernel info:
; codeLenInByte = 5220
; TotalNumSgprs: 54
; NumVgprs: 16
; ScratchSize: 0
; MemoryBound: 0
; FloatMode: 240
; IeeeMode: 1
; LDSByteSize: 4096 bytes/workgroup (compile time only)
; SGPRBlocks: 0
; VGPRBlocks: 1
; NumSGPRsForWavesPerEU: 54
; NumVGPRsForWavesPerEU: 16
; Occupancy: 16
; WaveLimiterHint : 1
; COMPUTE_PGM_RSRC2:SCRATCH_EN: 0
; COMPUTE_PGM_RSRC2:USER_SGPR: 2
; COMPUTE_PGM_RSRC2:TRAP_HANDLER: 0
; COMPUTE_PGM_RSRC2:TGID_X_EN: 1
; COMPUTE_PGM_RSRC2:TGID_Y_EN: 0
; COMPUTE_PGM_RSRC2:TGID_Z_EN: 0
; COMPUTE_PGM_RSRC2:TIDIG_COMP_CNT: 0
	.section	.text._ZN9rocsparseL27csrmvn_symm_adaptive_kernelIliffffEEvbT_S1_PKS1_NS_24const_host_device_scalarIT4_EES3_PKT0_PKT1_PKT2_S6_PT3_21rocsparse_index_base_b,"axG",@progbits,_ZN9rocsparseL27csrmvn_symm_adaptive_kernelIliffffEEvbT_S1_PKS1_NS_24const_host_device_scalarIT4_EES3_PKT0_PKT1_PKT2_S6_PT3_21rocsparse_index_base_b,comdat
	.globl	_ZN9rocsparseL27csrmvn_symm_adaptive_kernelIliffffEEvbT_S1_PKS1_NS_24const_host_device_scalarIT4_EES3_PKT0_PKT1_PKT2_S6_PT3_21rocsparse_index_base_b ; -- Begin function _ZN9rocsparseL27csrmvn_symm_adaptive_kernelIliffffEEvbT_S1_PKS1_NS_24const_host_device_scalarIT4_EES3_PKT0_PKT1_PKT2_S6_PT3_21rocsparse_index_base_b
	.p2align	8
	.type	_ZN9rocsparseL27csrmvn_symm_adaptive_kernelIliffffEEvbT_S1_PKS1_NS_24const_host_device_scalarIT4_EES3_PKT0_PKT1_PKT2_S6_PT3_21rocsparse_index_base_b,@function
_ZN9rocsparseL27csrmvn_symm_adaptive_kernelIliffffEEvbT_S1_PKS1_NS_24const_host_device_scalarIT4_EES3_PKT0_PKT1_PKT2_S6_PT3_21rocsparse_index_base_b: ; @_ZN9rocsparseL27csrmvn_symm_adaptive_kernelIliffffEEvbT_S1_PKS1_NS_24const_host_device_scalarIT4_EES3_PKT0_PKT1_PKT2_S6_PT3_21rocsparse_index_base_b
; %bb.0:
	s_clause 0x2
	s_load_b64 s[24:25], s[0:1], 0x58
	s_load_b64 s[30:31], s[0:1], 0x20
	;; [unrolled: 1-line block ×3, first 2 shown]
	s_wait_kmcnt 0x0
	s_bitcmp1_b32 s25, 0
	s_cselect_b32 s4, -1, 0
	s_delay_alu instid0(SALU_CYCLE_1)
	s_and_b32 vcc_lo, exec_lo, s4
	s_xor_b32 s4, s4, -1
	s_cbranch_vccnz .LBB5_2
; %bb.1:
	s_load_b32 s30, s[30:31], 0x0
.LBB5_2:
	s_and_not1_b32 vcc_lo, exec_lo, s4
	s_cbranch_vccnz .LBB5_4
; %bb.3:
	s_load_b32 s2, s[2:3], 0x0
.LBB5_4:
	s_wait_kmcnt 0x0
	s_cmp_neq_f32 s30, 0
	s_cselect_b32 s3, -1, 0
	s_cmp_neq_f32 s2, 1.0
	s_cselect_b32 s2, -1, 0
	s_delay_alu instid0(SALU_CYCLE_1) | instskip(NEXT) | instid1(SALU_CYCLE_1)
	s_or_b32 s2, s3, s2
	s_and_not1_b32 vcc_lo, exec_lo, s2
	s_cbranch_vccnz .LBB5_137
; %bb.5:
	s_load_b64 s[4:5], s[0:1], 0x18
	s_mov_b32 s2, ttmp9
	s_ashr_i32 s3, ttmp9, 31
	v_dual_mov_b32 v1, 0 :: v_dual_lshlrev_b32 v16, 2, v0
	s_lshl_b64 s[2:3], s[2:3], 3
	ds_store_2addr_stride64_b32 v16, v1, v1 offset1:4
	ds_store_2addr_stride64_b32 v16, v1, v1 offset0:8 offset1:12
	s_wait_dscnt 0x0
	s_barrier_signal -1
	s_barrier_wait -1
	global_inv scope:SCOPE_SE
	s_wait_kmcnt 0x0
	s_add_nc_u64 s[2:3], s[4:5], s[2:3]
	s_load_b128 s[16:19], s[2:3], 0x0
	s_clause 0x1
	s_load_b256 s[8:15], s[0:1], 0x28
	s_load_b64 s[20:21], s[0:1], 0x50
	s_wait_kmcnt 0x0
	s_sub_nc_u64 s[22:23], s[18:19], s[16:17]
	s_delay_alu instid0(SALU_CYCLE_1)
	v_cmp_gt_i64_e64 s2, s[22:23], 2
	s_and_b32 vcc_lo, exec_lo, s2
	s_mov_b32 s2, -1
	s_cbranch_vccnz .LBB5_36
; %bb.6:
	v_cmp_le_i64_e64 s2, s[18:19], s[16:17]
	v_sub_co_u32 v7, s3, v0, s24
	s_delay_alu instid0(VALU_DEP_1)
	v_sub_co_ci_u32_e64 v8, null, 0, 0, s3
	s_mov_b32 s25, 0
	s_and_b32 vcc_lo, exec_lo, s2
	s_cbranch_vccnz .LBB5_26
; %bb.7:
	v_cmp_gt_u32_e64 s2, 0x100, v0
	v_cmp_gt_u32_e64 s3, 64, v0
	;; [unrolled: 1-line block ×4, first 2 shown]
	v_cmp_eq_u32_e64 s6, 0, v0
	v_mov_b32_e32 v9, 0
	s_mov_b64 s[26:27], s[16:17]
	s_branch .LBB5_9
.LBB5_8:                                ;   in Loop: Header=BB5_9 Depth=1
	s_wait_alu 0xfffe
	s_or_b32 exec_lo, exec_lo, s7
	s_add_nc_u64 s[26:27], s[26:27], 1
	s_wait_alu 0xfffe
	v_cmp_ge_i64_e64 s7, s[26:27], s[18:19]
	s_and_b32 vcc_lo, exec_lo, s7
	s_wait_alu 0xfffe
	s_cbranch_vccnz .LBB5_26
.LBB5_9:                                ; =>This Loop Header: Depth=1
                                        ;     Child Loop BB5_11 Depth 2
	s_lshl_b64 s[28:29], s[26:27], 3
	v_mov_b32_e32 v10, 0
	s_wait_alu 0xfffe
	s_add_nc_u64 s[28:29], s[8:9], s[28:29]
	s_mov_b32 s31, exec_lo
	s_load_b128 s[36:39], s[28:29], 0x0
	s_wait_kmcnt 0x0
	v_add_co_u32 v1, vcc_lo, s36, v7
	s_wait_alu 0xfffd
	v_add_co_ci_u32_e64 v2, null, s37, v8, vcc_lo
	s_sub_nc_u64 s[28:29], s[38:39], s[24:25]
	s_wait_alu 0xfffe
	v_cmpx_gt_i64_e64 s[28:29], v[1:2]
	s_cbranch_execz .LBB5_13
; %bb.10:                               ;   in Loop: Header=BB5_9 Depth=1
	v_lshlrev_b64_e32 v[5:6], 2, v[1:2]
	v_mov_b32_e32 v10, 0
	s_mov_b32 s33, 0
	s_delay_alu instid0(VALU_DEP_2) | instskip(SKIP_1) | instid1(VALU_DEP_3)
	v_add_co_u32 v3, vcc_lo, s10, v5
	s_wait_alu 0xfffd
	v_add_co_ci_u32_e64 v4, null, s11, v6, vcc_lo
	v_add_co_u32 v5, vcc_lo, s12, v5
	s_wait_alu 0xfffd
	v_add_co_ci_u32_e64 v6, null, s13, v6, vcc_lo
.LBB5_11:                               ;   Parent Loop BB5_9 Depth=1
                                        ; =>  This Inner Loop Header: Depth=2
	global_load_b32 v11, v[3:4], off
	s_wait_loadcnt 0x0
	v_subrev_nc_u32_e32 v11, s24, v11
	s_delay_alu instid0(VALU_DEP_1) | instskip(NEXT) | instid1(VALU_DEP_1)
	v_ashrrev_i32_e32 v12, 31, v11
	v_lshlrev_b64_e32 v[11:12], 2, v[11:12]
	s_delay_alu instid0(VALU_DEP_1) | instskip(SKIP_1) | instid1(VALU_DEP_2)
	v_add_co_u32 v11, vcc_lo, s14, v11
	s_wait_alu 0xfffd
	v_add_co_ci_u32_e64 v12, null, s15, v12, vcc_lo
	v_add_co_u32 v1, vcc_lo, 0x100, v1
	global_load_b32 v13, v[5:6], off
	global_load_b32 v11, v[11:12], off
	s_wait_alu 0xfffd
	v_add_co_ci_u32_e64 v2, null, 0, v2, vcc_lo
	v_add_co_u32 v3, vcc_lo, 0x400, v3
	s_wait_alu 0xfffd
	v_add_co_ci_u32_e64 v4, null, 0, v4, vcc_lo
	s_delay_alu instid0(VALU_DEP_3)
	v_cmp_le_i64_e32 vcc_lo, s[28:29], v[1:2]
	v_add_co_u32 v5, s7, 0x400, v5
	s_wait_alu 0xf1ff
	v_add_co_ci_u32_e64 v6, null, 0, v6, s7
	s_or_b32 s33, vcc_lo, s33
	s_wait_loadcnt 0x0
	v_fmac_f32_e32 v10, v13, v11
	s_and_not1_b32 exec_lo, exec_lo, s33
	s_cbranch_execnz .LBB5_11
; %bb.12:                               ;   in Loop: Header=BB5_9 Depth=1
	s_or_b32 exec_lo, exec_lo, s33
.LBB5_13:                               ;   in Loop: Header=BB5_9 Depth=1
	s_delay_alu instid0(SALU_CYCLE_1)
	s_or_b32 exec_lo, exec_lo, s31
	ds_store_b32 v16, v10
	s_wait_loadcnt_dscnt 0x0
	s_barrier_signal -1
	s_barrier_wait -1
	global_inv scope:SCOPE_SE
	s_and_saveexec_b32 s7, s2
	s_cbranch_execz .LBB5_15
; %bb.14:                               ;   in Loop: Header=BB5_9 Depth=1
	ds_load_2addr_stride64_b32 v[1:2], v16 offset1:4
	ds_load_2addr_stride64_b32 v[3:4], v16 offset0:8 offset1:12
	s_wait_dscnt 0x0
	v_add_f32_e32 v2, v2, v3
	s_delay_alu instid0(VALU_DEP_1) | instskip(NEXT) | instid1(VALU_DEP_1)
	v_add_f32_e32 v2, v2, v4
	v_add_f32_e32 v1, v1, v2
	ds_store_b32 v16, v1
.LBB5_15:                               ;   in Loop: Header=BB5_9 Depth=1
	s_wait_alu 0xfffe
	s_or_b32 exec_lo, exec_lo, s7
	s_wait_loadcnt_dscnt 0x0
	s_barrier_signal -1
	s_barrier_wait -1
	global_inv scope:SCOPE_SE
	s_and_saveexec_b32 s7, s3
	s_cbranch_execz .LBB5_17
; %bb.16:                               ;   in Loop: Header=BB5_9 Depth=1
	ds_load_2addr_stride64_b32 v[1:2], v16 offset1:1
	ds_load_2addr_stride64_b32 v[3:4], v16 offset0:2 offset1:3
	s_wait_dscnt 0x0
	v_add_f32_e32 v2, v2, v3
	s_delay_alu instid0(VALU_DEP_1) | instskip(NEXT) | instid1(VALU_DEP_1)
	v_add_f32_e32 v2, v2, v4
	v_add_f32_e32 v1, v1, v2
	ds_store_b32 v16, v1
.LBB5_17:                               ;   in Loop: Header=BB5_9 Depth=1
	s_wait_alu 0xfffe
	s_or_b32 exec_lo, exec_lo, s7
	s_wait_loadcnt_dscnt 0x0
	s_barrier_signal -1
	s_barrier_wait -1
	global_inv scope:SCOPE_SE
	s_and_saveexec_b32 s7, s4
	s_cbranch_execz .LBB5_19
; %bb.18:                               ;   in Loop: Header=BB5_9 Depth=1
	ds_load_2addr_b32 v[1:2], v16 offset1:16
	ds_load_2addr_b32 v[3:4], v16 offset0:32 offset1:48
	s_wait_dscnt 0x0
	v_add_f32_e32 v2, v2, v3
	s_delay_alu instid0(VALU_DEP_1) | instskip(NEXT) | instid1(VALU_DEP_1)
	v_add_f32_e32 v2, v2, v4
	v_add_f32_e32 v1, v1, v2
	ds_store_b32 v16, v1
.LBB5_19:                               ;   in Loop: Header=BB5_9 Depth=1
	s_wait_alu 0xfffe
	s_or_b32 exec_lo, exec_lo, s7
	s_wait_loadcnt_dscnt 0x0
	s_barrier_signal -1
	s_barrier_wait -1
	global_inv scope:SCOPE_SE
	s_and_saveexec_b32 s7, s5
	s_cbranch_execz .LBB5_21
; %bb.20:                               ;   in Loop: Header=BB5_9 Depth=1
	ds_load_2addr_b32 v[1:2], v16 offset1:4
	ds_load_2addr_b32 v[3:4], v16 offset0:8 offset1:12
	s_wait_dscnt 0x0
	v_add_f32_e32 v2, v2, v3
	s_delay_alu instid0(VALU_DEP_1) | instskip(NEXT) | instid1(VALU_DEP_1)
	v_add_f32_e32 v2, v2, v4
	v_add_f32_e32 v1, v1, v2
	ds_store_b32 v16, v1
.LBB5_21:                               ;   in Loop: Header=BB5_9 Depth=1
	s_wait_alu 0xfffe
	s_or_b32 exec_lo, exec_lo, s7
	s_wait_loadcnt_dscnt 0x0
	s_barrier_signal -1
	s_barrier_wait -1
	global_inv scope:SCOPE_SE
	s_and_saveexec_b32 s7, s6
	s_cbranch_execz .LBB5_23
; %bb.22:                               ;   in Loop: Header=BB5_9 Depth=1
	ds_load_2addr_b32 v[1:2], v9 offset0:1 offset1:2
	ds_load_b32 v3, v9 offset:12
	ds_load_b32 v4, v16
	s_wait_dscnt 0x2
	v_add_f32_e32 v1, v1, v2
	s_wait_dscnt 0x1
	s_delay_alu instid0(VALU_DEP_1) | instskip(SKIP_1) | instid1(VALU_DEP_1)
	v_add_f32_e32 v1, v1, v3
	s_wait_dscnt 0x0
	v_add_f32_e32 v1, v4, v1
	ds_store_b32 v16, v1
.LBB5_23:                               ;   in Loop: Header=BB5_9 Depth=1
	s_wait_alu 0xfffe
	s_or_b32 exec_lo, exec_lo, s7
	s_wait_loadcnt_dscnt 0x0
	s_barrier_signal -1
	s_barrier_wait -1
	global_inv scope:SCOPE_SE
	s_and_saveexec_b32 s7, s6
	s_cbranch_execz .LBB5_8
; %bb.24:                               ;   in Loop: Header=BB5_9 Depth=1
	s_mov_b32 s28, exec_lo
	s_wait_alu 0xfffe
	v_mbcnt_lo_u32_b32 v1, s28, 0
	s_delay_alu instid0(VALU_DEP_1)
	v_cmp_eq_u32_e32 vcc_lo, 0, v1
	s_and_b32 s29, exec_lo, vcc_lo
	s_wait_alu 0xfffe
	s_mov_b32 exec_lo, s29
	s_cbranch_execz .LBB5_8
; %bb.25:                               ;   in Loop: Header=BB5_9 Depth=1
	ds_load_b32 v1, v9
	s_bcnt1_i32_b32 s28, s28
	s_wait_alu 0xfffe
	v_cvt_f32_ubyte0_e32 v2, s28
	s_lshl_b64 s[28:29], s[26:27], 2
	s_wait_alu 0xfffe
	s_add_nc_u64 s[28:29], s[20:21], s[28:29]
	s_wait_dscnt 0x0
	v_mul_f32_e32 v1, s30, v1
	s_delay_alu instid0(VALU_DEP_1)
	v_mul_f32_e32 v1, v1, v2
	global_atomic_add_f32 v9, v1, s[28:29] scope:SCOPE_DEV
	s_branch .LBB5_8
.LBB5_26:
	s_lshl_b64 s[2:3], s[16:17], 3
	s_lshl_b64 s[4:5], s[18:19], 3
	s_wait_alu 0xfffe
	s_add_nc_u64 s[2:3], s[8:9], s[2:3]
	s_add_nc_u64 s[4:5], s[8:9], s[4:5]
	s_clause 0x1
	s_load_b64 s[2:3], s[2:3], 0x0
	s_load_b64 s[4:5], s[4:5], 0x0
	s_wait_kmcnt 0x0
	v_add_co_u32 v1, vcc_lo, s2, v7
	s_wait_alu 0xfffd
	v_add_co_ci_u32_e64 v2, null, s3, v8, vcc_lo
	s_sub_nc_u64 s[4:5], s[4:5], s[24:25]
	s_mov_b32 s3, exec_lo
	v_cmpx_gt_i64_e64 s[4:5], v[1:2]
	s_cbranch_execz .LBB5_35
; %bb.27:
	s_add_nc_u64 s[6:7], s[18:19], -1
	s_add_nc_u64 s[26:27], s[18:19], -2
	s_wait_alu 0xfffe
	v_cmp_lt_i64_e64 s2, s[16:17], s[6:7]
	s_cmp_lg_u64 s[16:17], s[26:27]
	s_mov_b32 s26, 0
	s_cselect_b32 s25, -1, 0
	s_wait_alu 0xfffe
	s_and_b32 s25, s2, s25
	s_branch .LBB5_29
.LBB5_28:                               ;   in Loop: Header=BB5_29 Depth=1
	s_wait_alu 0xfffe
	s_or_b32 exec_lo, exec_lo, s2
	v_add_co_u32 v1, vcc_lo, 0x100, v1
	s_wait_alu 0xfffd
	v_add_co_ci_u32_e64 v2, null, 0, v2, vcc_lo
	s_delay_alu instid0(VALU_DEP_1)
	v_cmp_le_i64_e32 vcc_lo, s[4:5], v[1:2]
	s_or_b32 s26, vcc_lo, s26
	s_wait_alu 0xfffe
	s_and_not1_b32 exec_lo, exec_lo, s26
	s_cbranch_execz .LBB5_35
.LBB5_29:                               ; =>This Loop Header: Depth=1
                                        ;     Child Loop BB5_31 Depth 2
	v_dual_mov_b32 v3, s16 :: v_dual_mov_b32 v4, s17
	v_dual_mov_b32 v5, s6 :: v_dual_mov_b32 v6, s7
	s_wait_alu 0xfffe
	s_and_not1_b32 vcc_lo, exec_lo, s25
	s_wait_alu 0xfffe
	s_cbranch_vccnz .LBB5_33
; %bb.30:                               ;   in Loop: Header=BB5_29 Depth=1
	v_dual_mov_b32 v3, s16 :: v_dual_mov_b32 v4, s17
	v_dual_mov_b32 v5, s6 :: v_dual_mov_b32 v6, s7
	s_mov_b32 s27, 0
.LBB5_31:                               ;   Parent Loop BB5_29 Depth=1
                                        ; =>  This Inner Loop Header: Depth=2
	s_delay_alu instid0(VALU_DEP_1) | instskip(SKIP_1) | instid1(VALU_DEP_2)
	v_add_co_u32 v7, vcc_lo, v5, v3
	s_wait_alu 0xfffd
	v_add_co_ci_u32_e64 v8, null, v6, v4, vcc_lo
	s_delay_alu instid0(VALU_DEP_1) | instskip(NEXT) | instid1(VALU_DEP_1)
	v_lshrrev_b32_e32 v9, 31, v8
	v_add_co_u32 v7, vcc_lo, v7, v9
	s_wait_alu 0xfffd
	v_add_co_ci_u32_e64 v8, null, 0, v8, vcc_lo
	s_delay_alu instid0(VALU_DEP_1) | instskip(NEXT) | instid1(VALU_DEP_1)
	v_ashrrev_i64 v[7:8], 1, v[7:8]
	v_lshlrev_b64_e32 v[9:10], 3, v[7:8]
	s_delay_alu instid0(VALU_DEP_1) | instskip(SKIP_1) | instid1(VALU_DEP_2)
	v_add_co_u32 v9, vcc_lo, s8, v9
	s_wait_alu 0xfffd
	v_add_co_ci_u32_e64 v10, null, s9, v10, vcc_lo
	global_load_b64 v[9:10], v[9:10], off
	s_wait_loadcnt 0x0
	v_sub_co_u32 v9, vcc_lo, v9, s24
	s_wait_alu 0xfffd
	v_subrev_co_ci_u32_e64 v10, null, 0, v10, vcc_lo
	s_delay_alu instid0(VALU_DEP_1) | instskip(SKIP_3) | instid1(VALU_DEP_2)
	v_cmp_lt_i64_e32 vcc_lo, v[1:2], v[9:10]
	s_wait_alu 0xfffd
	v_dual_cndmask_b32 v6, v6, v8 :: v_dual_cndmask_b32 v5, v5, v7
	v_dual_cndmask_b32 v4, v8, v4 :: v_dual_cndmask_b32 v3, v7, v3
	v_add_co_u32 v7, vcc_lo, v5, -1
	s_wait_alu 0xfffd
	s_delay_alu instid0(VALU_DEP_3) | instskip(NEXT) | instid1(VALU_DEP_3)
	v_add_co_ci_u32_e64 v8, null, -1, v6, vcc_lo
	v_cmp_ge_i64_e32 vcc_lo, v[3:4], v[5:6]
	s_delay_alu instid0(VALU_DEP_2)
	v_cmp_eq_u64_e64 s2, v[3:4], v[7:8]
	s_or_b32 s2, vcc_lo, s2
	s_wait_alu 0xfffe
	s_and_b32 s2, exec_lo, s2
	s_wait_alu 0xfffe
	s_or_b32 s27, s2, s27
	s_wait_alu 0xfffe
	s_and_not1_b32 exec_lo, exec_lo, s27
	s_cbranch_execnz .LBB5_31
; %bb.32:                               ;   in Loop: Header=BB5_29 Depth=1
	s_or_b32 exec_lo, exec_lo, s27
.LBB5_33:                               ;   in Loop: Header=BB5_29 Depth=1
	v_lshlrev_b64_e32 v[7:8], 3, v[5:6]
	v_lshlrev_b64_e32 v[9:10], 2, v[1:2]
	s_mov_b32 s2, exec_lo
	s_delay_alu instid0(VALU_DEP_2) | instskip(SKIP_1) | instid1(VALU_DEP_3)
	v_add_co_u32 v7, vcc_lo, s8, v7
	s_wait_alu 0xfffd
	v_add_co_ci_u32_e64 v8, null, s9, v8, vcc_lo
	s_delay_alu instid0(VALU_DEP_3)
	v_add_co_u32 v11, vcc_lo, s10, v9
	s_wait_alu 0xfffd
	v_add_co_ci_u32_e64 v12, null, s11, v10, vcc_lo
	global_load_b64 v[7:8], v[7:8], off
	global_load_b32 v11, v[11:12], off
	s_wait_loadcnt 0x1
	v_sub_co_u32 v7, vcc_lo, v7, s24
	s_wait_alu 0xfffd
	v_subrev_co_ci_u32_e64 v8, null, 0, v8, vcc_lo
	s_delay_alu instid0(VALU_DEP_1) | instskip(SKIP_2) | instid1(VALU_DEP_1)
	v_cmp_lt_i64_e32 vcc_lo, v[1:2], v[7:8]
	s_wait_loadcnt 0x0
	v_subrev_nc_u32_e32 v7, s24, v11
	v_ashrrev_i32_e32 v8, 31, v7
	s_wait_alu 0xfffd
	v_dual_cndmask_b32 v4, v6, v4 :: v_dual_cndmask_b32 v3, v5, v3
	s_delay_alu instid0(VALU_DEP_1)
	v_cmpx_ne_u64_e64 v[3:4], v[7:8]
	s_cbranch_execz .LBB5_28
; %bb.34:                               ;   in Loop: Header=BB5_29 Depth=1
	v_lshlrev_b64_e32 v[3:4], 2, v[3:4]
	v_add_co_u32 v5, vcc_lo, s12, v9
	s_wait_alu 0xfffd
	v_add_co_ci_u32_e64 v6, null, s13, v10, vcc_lo
	s_delay_alu instid0(VALU_DEP_3)
	v_add_co_u32 v3, vcc_lo, s14, v3
	global_load_b32 v5, v[5:6], off
	s_wait_alu 0xfffd
	v_add_co_ci_u32_e64 v4, null, s15, v4, vcc_lo
	global_load_b32 v6, v[3:4], off
	v_lshlrev_b64_e32 v[3:4], 2, v[7:8]
	s_delay_alu instid0(VALU_DEP_1) | instskip(SKIP_1) | instid1(VALU_DEP_2)
	v_add_co_u32 v3, vcc_lo, s20, v3
	s_wait_alu 0xfffd
	v_add_co_ci_u32_e64 v4, null, s21, v4, vcc_lo
	s_wait_loadcnt 0x1
	v_mul_f32_e32 v5, s30, v5
	s_wait_loadcnt 0x0
	s_delay_alu instid0(VALU_DEP_1)
	v_mul_f32_e32 v5, v5, v6
	global_atomic_add_f32 v[3:4], v5, off scope:SCOPE_DEV
	s_branch .LBB5_28
.LBB5_35:
	s_wait_alu 0xfffe
	s_or_b32 exec_lo, exec_lo, s3
	s_mov_b32 s2, 0
.LBB5_36:
	s_wait_alu 0xfffe
	s_and_b32 vcc_lo, exec_lo, s2
	s_wait_alu 0xfffe
	s_cbranch_vccz .LBB5_137
; %bb.37:
	s_load_b32 s2, s[0:1], 0x6c
	s_mov_b32 s25, 0
	s_mov_b64 s[28:29], 0
	s_wait_alu 0xfffe
	s_mov_b32 s7, s25
	s_wait_kmcnt 0x0
	s_and_b32 s6, s2, 0xffff
	s_wait_alu 0xfffe
	v_cmp_lt_u64_e64 s2, s[6:7], s[22:23]
	s_and_b32 vcc_lo, exec_lo, s2
	s_wait_alu 0xfffe
	s_cbranch_vccnz .LBB5_39
; %bb.38:
	v_cvt_f32_u32_e32 v1, s22
	s_sub_co_i32 s3, 0, s22
	s_delay_alu instid0(VALU_DEP_1) | instskip(NEXT) | instid1(TRANS32_DEP_1)
	v_rcp_iflag_f32_e32 v1, v1
	v_mul_f32_e32 v1, 0x4f7ffffe, v1
	s_delay_alu instid0(VALU_DEP_1) | instskip(NEXT) | instid1(VALU_DEP_1)
	v_cvt_u32_f32_e32 v1, v1
	v_readfirstlane_b32 s2, v1
	s_wait_alu 0xfffe
	s_mul_i32 s3, s3, s2
	s_wait_alu 0xfffe
	s_mul_hi_u32 s3, s2, s3
	s_wait_alu 0xfffe
	s_add_co_i32 s2, s2, s3
	s_wait_alu 0xfffe
	s_mul_hi_u32 s2, s6, s2
	s_wait_alu 0xfffe
	s_mul_i32 s3, s2, s22
	s_add_co_i32 s4, s2, 1
	s_wait_alu 0xfffe
	s_sub_co_i32 s3, s6, s3
	s_wait_alu 0xfffe
	s_sub_co_i32 s5, s3, s22
	s_cmp_ge_u32 s3, s22
	s_cselect_b32 s2, s4, s2
	s_wait_alu 0xfffe
	s_cselect_b32 s3, s5, s3
	s_add_co_i32 s4, s2, 1
	s_wait_alu 0xfffe
	s_cmp_ge_u32 s3, s22
	s_cselect_b32 s28, s4, s2
.LBB5_39:
	s_lshl_b64 s[2:3], s[16:17], 3
	v_sub_co_u32 v1, s7, v0, s24
	s_wait_alu 0xfffe
	s_add_nc_u64 s[26:27], s[8:9], s[2:3]
	s_load_b64 s[4:5], s[26:27], 0x0
	s_load_b128 s[0:3], s[0:1], 0x8
	v_sub_co_ci_u32_e64 v2, null, 0, 0, s7
	s_wait_kmcnt 0x0
	v_add_co_u32 v4, vcc_lo, s4, v1
	s_wait_alu 0xfffd
	s_delay_alu instid0(VALU_DEP_2) | instskip(SKIP_1) | instid1(VALU_DEP_3)
	v_add_co_ci_u32_e64 v5, null, s5, v2, vcc_lo
	v_mov_b32_e32 v1, 0
	v_add_co_u32 v2, vcc_lo, 0x300, v4
	s_wait_alu 0xfffd
	s_delay_alu instid0(VALU_DEP_3) | instskip(NEXT) | instid1(VALU_DEP_1)
	v_add_co_ci_u32_e64 v3, null, 0, v5, vcc_lo
	v_cmp_le_i64_e32 vcc_lo, s[0:1], v[2:3]
	s_and_saveexec_b32 s0, vcc_lo
	s_wait_alu 0xfffe
	s_xor_b32 s7, exec_lo, s0
	s_cbranch_execz .LBB5_44
; %bb.40:
	s_lshl_b64 s[0:1], s[18:19], 3
	s_mov_b32 s29, exec_lo
	s_wait_alu 0xfffe
	s_add_nc_u64 s[0:1], s[8:9], s[0:1]
	s_load_b64 s[0:1], s[0:1], 0x0
	s_wait_kmcnt 0x0
	s_sub_nc_u64 s[34:35], s[0:1], s[4:5]
	s_delay_alu instid0(SALU_CYCLE_1)
	v_cmpx_gt_i64_e64 s[34:35], v[0:1]
	s_cbranch_execz .LBB5_43
; %bb.41:
	v_lshlrev_b64_e32 v[6:7], 2, v[4:5]
	v_dual_mov_b32 v10, v16 :: v_dual_mov_b32 v9, v1
	v_mov_b32_e32 v8, v0
	s_mov_b32 s31, 0
	s_delay_alu instid0(VALU_DEP_3)
	v_add_co_u32 v6, s0, s12, v6
	s_wait_alu 0xf1ff
	v_add_co_ci_u32_e64 v7, null, s13, v7, s0
.LBB5_42:                               ; =>This Inner Loop Header: Depth=1
	global_load_b32 v11, v[6:7], off
	v_add_co_u32 v8, s0, 0x100, v8
	s_wait_alu 0xf1ff
	v_add_co_ci_u32_e64 v9, null, 0, v9, s0
	v_add_co_u32 v6, s0, 0x400, v6
	s_wait_alu 0xf1ff
	v_add_co_ci_u32_e64 v7, null, 0, v7, s0
	s_delay_alu instid0(VALU_DEP_3)
	v_cmp_le_i64_e64 s1, s[34:35], v[8:9]
	s_wait_alu 0xfffe
	s_or_b32 s31, s1, s31
	s_wait_loadcnt 0x0
	v_mul_f32_e32 v11, s30, v11
	ds_store_b32 v10, v11
	v_add_nc_u32_e32 v10, 0x400, v10
	s_wait_alu 0xfffe
	s_and_not1_b32 exec_lo, exec_lo, s31
	s_cbranch_execnz .LBB5_42
.LBB5_43:
	s_or_b32 exec_lo, exec_lo, s29
.LBB5_44:
	s_wait_alu 0xfffe
	s_or_saveexec_b32 s1, s7
	v_lshlrev_b64_e32 v[6:7], 2, v[4:5]
	s_wait_alu 0xfffe
	s_xor_b32 exec_lo, exec_lo, s1
	s_cbranch_execz .LBB5_46
; %bb.45:
	s_delay_alu instid0(VALU_DEP_1)
	v_add_co_u32 v8, s0, s12, v6
	s_wait_alu 0xf1ff
	v_add_co_ci_u32_e64 v9, null, s13, v7, s0
	s_clause 0x3
	global_load_b32 v10, v[8:9], off
	global_load_b32 v11, v[8:9], off offset:1024
	global_load_b32 v12, v[8:9], off offset:2048
	;; [unrolled: 1-line block ×3, first 2 shown]
	s_wait_loadcnt 0x2
	v_dual_mul_f32 v9, s30, v10 :: v_dual_mul_f32 v10, s30, v11
	s_wait_loadcnt 0x1
	v_mul_f32_e32 v11, s30, v12
	s_wait_loadcnt 0x0
	v_mul_f32_e32 v8, s30, v8
	ds_store_2addr_stride64_b32 v16, v9, v10 offset1:4
	ds_store_2addr_stride64_b32 v16, v11, v8 offset0:8 offset1:12
.LBB5_46:
	s_or_b32 exec_lo, exec_lo, s1
	v_lshl_add_u32 v17, v0, 2, 0x1000
	s_mov_b32 s1, exec_lo
	v_cmpx_gt_i64_e64 s[2:3], v[0:1]
	s_cbranch_execz .LBB5_49
; %bb.47:
	v_mov_b32_e32 v9, v1
	v_lshl_add_u32 v10, v0, 2, 0x1000
	v_dual_mov_b32 v11, 0 :: v_dual_mov_b32 v8, v0
	s_mov_b32 s7, 0
.LBB5_48:                               ; =>This Inner Loop Header: Depth=1
	s_delay_alu instid0(VALU_DEP_1)
	v_add_co_u32 v8, s0, 0x100, v8
	s_wait_alu 0xf1ff
	v_add_co_ci_u32_e64 v9, null, 0, v9, s0
	ds_store_b32 v10, v11
	v_add_nc_u32_e32 v10, 0x400, v10
	v_cmp_le_i64_e64 s0, s[2:3], v[8:9]
	s_wait_alu 0xfffe
	s_or_b32 s7, s0, s7
	s_wait_alu 0xfffe
	s_and_not1_b32 exec_lo, exec_lo, s7
	s_cbranch_execnz .LBB5_48
.LBB5_49:
	s_wait_alu 0xfffe
	s_or_b32 exec_lo, exec_lo, s1
	v_cmp_ge_i64_e64 s7, s[18:19], s[2:3]
	s_sub_nc_u64 s[0:1], s[18:19], s[2:3]
	s_wait_storecnt 0x0
	s_wait_loadcnt_dscnt 0x0
	s_barrier_signal -1
	s_barrier_wait -1
	global_inv scope:SCOPE_SE
	s_and_b32 s7, s7, exec_lo
	s_wait_alu 0xfffe
	s_cselect_b32 s13, s1, 0
	s_cselect_b32 s12, s0, 0
	s_and_saveexec_b32 s0, vcc_lo
	s_wait_alu 0xfffe
	s_xor_b32 s7, exec_lo, s0
	s_cbranch_execz .LBB5_66
; %bb.50:
	s_lshl_b64 s[0:1], s[18:19], 3
	s_mov_b32 s29, exec_lo
	s_wait_alu 0xfffe
	s_add_nc_u64 s[0:1], s[8:9], s[0:1]
	s_load_b64 s[0:1], s[0:1], 0x0
	s_wait_kmcnt 0x0
	s_sub_nc_u64 s[30:31], s[0:1], s[4:5]
	s_wait_alu 0xfffe
	v_cmpx_gt_i64_e64 s[30:31], v[0:1]
	s_cbranch_execz .LBB5_65
; %bb.51:
	s_add_nc_u64 s[34:35], s[18:19], -2
	s_sub_nc_u64 s[36:37], s[0:1], s[24:25]
	s_wait_alu 0xfffe
	s_cmp_lg_u64 s[16:17], s[34:35]
	s_add_nc_u64 s[34:35], s[18:19], -1
	s_cselect_b32 s33, -1, 0
	s_mov_b64 s[38:39], 0
	s_mov_b32 s1, 0
	s_branch .LBB5_54
.LBB5_52:                               ;   in Loop: Header=BB5_54 Depth=1
	s_wait_alu 0xfffe
	s_or_b32 exec_lo, exec_lo, s0
.LBB5_53:                               ;   in Loop: Header=BB5_54 Depth=1
	s_delay_alu instid0(SALU_CYCLE_1) | instskip(SKIP_2) | instid1(VALU_DEP_1)
	s_or_b32 exec_lo, exec_lo, s40
	v_lshlrev_b64_e32 v[2:3], 2, v[2:3]
	s_add_nc_u64 s[38:39], s[38:39], 0x100
	v_add_co_u32 v2, vcc_lo, s14, v2
	s_wait_alu 0xfffd
	s_delay_alu instid0(VALU_DEP_2)
	v_add_co_ci_u32_e64 v3, null, s15, v3, vcc_lo
	global_load_b32 v6, v[2:3], off
	s_wait_alu 0xfffe
	v_add_co_u32 v2, s0, s38, v0
	s_wait_alu 0xf1ff
	v_add_co_ci_u32_e64 v3, null, s39, 0, s0
	s_delay_alu instid0(VALU_DEP_1)
	v_cmp_le_i64_e32 vcc_lo, s[30:31], v[2:3]
	v_lshlrev_b32_e32 v2, 2, v10
	s_or_b32 s1, vcc_lo, s1
	s_wait_loadcnt_dscnt 0x0
	v_mul_f32_e32 v3, v6, v11
	ds_store_b32 v2, v3
	s_wait_alu 0xfffe
	s_and_not1_b32 exec_lo, exec_lo, s1
	s_cbranch_execz .LBB5_65
.LBB5_54:                               ; =>This Loop Header: Depth=1
                                        ;     Child Loop BB5_56 Depth 2
	v_add_co_u32 v6, vcc_lo, s38, v4
	s_wait_alu 0xfffd
	v_add_co_ci_u32_e64 v7, null, s39, v5, vcc_lo
	v_dual_mov_b32 v8, s16 :: v_dual_mov_b32 v9, s17
	s_wait_alu 0xfffe
	v_dual_mov_b32 v10, s34 :: v_dual_mov_b32 v11, s35
	s_and_not1_b32 vcc_lo, exec_lo, s33
	s_wait_alu 0xfffe
	s_cbranch_vccnz .LBB5_58
; %bb.55:                               ;   in Loop: Header=BB5_54 Depth=1
	v_dual_mov_b32 v8, s16 :: v_dual_mov_b32 v9, s17
	v_dual_mov_b32 v10, s34 :: v_dual_mov_b32 v11, s35
	s_mov_b32 s40, 0
.LBB5_56:                               ;   Parent Loop BB5_54 Depth=1
                                        ; =>  This Inner Loop Header: Depth=2
	s_delay_alu instid0(VALU_DEP_1) | instskip(SKIP_1) | instid1(VALU_DEP_2)
	v_add_co_u32 v2, vcc_lo, v10, v8
	s_wait_alu 0xfffd
	v_add_co_ci_u32_e64 v3, null, v11, v9, vcc_lo
	s_delay_alu instid0(VALU_DEP_1) | instskip(NEXT) | instid1(VALU_DEP_1)
	v_lshrrev_b32_e32 v12, 31, v3
	v_add_co_u32 v2, vcc_lo, v2, v12
	s_wait_alu 0xfffd
	v_add_co_ci_u32_e64 v3, null, 0, v3, vcc_lo
	s_delay_alu instid0(VALU_DEP_1) | instskip(NEXT) | instid1(VALU_DEP_1)
	v_ashrrev_i64 v[2:3], 1, v[2:3]
	v_lshlrev_b64_e32 v[12:13], 3, v[2:3]
	s_delay_alu instid0(VALU_DEP_1) | instskip(SKIP_1) | instid1(VALU_DEP_2)
	v_add_co_u32 v12, vcc_lo, s8, v12
	s_wait_alu 0xfffd
	v_add_co_ci_u32_e64 v13, null, s9, v13, vcc_lo
	global_load_b64 v[12:13], v[12:13], off
	s_wait_loadcnt 0x0
	v_sub_co_u32 v12, vcc_lo, v12, s24
	s_wait_alu 0xfffd
	v_subrev_co_ci_u32_e64 v13, null, 0, v13, vcc_lo
	s_delay_alu instid0(VALU_DEP_1) | instskip(SKIP_3) | instid1(VALU_DEP_2)
	v_cmp_lt_i64_e32 vcc_lo, v[6:7], v[12:13]
	s_wait_alu 0xfffd
	v_dual_cndmask_b32 v11, v11, v3 :: v_dual_cndmask_b32 v10, v10, v2
	v_dual_cndmask_b32 v9, v3, v9 :: v_dual_cndmask_b32 v8, v2, v8
	v_add_co_u32 v2, vcc_lo, v10, -1
	s_wait_alu 0xfffd
	s_delay_alu instid0(VALU_DEP_3) | instskip(NEXT) | instid1(VALU_DEP_3)
	v_add_co_ci_u32_e64 v3, null, -1, v11, vcc_lo
	v_cmp_ge_i64_e32 vcc_lo, v[8:9], v[10:11]
	s_delay_alu instid0(VALU_DEP_2)
	v_cmp_eq_u64_e64 s0, v[8:9], v[2:3]
	s_or_b32 s0, vcc_lo, s0
	s_wait_alu 0xfffe
	s_and_b32 s0, exec_lo, s0
	s_wait_alu 0xfffe
	s_or_b32 s40, s0, s40
	s_delay_alu instid0(SALU_CYCLE_1)
	s_and_not1_b32 exec_lo, exec_lo, s40
	s_cbranch_execnz .LBB5_56
; %bb.57:                               ;   in Loop: Header=BB5_54 Depth=1
	s_or_b32 exec_lo, exec_lo, s40
.LBB5_58:                               ;   in Loop: Header=BB5_54 Depth=1
	s_delay_alu instid0(VALU_DEP_1) | instskip(SKIP_2) | instid1(VALU_DEP_3)
	v_lshlrev_b64_e32 v[2:3], 3, v[10:11]
	v_lshlrev_b64_e32 v[12:13], 2, v[6:7]
	v_cmp_le_i64_e64 s0, s[36:37], v[6:7]
	v_add_co_u32 v2, vcc_lo, s8, v2
	s_wait_alu 0xfffd
	s_delay_alu instid0(VALU_DEP_4) | instskip(NEXT) | instid1(VALU_DEP_4)
	v_add_co_ci_u32_e64 v3, null, s9, v3, vcc_lo
	v_add_co_u32 v12, vcc_lo, s10, v12
	s_wait_alu 0xfffd
	v_add_co_ci_u32_e64 v13, null, s11, v13, vcc_lo
	global_load_b64 v[2:3], v[2:3], off
	global_load_b32 v14, v[12:13], off
	s_wait_loadcnt 0x1
	v_sub_co_u32 v12, vcc_lo, v2, s24
	s_wait_alu 0xfffd
	v_subrev_co_ci_u32_e64 v13, null, 0, v3, vcc_lo
	s_wait_loadcnt 0x0
	v_subrev_nc_u32_e32 v2, s24, v14
	s_delay_alu instid0(VALU_DEP_2) | instskip(NEXT) | instid1(VALU_DEP_2)
	v_cmp_lt_i64_e32 vcc_lo, v[6:7], v[12:13]
	v_ashrrev_i32_e32 v3, 31, v2
	s_wait_alu 0xfffd
	v_dual_cndmask_b32 v9, v11, v9 :: v_dual_cndmask_b32 v8, v10, v8
	v_add_co_u32 v10, null, s38, v0
                                        ; implicit-def: $vgpr11
	s_delay_alu instid0(VALU_DEP_2) | instskip(NEXT) | instid1(VALU_DEP_2)
	v_cmp_eq_u64_e32 vcc_lo, v[8:9], v[2:3]
	v_lshlrev_b32_e32 v12, 2, v10
	s_or_b32 s0, vcc_lo, s0
	s_wait_alu 0xfffe
	s_and_saveexec_b32 s40, s0
	s_delay_alu instid0(SALU_CYCLE_1)
	s_xor_b32 s0, exec_lo, s40
; %bb.59:                               ;   in Loop: Header=BB5_54 Depth=1
	ds_load_b32 v11, v12
                                        ; implicit-def: $vgpr12
                                        ; implicit-def: $vgpr8_vgpr9
; %bb.60:                               ;   in Loop: Header=BB5_54 Depth=1
	s_wait_alu 0xfffe
	s_and_not1_saveexec_b32 s40, s0
	s_cbranch_execz .LBB5_53
; %bb.61:                               ;   in Loop: Header=BB5_54 Depth=1
	v_cmp_gt_i64_e32 vcc_lo, s[12:13], v[2:3]
	v_cmp_le_i64_e64 s0, s[18:19], v[2:3]
	v_lshlrev_b64_e32 v[6:7], 2, v[8:9]
                                        ; implicit-def: $vgpr11
	s_or_b32 s0, vcc_lo, s0
	s_wait_alu 0xfffe
	s_and_saveexec_b32 s41, s0
	s_delay_alu instid0(SALU_CYCLE_1)
	s_xor_b32 s0, exec_lo, s41
	s_cbranch_execz .LBB5_63
; %bb.62:                               ;   in Loop: Header=BB5_54 Depth=1
	v_add_co_u32 v6, vcc_lo, s14, v6
	s_wait_alu 0xfffd
	v_add_co_ci_u32_e64 v7, null, s15, v7, vcc_lo
	s_wait_dscnt 0x0
	ds_load_b32 v11, v12
                                        ; implicit-def: $vgpr12
	global_load_b32 v8, v[6:7], off
	v_lshlrev_b64_e32 v[6:7], 2, v[2:3]
	s_delay_alu instid0(VALU_DEP_1) | instskip(SKIP_1) | instid1(VALU_DEP_2)
	v_add_co_u32 v6, vcc_lo, s20, v6
	s_wait_alu 0xfffd
	v_add_co_ci_u32_e64 v7, null, s21, v7, vcc_lo
	s_wait_loadcnt_dscnt 0x0
	v_mul_f32_e32 v8, v11, v8
	global_atomic_add_f32 v[6:7], v8, off scope:SCOPE_DEV
                                        ; implicit-def: $vgpr6_vgpr7
.LBB5_63:                               ;   in Loop: Header=BB5_54 Depth=1
	s_wait_alu 0xfffe
	s_and_not1_saveexec_b32 s0, s0
	s_cbranch_execz .LBB5_52
; %bb.64:                               ;   in Loop: Header=BB5_54 Depth=1
	v_add_co_u32 v6, vcc_lo, s14, v6
	s_wait_alu 0xfffd
	v_add_co_ci_u32_e64 v7, null, s15, v7, vcc_lo
	s_wait_dscnt 0x0
	ds_load_b32 v11, v12
	global_load_b32 v6, v[6:7], off
	v_subrev_nc_u32_e32 v7, s12, v2
	s_delay_alu instid0(VALU_DEP_1)
	v_lshl_add_u32 v7, v7, 2, 0x1000
	s_wait_loadcnt_dscnt 0x0
	v_mul_f32_e32 v6, v11, v6
	ds_add_f32 v7, v6
	s_branch .LBB5_52
.LBB5_65:
	s_or_b32 exec_lo, exec_lo, s29
                                        ; implicit-def: $vgpr2_vgpr3
                                        ; implicit-def: $vgpr4
                                        ; implicit-def: $vgpr6_vgpr7
.LBB5_66:
	s_wait_alu 0xfffe
	s_and_not1_saveexec_b32 s1, s7
	s_cbranch_execz .LBB5_108
; %bb.67:
	s_add_nc_u64 s[30:31], s[18:19], -1
	s_add_nc_u64 s[34:35], s[18:19], -2
	v_dual_mov_b32 v8, s16 :: v_dual_mov_b32 v9, s17
	s_wait_alu 0xfffe
	v_dual_mov_b32 v10, s30 :: v_dual_mov_b32 v11, s31
	s_cmp_lg_u64 s[16:17], s[34:35]
	s_cselect_b32 s7, -1, 0
	s_cmp_eq_u64 s[16:17], s[34:35]
	s_cbranch_scc1 .LBB5_71
; %bb.68:
	v_dual_mov_b32 v8, s16 :: v_dual_mov_b32 v9, s17
	v_dual_mov_b32 v10, s30 :: v_dual_mov_b32 v11, s31
	s_mov_b32 s29, 0
.LBB5_69:                               ; =>This Inner Loop Header: Depth=1
	s_delay_alu instid0(VALU_DEP_1) | instskip(SKIP_1) | instid1(VALU_DEP_2)
	v_add_co_u32 v12, vcc_lo, v10, v8
	s_wait_alu 0xfffd
	v_add_co_ci_u32_e64 v13, null, v11, v9, vcc_lo
	s_delay_alu instid0(VALU_DEP_1) | instskip(NEXT) | instid1(VALU_DEP_1)
	v_lshrrev_b32_e32 v14, 31, v13
	v_add_co_u32 v12, vcc_lo, v12, v14
	s_wait_alu 0xfffd
	v_add_co_ci_u32_e64 v13, null, 0, v13, vcc_lo
	s_delay_alu instid0(VALU_DEP_1) | instskip(NEXT) | instid1(VALU_DEP_1)
	v_ashrrev_i64 v[12:13], 1, v[12:13]
	v_lshlrev_b64_e32 v[14:15], 3, v[12:13]
	s_delay_alu instid0(VALU_DEP_1) | instskip(SKIP_1) | instid1(VALU_DEP_2)
	v_add_co_u32 v14, vcc_lo, s8, v14
	s_wait_alu 0xfffd
	v_add_co_ci_u32_e64 v15, null, s9, v15, vcc_lo
	global_load_b64 v[14:15], v[14:15], off
	s_wait_loadcnt 0x0
	v_sub_co_u32 v14, vcc_lo, v14, s24
	s_wait_alu 0xfffd
	v_subrev_co_ci_u32_e64 v15, null, 0, v15, vcc_lo
	s_delay_alu instid0(VALU_DEP_1) | instskip(SKIP_3) | instid1(VALU_DEP_2)
	v_cmp_lt_i64_e32 vcc_lo, v[4:5], v[14:15]
	s_wait_alu 0xfffd
	v_dual_cndmask_b32 v11, v11, v13 :: v_dual_cndmask_b32 v10, v10, v12
	v_dual_cndmask_b32 v9, v13, v9 :: v_dual_cndmask_b32 v8, v12, v8
	v_add_co_u32 v12, vcc_lo, v10, -1
	s_wait_alu 0xfffd
	s_delay_alu instid0(VALU_DEP_3) | instskip(NEXT) | instid1(VALU_DEP_3)
	v_add_co_ci_u32_e64 v13, null, -1, v11, vcc_lo
	v_cmp_ge_i64_e32 vcc_lo, v[8:9], v[10:11]
	s_delay_alu instid0(VALU_DEP_2)
	v_cmp_eq_u64_e64 s0, v[8:9], v[12:13]
	s_or_b32 s0, vcc_lo, s0
	s_wait_alu 0xfffe
	s_and_b32 s0, exec_lo, s0
	s_wait_alu 0xfffe
	s_or_b32 s29, s0, s29
	s_wait_alu 0xfffe
	s_and_not1_b32 exec_lo, exec_lo, s29
	s_cbranch_execnz .LBB5_69
; %bb.70:
	s_or_b32 exec_lo, exec_lo, s29
.LBB5_71:
	v_lshlrev_b64_e32 v[12:13], 3, v[10:11]
	s_mov_b32 s29, exec_lo
	s_delay_alu instid0(VALU_DEP_1) | instskip(SKIP_1) | instid1(VALU_DEP_2)
	v_add_co_u32 v12, vcc_lo, s8, v12
	s_wait_alu 0xfffd
	v_add_co_ci_u32_e64 v13, null, s9, v13, vcc_lo
	v_add_co_u32 v6, vcc_lo, s10, v6
	s_wait_alu 0xfffd
	v_add_co_ci_u32_e64 v7, null, s11, v7, vcc_lo
	global_load_b64 v[12:13], v[12:13], off
	s_lshl_b64 s[10:11], s[18:19], 3
	global_load_b32 v14, v[6:7], off
	s_wait_alu 0xfffe
	s_add_nc_u64 s[10:11], s[8:9], s[10:11]
	s_wait_loadcnt 0x1
	v_sub_co_u32 v12, vcc_lo, v12, s24
	s_wait_alu 0xfffd
	v_subrev_co_ci_u32_e64 v13, null, 0, v13, vcc_lo
	s_delay_alu instid0(VALU_DEP_1) | instskip(SKIP_2) | instid1(VALU_DEP_1)
	v_cmp_lt_i64_e32 vcc_lo, v[4:5], v[12:13]
	s_wait_loadcnt 0x0
	v_subrev_nc_u32_e32 v12, s24, v14
	v_ashrrev_i32_e32 v13, 31, v12
	s_wait_alu 0xfffd
	v_dual_cndmask_b32 v9, v11, v9 :: v_dual_cndmask_b32 v8, v10, v8
	s_delay_alu instid0(VALU_DEP_1)
	v_cmpx_ne_u64_e64 v[8:9], v[12:13]
	s_cbranch_execz .LBB5_77
; %bb.72:
	s_load_b64 s[34:35], s[10:11], 0x0
	s_wait_kmcnt 0x0
	s_sub_nc_u64 s[34:35], s[34:35], s[24:25]
	s_wait_alu 0xfffe
	v_cmp_gt_i64_e32 vcc_lo, s[34:35], v[4:5]
	s_and_b32 exec_lo, exec_lo, vcc_lo
	s_cbranch_execz .LBB5_77
; %bb.73:
	v_cmp_gt_i64_e32 vcc_lo, s[12:13], v[12:13]
	v_cmp_le_i64_e64 s0, s[18:19], v[12:13]
	v_lshlrev_b64_e32 v[8:9], 2, v[8:9]
	s_or_b32 s0, vcc_lo, s0
	s_wait_alu 0xfffe
	s_and_saveexec_b32 s33, s0
	s_delay_alu instid0(SALU_CYCLE_1)
	s_xor_b32 s0, exec_lo, s33
	s_cbranch_execz .LBB5_75
; %bb.74:
	v_add_co_u32 v8, vcc_lo, s14, v8
	s_wait_alu 0xfffd
	v_add_co_ci_u32_e64 v9, null, s15, v9, vcc_lo
	ds_load_b32 v11, v16
	global_load_b32 v10, v[8:9], off
	v_lshlrev_b64_e32 v[8:9], 2, v[12:13]
	s_delay_alu instid0(VALU_DEP_1) | instskip(SKIP_1) | instid1(VALU_DEP_2)
	v_add_co_u32 v8, vcc_lo, s20, v8
	s_wait_alu 0xfffd
	v_add_co_ci_u32_e64 v9, null, s21, v9, vcc_lo
	s_wait_loadcnt_dscnt 0x0
	v_mul_f32_e32 v10, v11, v10
	global_atomic_add_f32 v[8:9], v10, off scope:SCOPE_DEV
                                        ; implicit-def: $vgpr8_vgpr9
.LBB5_75:
	s_wait_alu 0xfffe
	s_and_not1_saveexec_b32 s0, s0
	s_cbranch_execz .LBB5_77
; %bb.76:
	v_add_co_u32 v8, vcc_lo, s14, v8
	s_wait_alu 0xfffd
	v_add_co_ci_u32_e64 v9, null, s15, v9, vcc_lo
	v_subrev_nc_u32_e32 v10, s12, v12
	global_load_b32 v8, v[8:9], off
	ds_load_b32 v9, v16
	v_lshl_add_u32 v10, v10, 2, 0x1000
	s_wait_loadcnt_dscnt 0x0
	v_mul_f32_e32 v8, v9, v8
	ds_add_f32 v10, v8
.LBB5_77:
	s_or_b32 exec_lo, exec_lo, s29
	v_lshlrev_b64_e32 v[8:9], 2, v[12:13]
	ds_load_b32 v11, v16
	v_mov_b32_e32 v12, s30
	v_cndmask_b32_e64 v18, 0, 1, s7
	v_mov_b32_e32 v13, s31
	v_add_co_u32 v8, vcc_lo, s14, v8
	s_wait_alu 0xfffd
	v_add_co_ci_u32_e64 v9, null, s15, v9, vcc_lo
	global_load_b32 v10, v[8:9], off
	v_add_co_u32 v8, vcc_lo, 0x100, v4
	s_wait_alu 0xfffd
	v_add_co_ci_u32_e64 v9, null, 0, v5, vcc_lo
	s_and_not1_b32 vcc_lo, exec_lo, s7
	s_wait_loadcnt_dscnt 0x0
	v_mul_f32_e32 v14, v10, v11
	v_dual_mov_b32 v10, s16 :: v_dual_mov_b32 v11, s17
	ds_store_b32 v16, v14
	s_wait_alu 0xfffe
	s_cbranch_vccnz .LBB5_81
; %bb.78:
	v_dual_mov_b32 v10, s16 :: v_dual_mov_b32 v11, s17
	v_dual_mov_b32 v12, s30 :: v_dual_mov_b32 v13, s31
	s_mov_b32 s7, 0
.LBB5_79:                               ; =>This Inner Loop Header: Depth=1
	s_delay_alu instid0(VALU_DEP_1) | instskip(SKIP_1) | instid1(VALU_DEP_2)
	v_add_co_u32 v14, vcc_lo, v12, v10
	s_wait_alu 0xfffd
	v_add_co_ci_u32_e64 v15, null, v13, v11, vcc_lo
	s_delay_alu instid0(VALU_DEP_1) | instskip(NEXT) | instid1(VALU_DEP_1)
	v_lshrrev_b32_e32 v19, 31, v15
	v_add_co_u32 v14, vcc_lo, v14, v19
	s_wait_alu 0xfffd
	v_add_co_ci_u32_e64 v15, null, 0, v15, vcc_lo
	s_delay_alu instid0(VALU_DEP_1) | instskip(NEXT) | instid1(VALU_DEP_1)
	v_ashrrev_i64 v[14:15], 1, v[14:15]
	v_lshlrev_b64_e32 v[19:20], 3, v[14:15]
	s_delay_alu instid0(VALU_DEP_1) | instskip(SKIP_1) | instid1(VALU_DEP_2)
	v_add_co_u32 v19, vcc_lo, s8, v19
	s_wait_alu 0xfffd
	v_add_co_ci_u32_e64 v20, null, s9, v20, vcc_lo
	global_load_b64 v[19:20], v[19:20], off
	s_wait_loadcnt 0x0
	v_sub_co_u32 v19, vcc_lo, v19, s24
	s_wait_alu 0xfffd
	v_subrev_co_ci_u32_e64 v20, null, 0, v20, vcc_lo
	s_delay_alu instid0(VALU_DEP_1) | instskip(SKIP_3) | instid1(VALU_DEP_2)
	v_cmp_lt_i64_e32 vcc_lo, v[8:9], v[19:20]
	s_wait_alu 0xfffd
	v_dual_cndmask_b32 v13, v13, v15 :: v_dual_cndmask_b32 v12, v12, v14
	v_dual_cndmask_b32 v11, v15, v11 :: v_dual_cndmask_b32 v10, v14, v10
	v_add_co_u32 v14, vcc_lo, v12, -1
	s_wait_alu 0xfffd
	s_delay_alu instid0(VALU_DEP_3) | instskip(NEXT) | instid1(VALU_DEP_3)
	v_add_co_ci_u32_e64 v15, null, -1, v13, vcc_lo
	v_cmp_ge_i64_e32 vcc_lo, v[10:11], v[12:13]
	s_delay_alu instid0(VALU_DEP_2)
	v_cmp_eq_u64_e64 s0, v[10:11], v[14:15]
	s_or_b32 s0, vcc_lo, s0
	s_wait_alu 0xfffe
	s_and_b32 s0, exec_lo, s0
	s_wait_alu 0xfffe
	s_or_b32 s7, s0, s7
	s_wait_alu 0xfffe
	s_and_not1_b32 exec_lo, exec_lo, s7
	s_cbranch_execnz .LBB5_79
; %bb.80:
	s_or_b32 exec_lo, exec_lo, s7
.LBB5_81:
	v_lshlrev_b64_e32 v[14:15], 3, v[12:13]
	s_mov_b32 s7, exec_lo
	s_delay_alu instid0(VALU_DEP_1) | instskip(SKIP_1) | instid1(VALU_DEP_2)
	v_add_co_u32 v14, vcc_lo, s8, v14
	s_wait_alu 0xfffd
	v_add_co_ci_u32_e64 v15, null, s9, v15, vcc_lo
	global_load_b64 v[14:15], v[14:15], off
	global_load_b32 v19, v[6:7], off offset:1024
	s_wait_loadcnt 0x1
	v_sub_co_u32 v14, vcc_lo, v14, s24
	s_wait_alu 0xfffd
	v_subrev_co_ci_u32_e64 v15, null, 0, v15, vcc_lo
	s_delay_alu instid0(VALU_DEP_1) | instskip(SKIP_2) | instid1(VALU_DEP_1)
	v_cmp_lt_i64_e32 vcc_lo, v[8:9], v[14:15]
	s_wait_loadcnt 0x0
	v_subrev_nc_u32_e32 v14, s24, v19
	v_ashrrev_i32_e32 v15, 31, v14
	s_wait_alu 0xfffd
	v_dual_cndmask_b32 v11, v13, v11 :: v_dual_cndmask_b32 v10, v12, v10
	s_delay_alu instid0(VALU_DEP_1)
	v_cmpx_ne_u64_e64 v[10:11], v[14:15]
	s_cbranch_execz .LBB5_87
; %bb.82:
	s_load_b64 s[34:35], s[10:11], 0x0
	s_wait_kmcnt 0x0
	s_sub_nc_u64 s[34:35], s[34:35], s[24:25]
	s_wait_alu 0xfffe
	v_cmp_gt_i64_e32 vcc_lo, s[34:35], v[8:9]
	s_and_b32 exec_lo, exec_lo, vcc_lo
	s_cbranch_execz .LBB5_87
; %bb.83:
	v_cmp_gt_i64_e32 vcc_lo, s[12:13], v[14:15]
	v_cmp_le_i64_e64 s0, s[18:19], v[14:15]
	v_lshlrev_b64_e32 v[8:9], 2, v[10:11]
	s_or_b32 s0, vcc_lo, s0
	s_wait_alu 0xfffe
	s_and_saveexec_b32 s29, s0
	s_wait_alu 0xfffe
	s_xor_b32 s0, exec_lo, s29
	s_cbranch_execz .LBB5_85
; %bb.84:
	v_add_co_u32 v8, vcc_lo, s14, v8
	s_wait_alu 0xfffd
	v_add_co_ci_u32_e64 v9, null, s15, v9, vcc_lo
	ds_load_b32 v11, v16 offset:1024
	global_load_b32 v10, v[8:9], off
	v_lshlrev_b64_e32 v[8:9], 2, v[14:15]
	s_delay_alu instid0(VALU_DEP_1) | instskip(SKIP_1) | instid1(VALU_DEP_2)
	v_add_co_u32 v8, vcc_lo, s20, v8
	s_wait_alu 0xfffd
	v_add_co_ci_u32_e64 v9, null, s21, v9, vcc_lo
	s_wait_loadcnt_dscnt 0x0
	v_mul_f32_e32 v10, v11, v10
	global_atomic_add_f32 v[8:9], v10, off scope:SCOPE_DEV
                                        ; implicit-def: $vgpr8_vgpr9
.LBB5_85:
	s_wait_alu 0xfffe
	s_and_not1_saveexec_b32 s0, s0
	s_cbranch_execz .LBB5_87
; %bb.86:
	v_add_co_u32 v8, vcc_lo, s14, v8
	s_wait_alu 0xfffd
	v_add_co_ci_u32_e64 v9, null, s15, v9, vcc_lo
	v_subrev_nc_u32_e32 v10, s12, v14
	global_load_b32 v8, v[8:9], off
	ds_load_b32 v9, v16 offset:1024
	v_lshl_add_u32 v10, v10, 2, 0x1000
	s_wait_loadcnt_dscnt 0x0
	v_mul_f32_e32 v8, v9, v8
	ds_add_f32 v10, v8
.LBB5_87:
	s_wait_alu 0xfffe
	s_or_b32 exec_lo, exec_lo, s7
	v_lshlrev_b64_e32 v[8:9], 2, v[14:15]
	v_dual_mov_b32 v10, s30 :: v_dual_mov_b32 v11, s31
	s_delay_alu instid0(VALU_DEP_2) | instskip(SKIP_1) | instid1(VALU_DEP_3)
	v_add_co_u32 v8, vcc_lo, s14, v8
	s_wait_alu 0xfffd
	v_add_co_ci_u32_e64 v9, null, s15, v9, vcc_lo
	v_add_co_u32 v4, vcc_lo, 0x200, v4
	s_wait_alu 0xfffd
	v_add_co_ci_u32_e64 v5, null, 0, v5, vcc_lo
	global_load_b32 v8, v[8:9], off
	ds_load_b32 v9, v16 offset:1024
	v_cmp_ne_u32_e32 vcc_lo, 1, v18
	s_and_b32 vcc_lo, exec_lo, vcc_lo
	s_wait_loadcnt_dscnt 0x0
	v_mul_f32_e32 v12, v8, v9
	v_dual_mov_b32 v8, s16 :: v_dual_mov_b32 v9, s17
	ds_store_b32 v16, v12 offset:1024
	s_wait_alu 0xfffe
	s_cbranch_vccnz .LBB5_91
; %bb.88:
	v_dual_mov_b32 v8, s16 :: v_dual_mov_b32 v9, s17
	v_dual_mov_b32 v10, s30 :: v_dual_mov_b32 v11, s31
	s_mov_b32 s7, 0
.LBB5_89:                               ; =>This Inner Loop Header: Depth=1
	s_delay_alu instid0(VALU_DEP_1) | instskip(SKIP_1) | instid1(VALU_DEP_2)
	v_add_co_u32 v12, vcc_lo, v10, v8
	s_wait_alu 0xfffd
	v_add_co_ci_u32_e64 v13, null, v11, v9, vcc_lo
	s_delay_alu instid0(VALU_DEP_1) | instskip(NEXT) | instid1(VALU_DEP_1)
	v_lshrrev_b32_e32 v14, 31, v13
	v_add_co_u32 v12, vcc_lo, v12, v14
	s_wait_alu 0xfffd
	v_add_co_ci_u32_e64 v13, null, 0, v13, vcc_lo
	s_delay_alu instid0(VALU_DEP_1) | instskip(NEXT) | instid1(VALU_DEP_1)
	v_ashrrev_i64 v[12:13], 1, v[12:13]
	v_lshlrev_b64_e32 v[14:15], 3, v[12:13]
	s_delay_alu instid0(VALU_DEP_1) | instskip(SKIP_1) | instid1(VALU_DEP_2)
	v_add_co_u32 v14, vcc_lo, s8, v14
	s_wait_alu 0xfffd
	v_add_co_ci_u32_e64 v15, null, s9, v15, vcc_lo
	global_load_b64 v[14:15], v[14:15], off
	s_wait_loadcnt 0x0
	v_sub_co_u32 v14, vcc_lo, v14, s24
	s_wait_alu 0xfffd
	v_subrev_co_ci_u32_e64 v15, null, 0, v15, vcc_lo
	s_delay_alu instid0(VALU_DEP_1) | instskip(SKIP_3) | instid1(VALU_DEP_2)
	v_cmp_lt_i64_e32 vcc_lo, v[4:5], v[14:15]
	s_wait_alu 0xfffd
	v_dual_cndmask_b32 v11, v11, v13 :: v_dual_cndmask_b32 v10, v10, v12
	v_dual_cndmask_b32 v9, v13, v9 :: v_dual_cndmask_b32 v8, v12, v8
	v_add_co_u32 v12, vcc_lo, v10, -1
	s_wait_alu 0xfffd
	s_delay_alu instid0(VALU_DEP_3) | instskip(NEXT) | instid1(VALU_DEP_3)
	v_add_co_ci_u32_e64 v13, null, -1, v11, vcc_lo
	v_cmp_ge_i64_e32 vcc_lo, v[8:9], v[10:11]
	s_delay_alu instid0(VALU_DEP_2)
	v_cmp_eq_u64_e64 s0, v[8:9], v[12:13]
	s_or_b32 s0, vcc_lo, s0
	s_wait_alu 0xfffe
	s_and_b32 s0, exec_lo, s0
	s_wait_alu 0xfffe
	s_or_b32 s7, s0, s7
	s_wait_alu 0xfffe
	s_and_not1_b32 exec_lo, exec_lo, s7
	s_cbranch_execnz .LBB5_89
; %bb.90:
	s_or_b32 exec_lo, exec_lo, s7
.LBB5_91:
	v_lshlrev_b64_e32 v[12:13], 3, v[10:11]
	s_mov_b32 s7, exec_lo
	s_delay_alu instid0(VALU_DEP_1) | instskip(SKIP_1) | instid1(VALU_DEP_2)
	v_add_co_u32 v12, vcc_lo, s8, v12
	s_wait_alu 0xfffd
	v_add_co_ci_u32_e64 v13, null, s9, v13, vcc_lo
	global_load_b64 v[12:13], v[12:13], off
	global_load_b32 v14, v[6:7], off offset:2048
	s_wait_loadcnt 0x1
	v_sub_co_u32 v12, vcc_lo, v12, s24
	s_wait_alu 0xfffd
	v_subrev_co_ci_u32_e64 v13, null, 0, v13, vcc_lo
	s_delay_alu instid0(VALU_DEP_1) | instskip(SKIP_2) | instid1(VALU_DEP_1)
	v_cmp_lt_i64_e32 vcc_lo, v[4:5], v[12:13]
	s_wait_loadcnt 0x0
	v_subrev_nc_u32_e32 v12, s24, v14
	v_ashrrev_i32_e32 v13, 31, v12
	s_wait_alu 0xfffd
	v_dual_cndmask_b32 v9, v11, v9 :: v_dual_cndmask_b32 v8, v10, v8
	s_delay_alu instid0(VALU_DEP_1)
	v_cmpx_ne_u64_e64 v[8:9], v[12:13]
	s_cbranch_execz .LBB5_97
; %bb.92:
	s_load_b64 s[34:35], s[10:11], 0x0
	s_wait_kmcnt 0x0
	s_sub_nc_u64 s[34:35], s[34:35], s[24:25]
	s_wait_alu 0xfffe
	v_cmp_gt_i64_e32 vcc_lo, s[34:35], v[4:5]
	s_and_b32 exec_lo, exec_lo, vcc_lo
	s_cbranch_execz .LBB5_97
; %bb.93:
	v_cmp_gt_i64_e32 vcc_lo, s[12:13], v[12:13]
	v_cmp_le_i64_e64 s0, s[18:19], v[12:13]
	v_lshlrev_b64_e32 v[4:5], 2, v[8:9]
	s_or_b32 s0, vcc_lo, s0
	s_wait_alu 0xfffe
	s_and_saveexec_b32 s29, s0
	s_wait_alu 0xfffe
	s_xor_b32 s0, exec_lo, s29
	s_cbranch_execz .LBB5_95
; %bb.94:
	v_add_co_u32 v4, vcc_lo, s14, v4
	s_wait_alu 0xfffd
	v_add_co_ci_u32_e64 v5, null, s15, v5, vcc_lo
	ds_load_b32 v9, v16 offset:2048
	global_load_b32 v8, v[4:5], off
	v_lshlrev_b64_e32 v[4:5], 2, v[12:13]
	s_delay_alu instid0(VALU_DEP_1) | instskip(SKIP_1) | instid1(VALU_DEP_2)
	v_add_co_u32 v4, vcc_lo, s20, v4
	s_wait_alu 0xfffd
	v_add_co_ci_u32_e64 v5, null, s21, v5, vcc_lo
	s_wait_loadcnt_dscnt 0x0
	v_mul_f32_e32 v8, v9, v8
	global_atomic_add_f32 v[4:5], v8, off scope:SCOPE_DEV
                                        ; implicit-def: $vgpr4_vgpr5
.LBB5_95:
	s_wait_alu 0xfffe
	s_and_not1_saveexec_b32 s0, s0
	s_cbranch_execz .LBB5_97
; %bb.96:
	v_add_co_u32 v4, vcc_lo, s14, v4
	s_wait_alu 0xfffd
	v_add_co_ci_u32_e64 v5, null, s15, v5, vcc_lo
	v_subrev_nc_u32_e32 v8, s12, v12
	global_load_b32 v4, v[4:5], off
	ds_load_b32 v5, v16 offset:2048
	v_lshl_add_u32 v8, v8, 2, 0x1000
	s_wait_loadcnt_dscnt 0x0
	v_mul_f32_e32 v4, v5, v4
	ds_add_f32 v8, v4
.LBB5_97:
	s_wait_alu 0xfffe
	s_or_b32 exec_lo, exec_lo, s7
	v_lshlrev_b64_e32 v[4:5], 2, v[12:13]
	v_dual_mov_b32 v8, s30 :: v_dual_mov_b32 v9, s31
	s_delay_alu instid0(VALU_DEP_2) | instskip(SKIP_1) | instid1(VALU_DEP_3)
	v_add_co_u32 v4, vcc_lo, s14, v4
	s_wait_alu 0xfffd
	v_add_co_ci_u32_e64 v5, null, s15, v5, vcc_lo
	v_cmp_ne_u32_e32 vcc_lo, 1, v18
	global_load_b32 v4, v[4:5], off
	ds_load_b32 v5, v16 offset:2048
	s_and_b32 vcc_lo, exec_lo, vcc_lo
	s_wait_loadcnt_dscnt 0x0
	v_mul_f32_e32 v10, v4, v5
	v_dual_mov_b32 v4, s16 :: v_dual_mov_b32 v5, s17
	ds_store_b32 v16, v10 offset:2048
	s_wait_alu 0xfffe
	s_cbranch_vccnz .LBB5_101
; %bb.98:
	v_dual_mov_b32 v4, s16 :: v_dual_mov_b32 v5, s17
	v_dual_mov_b32 v8, s30 :: v_dual_mov_b32 v9, s31
	s_mov_b32 s7, 0
.LBB5_99:                               ; =>This Inner Loop Header: Depth=1
	s_delay_alu instid0(VALU_DEP_1) | instskip(SKIP_1) | instid1(VALU_DEP_2)
	v_add_co_u32 v10, vcc_lo, v8, v4
	s_wait_alu 0xfffd
	v_add_co_ci_u32_e64 v11, null, v9, v5, vcc_lo
	s_delay_alu instid0(VALU_DEP_1) | instskip(NEXT) | instid1(VALU_DEP_1)
	v_lshrrev_b32_e32 v12, 31, v11
	v_add_co_u32 v10, vcc_lo, v10, v12
	s_wait_alu 0xfffd
	v_add_co_ci_u32_e64 v11, null, 0, v11, vcc_lo
	s_delay_alu instid0(VALU_DEP_1) | instskip(NEXT) | instid1(VALU_DEP_1)
	v_ashrrev_i64 v[10:11], 1, v[10:11]
	v_lshlrev_b64_e32 v[12:13], 3, v[10:11]
	s_delay_alu instid0(VALU_DEP_1) | instskip(SKIP_1) | instid1(VALU_DEP_2)
	v_add_co_u32 v12, vcc_lo, s8, v12
	s_wait_alu 0xfffd
	v_add_co_ci_u32_e64 v13, null, s9, v13, vcc_lo
	global_load_b64 v[12:13], v[12:13], off
	s_wait_loadcnt 0x0
	v_sub_co_u32 v12, vcc_lo, v12, s24
	s_wait_alu 0xfffd
	v_subrev_co_ci_u32_e64 v13, null, 0, v13, vcc_lo
	s_delay_alu instid0(VALU_DEP_1) | instskip(SKIP_3) | instid1(VALU_DEP_2)
	v_cmp_lt_i64_e32 vcc_lo, v[2:3], v[12:13]
	s_wait_alu 0xfffd
	v_dual_cndmask_b32 v9, v9, v11 :: v_dual_cndmask_b32 v8, v8, v10
	v_dual_cndmask_b32 v5, v11, v5 :: v_dual_cndmask_b32 v4, v10, v4
	v_add_co_u32 v10, vcc_lo, v8, -1
	s_wait_alu 0xfffd
	s_delay_alu instid0(VALU_DEP_3) | instskip(NEXT) | instid1(VALU_DEP_3)
	v_add_co_ci_u32_e64 v11, null, -1, v9, vcc_lo
	v_cmp_ge_i64_e32 vcc_lo, v[4:5], v[8:9]
	s_delay_alu instid0(VALU_DEP_2)
	v_cmp_eq_u64_e64 s0, v[4:5], v[10:11]
	s_or_b32 s0, vcc_lo, s0
	s_wait_alu 0xfffe
	s_and_b32 s0, exec_lo, s0
	s_wait_alu 0xfffe
	s_or_b32 s7, s0, s7
	s_wait_alu 0xfffe
	s_and_not1_b32 exec_lo, exec_lo, s7
	s_cbranch_execnz .LBB5_99
; %bb.100:
	s_or_b32 exec_lo, exec_lo, s7
.LBB5_101:
	v_lshlrev_b64_e32 v[10:11], 3, v[8:9]
	s_mov_b32 s7, exec_lo
	s_delay_alu instid0(VALU_DEP_1) | instskip(SKIP_1) | instid1(VALU_DEP_2)
	v_add_co_u32 v10, vcc_lo, s8, v10
	s_wait_alu 0xfffd
	v_add_co_ci_u32_e64 v11, null, s9, v11, vcc_lo
	global_load_b64 v[10:11], v[10:11], off
	global_load_b32 v12, v[6:7], off offset:3072
	s_wait_loadcnt 0x1
	v_sub_co_u32 v6, vcc_lo, v10, s24
	s_wait_alu 0xfffd
	v_subrev_co_ci_u32_e64 v7, null, 0, v11, vcc_lo
	s_delay_alu instid0(VALU_DEP_1) | instskip(SKIP_2) | instid1(VALU_DEP_1)
	v_cmp_lt_i64_e32 vcc_lo, v[2:3], v[6:7]
	s_wait_loadcnt 0x0
	v_subrev_nc_u32_e32 v6, s24, v12
	v_ashrrev_i32_e32 v7, 31, v6
	s_wait_alu 0xfffd
	v_dual_cndmask_b32 v5, v9, v5 :: v_dual_cndmask_b32 v4, v8, v4
	s_delay_alu instid0(VALU_DEP_1)
	v_cmpx_ne_u64_e64 v[4:5], v[6:7]
	s_cbranch_execz .LBB5_107
; %bb.102:
	s_load_b64 s[10:11], s[10:11], 0x0
	s_wait_kmcnt 0x0
	s_sub_nc_u64 s[10:11], s[10:11], s[24:25]
	s_wait_alu 0xfffe
	v_cmp_gt_i64_e32 vcc_lo, s[10:11], v[2:3]
	s_and_b32 exec_lo, exec_lo, vcc_lo
	s_cbranch_execz .LBB5_107
; %bb.103:
	v_cmp_gt_i64_e32 vcc_lo, s[12:13], v[6:7]
	v_cmp_le_i64_e64 s0, s[18:19], v[6:7]
	v_lshlrev_b64_e32 v[2:3], 2, v[4:5]
	s_or_b32 s0, vcc_lo, s0
	s_wait_alu 0xfffe
	s_and_saveexec_b32 s10, s0
	s_wait_alu 0xfffe
	s_xor_b32 s0, exec_lo, s10
	s_cbranch_execz .LBB5_105
; %bb.104:
	v_add_co_u32 v2, vcc_lo, s14, v2
	s_wait_alu 0xfffd
	v_add_co_ci_u32_e64 v3, null, s15, v3, vcc_lo
	ds_load_b32 v5, v16 offset:3072
	global_load_b32 v4, v[2:3], off
	v_lshlrev_b64_e32 v[2:3], 2, v[6:7]
	s_delay_alu instid0(VALU_DEP_1) | instskip(SKIP_1) | instid1(VALU_DEP_2)
	v_add_co_u32 v2, vcc_lo, s20, v2
	s_wait_alu 0xfffd
	v_add_co_ci_u32_e64 v3, null, s21, v3, vcc_lo
	s_wait_loadcnt_dscnt 0x0
	v_mul_f32_e32 v4, v5, v4
	global_atomic_add_f32 v[2:3], v4, off scope:SCOPE_DEV
                                        ; implicit-def: $vgpr2_vgpr3
.LBB5_105:
	s_wait_alu 0xfffe
	s_and_not1_saveexec_b32 s0, s0
	s_cbranch_execz .LBB5_107
; %bb.106:
	v_add_co_u32 v2, vcc_lo, s14, v2
	s_wait_alu 0xfffd
	v_add_co_ci_u32_e64 v3, null, s15, v3, vcc_lo
	v_subrev_nc_u32_e32 v4, s12, v6
	global_load_b32 v2, v[2:3], off
	ds_load_b32 v3, v16 offset:3072
	v_lshl_add_u32 v4, v4, 2, 0x1000
	s_wait_loadcnt_dscnt 0x0
	v_mul_f32_e32 v2, v3, v2
	ds_add_f32 v4, v2
.LBB5_107:
	s_wait_alu 0xfffe
	s_or_b32 exec_lo, exec_lo, s7
	v_lshlrev_b64_e32 v[2:3], 2, v[6:7]
	s_delay_alu instid0(VALU_DEP_1) | instskip(SKIP_1) | instid1(VALU_DEP_2)
	v_add_co_u32 v2, vcc_lo, s14, v2
	s_wait_alu 0xfffd
	v_add_co_ci_u32_e64 v3, null, s15, v3, vcc_lo
	global_load_b32 v2, v[2:3], off
	ds_load_b32 v3, v16 offset:3072
	s_wait_loadcnt_dscnt 0x0
	v_mul_f32_e32 v2, v2, v3
	ds_store_b32 v16, v2 offset:3072
.LBB5_108:
	s_wait_alu 0xfffe
	s_or_b32 exec_lo, exec_lo, s1
	v_cmp_lt_i64_e64 s0, s[18:19], s[2:3]
	s_mov_b32 s1, exec_lo
	s_wait_storecnt 0x0
	s_wait_loadcnt_dscnt 0x0
	s_barrier_signal -1
	s_barrier_wait -1
	global_inv scope:SCOPE_SE
	s_and_b32 s0, s0, exec_lo
	s_cselect_b32 s13, s19, s3
	s_cselect_b32 s12, s18, s2
	s_wait_alu 0xfffe
	s_sub_nc_u64 s[10:11], s[12:13], s[22:23]
	s_wait_alu 0xfffe
	v_cmpx_gt_i64_e64 s[10:11], v[0:1]
	s_cbranch_execz .LBB5_111
; %bb.109:
	v_cmp_gt_i64_e64 s0, s[18:19], s[2:3]
	v_dual_mov_b32 v5, v1 :: v_dual_lshlrev_b32 v2, 2, v0
	v_mov_b32_e32 v4, v0
	s_and_b32 s0, s0, exec_lo
	s_cselect_b32 s15, s19, s3
	s_cselect_b32 s14, s18, s2
	s_lshl_b64 s[2:3], s[2:3], 2
	s_wait_alu 0xfffe
	s_lshl_b64 s[14:15], s[14:15], 2
	s_wait_alu 0xfffe
	v_add_co_u32 v2, s0, s14, v2
	s_wait_alu 0xf1ff
	v_add_co_ci_u32_e64 v3, null, s15, 0, s0
	s_delay_alu instid0(VALU_DEP_2) | instskip(SKIP_1) | instid1(VALU_DEP_2)
	v_sub_co_u32 v2, vcc_lo, v2, s2
	s_wait_alu 0xfffd
	v_subrev_co_ci_u32_e64 v3, null, s3, v3, vcc_lo
	s_mov_b32 s2, 0
	v_add_co_u32 v2, vcc_lo, s20, v2
	s_wait_alu 0xfffd
	v_add_co_ci_u32_e64 v3, null, s21, v3, vcc_lo
.LBB5_110:                              ; =>This Inner Loop Header: Depth=1
	ds_load_b32 v6, v17
	v_add_co_u32 v4, vcc_lo, 0x100, v4
	s_wait_alu 0xfffd
	v_add_co_ci_u32_e64 v5, null, 0, v5, vcc_lo
	v_add_nc_u32_e32 v17, 0x400, v17
	s_delay_alu instid0(VALU_DEP_2)
	v_cmp_le_i64_e32 vcc_lo, s[10:11], v[4:5]
	s_wait_alu 0xfffe
	s_or_b32 s2, vcc_lo, s2
	s_wait_dscnt 0x0
	global_atomic_add_f32 v[2:3], v6, off scope:SCOPE_DEV
	v_add_co_u32 v2, s0, 0x400, v2
	s_wait_alu 0xf1ff
	v_add_co_ci_u32_e64 v3, null, 0, v3, s0
	s_wait_alu 0xfffe
	s_and_not1_b32 exec_lo, exec_lo, s2
	s_cbranch_execnz .LBB5_110
.LBB5_111:
	s_or_b32 exec_lo, exec_lo, s1
	s_add_co_i32 s0, s28, -1
	v_add_co_u32 v6, s2, s16, v0
	s_wait_alu 0xfffe
	s_ashr_i32 s1, s0, 1
	v_add_co_ci_u32_e64 v7, null, s17, 0, s2
	s_wait_alu 0xfffe
	s_or_b32 s0, s1, s0
	s_wait_loadcnt 0x0
	s_wait_storecnt 0x0
	s_wait_alu 0xfffe
	s_ashr_i32 s1, s0, 2
	s_barrier_signal -1
	s_wait_alu 0xfffe
	s_or_b32 s0, s1, s0
	s_barrier_wait -1
	s_wait_alu 0xfffe
	s_ashr_i32 s1, s0, 4
	global_inv scope:SCOPE_SE
	s_wait_alu 0xfffe
	s_or_b32 s0, s1, s0
	s_wait_alu 0xfffe
	s_ashr_i32 s1, s0, 8
	s_wait_alu 0xfffe
	s_or_b32 s0, s1, s0
	s_wait_alu 0xfffe
	s_ashr_i32 s1, s0, 16
	s_wait_alu 0xfffe
	s_or_b32 s1, s1, s0
	s_mov_b32 s0, -1
	s_wait_alu 0xfffe
	s_add_co_i32 s1, s1, 1
	s_wait_alu 0xfffe
	s_ashr_i32 s2, s1, 1
	s_wait_alu 0xfffe
	s_cmp_gt_i32 s2, 1
	s_cbranch_scc1 .LBB5_120
; %bb.112:
	s_mov_b32 s0, exec_lo
	v_cmpx_gt_i64_e64 s[18:19], v[6:7]
	s_cbranch_execz .LBB5_119
; %bb.113:
	s_sub_co_i32 s1, s12, s18
	v_dual_mov_b32 v9, v7 :: v_dual_mov_b32 v8, v6
	s_lshl_b32 s7, s4, 2
	s_wait_alu 0xfffe
	s_lshl_b32 s1, s1, 2
	s_mov_b32 s3, 0
	s_wait_alu 0xfffe
	s_addk_co_i32 s1, 0x1000
	s_sub_co_i32 s7, 0, s7
	s_branch .LBB5_115
.LBB5_114:                              ;   in Loop: Header=BB5_115 Depth=1
	s_wait_alu 0xfffe
	s_or_b32 exec_lo, exec_lo, s11
	v_lshl_add_u32 v2, v8, 2, s1
	ds_load_b32 v4, v2
	v_lshlrev_b64_e32 v[2:3], 2, v[8:9]
	s_delay_alu instid0(VALU_DEP_1) | instskip(SKIP_1) | instid1(VALU_DEP_2)
	v_add_co_u32 v2, vcc_lo, s20, v2
	s_wait_alu 0xfffd
	v_add_co_ci_u32_e64 v3, null, s21, v3, vcc_lo
	v_add_co_u32 v8, vcc_lo, v8, s6
	s_wait_alu 0xfffd
	v_add_co_ci_u32_e64 v9, null, 0, v9, vcc_lo
	s_delay_alu instid0(VALU_DEP_1)
	v_cmp_le_i64_e32 vcc_lo, s[18:19], v[8:9]
	s_wait_dscnt 0x0
	v_add_f32_e32 v4, v12, v4
	s_or_b32 s3, vcc_lo, s3
	global_atomic_add_f32 v[2:3], v4, off scope:SCOPE_DEV
	s_wait_alu 0xfffe
	s_and_not1_b32 exec_lo, exec_lo, s3
	s_cbranch_execz .LBB5_119
.LBB5_115:                              ; =>This Loop Header: Depth=1
                                        ;     Child Loop BB5_117 Depth 2
	v_lshlrev_b64_e32 v[2:3], 3, v[8:9]
	v_mov_b32_e32 v12, 0
	s_mov_b32 s11, exec_lo
	s_delay_alu instid0(VALU_DEP_2) | instskip(SKIP_1) | instid1(VALU_DEP_3)
	v_add_co_u32 v2, vcc_lo, s8, v2
	s_wait_alu 0xfffd
	v_add_co_ci_u32_e64 v3, null, s9, v3, vcc_lo
	global_load_b128 v[2:5], v[2:3], off
	s_wait_loadcnt 0x0
	v_cmpx_lt_i64_e64 v[2:3], v[4:5]
	s_cbranch_execz .LBB5_114
; %bb.116:                              ;   in Loop: Header=BB5_115 Depth=1
	v_sub_co_u32 v4, vcc_lo, v4, s4
	s_wait_alu 0xfffd
	v_subrev_co_ci_u32_e64 v5, null, s5, v5, vcc_lo
	v_sub_co_u32 v10, vcc_lo, v2, s4
	s_wait_alu 0xfffd
	v_subrev_co_ci_u32_e64 v11, null, s5, v3, vcc_lo
	s_wait_alu 0xfffe
	v_lshl_add_u32 v2, v2, 2, s7
	v_mov_b32_e32 v12, 0
	s_mov_b32 s12, 0
.LBB5_117:                              ;   Parent Loop BB5_115 Depth=1
                                        ; =>  This Inner Loop Header: Depth=2
	ds_load_b32 v3, v2
	v_add_co_u32 v10, vcc_lo, v10, 1
	s_wait_alu 0xfffd
	v_add_co_ci_u32_e64 v11, null, 0, v11, vcc_lo
	v_add_nc_u32_e32 v2, 4, v2
	s_delay_alu instid0(VALU_DEP_2)
	v_cmp_ge_i64_e32 vcc_lo, v[10:11], v[4:5]
	s_wait_alu 0xfffe
	s_or_b32 s12, vcc_lo, s12
	s_wait_dscnt 0x0
	v_add_f32_e32 v12, v12, v3
	s_wait_alu 0xfffe
	s_and_not1_b32 exec_lo, exec_lo, s12
	s_cbranch_execnz .LBB5_117
; %bb.118:                              ;   in Loop: Header=BB5_115 Depth=1
	s_or_b32 exec_lo, exec_lo, s12
	s_branch .LBB5_114
.LBB5_119:
	s_wait_alu 0xfffe
	s_or_b32 exec_lo, exec_lo, s0
	s_mov_b32 s0, 0
.LBB5_120:
	s_wait_alu 0xfffe
	s_and_not1_b32 vcc_lo, exec_lo, s0
	s_wait_alu 0xfffe
	s_cbranch_vccnz .LBB5_137
; %bb.121:
	s_cvt_f32_u32 s0, s2
	s_sub_co_i32 s1, 0, s2
	s_wait_alu 0xfffe
	s_delay_alu instid0(SALU_CYCLE_1) | instskip(NEXT) | instid1(TRANS32_DEP_1)
	v_rcp_iflag_f32_e32 v2, s0
	v_readfirstlane_b32 s0, v2
	s_mul_f32 s0, s0, 0x4f7ffffe
	s_wait_alu 0xfffe
	s_delay_alu instid0(SALU_CYCLE_2) | instskip(SKIP_1) | instid1(SALU_CYCLE_2)
	s_cvt_u32_f32 s0, s0
	s_wait_alu 0xfffe
	s_mul_i32 s3, s1, s0
	s_wait_alu 0xfffe
	s_mul_hi_u32 s3, s0, s3
	s_wait_alu 0xfffe
	s_add_co_i32 s0, s0, s3
	s_mov_b32 s3, 0
	s_wait_alu 0xfffe
	v_mul_hi_u32 v2, v0, s0
	s_mov_b32 s0, exec_lo
	s_delay_alu instid0(VALU_DEP_1) | instskip(NEXT) | instid1(VALU_DEP_1)
	v_mul_lo_u32 v3, v2, s2
	v_sub_nc_u32_e32 v3, v0, v3
	s_delay_alu instid0(VALU_DEP_1) | instskip(SKIP_2) | instid1(VALU_DEP_2)
	v_subrev_nc_u32_e32 v5, s2, v3
	v_cmp_le_u32_e32 vcc_lo, s2, v3
	s_wait_alu 0xfffd
	v_dual_cndmask_b32 v3, v3, v5 :: v_dual_add_nc_u32 v4, 1, v2
	s_delay_alu instid0(VALU_DEP_1) | instskip(NEXT) | instid1(VALU_DEP_2)
	v_dual_cndmask_b32 v2, v2, v4 :: v_dual_mov_b32 v5, 0
	v_cmp_le_u32_e32 vcc_lo, s2, v3
	s_delay_alu instid0(VALU_DEP_2) | instskip(SKIP_1) | instid1(VALU_DEP_1)
	v_add_nc_u32_e32 v4, 1, v2
	s_wait_alu 0xfffd
	v_cndmask_b32_e32 v4, v2, v4, vcc_lo
	s_delay_alu instid0(VALU_DEP_1) | instskip(NEXT) | instid1(VALU_DEP_1)
	v_lshlrev_b64_e32 v[2:3], 3, v[4:5]
	v_add_co_u32 v2, vcc_lo, s26, v2
	s_wait_alu 0xfffd
	s_delay_alu instid0(VALU_DEP_2)
	v_add_co_ci_u32_e64 v3, null, s27, v3, vcc_lo
	global_load_b128 v[8:11], v[2:3], off
	s_wait_loadcnt 0x0
	v_sub_co_u32 v2, vcc_lo, v8, s4
	s_wait_alu 0xfffd
	v_subrev_co_ci_u32_e64 v3, null, s5, v9, vcc_lo
	v_sub_co_u32 v12, vcc_lo, v10, s4
	s_wait_alu 0xfffd
	v_subrev_co_ci_u32_e64 v13, null, s5, v11, vcc_lo
	v_mov_b32_e32 v8, v5
	s_delay_alu instid0(VALU_DEP_3) | instskip(SKIP_1) | instid1(VALU_DEP_3)
	v_sub_co_u32 v14, vcc_lo, v12, v2
	s_wait_alu 0xfffd
	v_sub_co_ci_u32_e64 v9, null, v13, v3, vcc_lo
                                        ; implicit-def: $vgpr10_vgpr11
	s_delay_alu instid0(VALU_DEP_1)
	v_cmpx_ne_u64_e32 0, v[8:9]
	s_wait_alu 0xfffe
	s_xor_b32 s6, exec_lo, s0
	s_cbranch_execz .LBB5_123
; %bb.122:
	s_add_nc_u64 s[4:5], s[2:3], 0
	s_mov_b32 s15, s3
	s_wait_alu 0xfffe
	s_xor_b64 s[4:5], s[4:5], 0
	s_mov_b32 s19, s3
	s_wait_alu 0xfffe
	s_cvt_f32_u32 s0, s4
	s_cvt_f32_u32 s7, s5
	s_sub_nc_u64 s[12:13], 0, s[4:5]
	v_ashrrev_i32_e32 v17, 31, v9
	s_wait_alu 0xfffe
	s_fmamk_f32 s0, s7, 0x4f800000, s0
	s_delay_alu instid0(VALU_DEP_1) | instskip(SKIP_1) | instid1(SALU_CYCLE_1)
	v_add_co_u32 v8, vcc_lo, v14, v17
	s_wait_alu 0xfffe
	v_s_rcp_f32 s0, s0
	s_wait_alu 0xfffd
	v_add_co_ci_u32_e64 v9, null, v9, v17, vcc_lo
	v_xor_b32_e32 v18, v8, v17
	s_delay_alu instid0(VALU_DEP_2) | instskip(NEXT) | instid1(TRANS32_DEP_1)
	v_xor_b32_e32 v19, v9, v17
	s_mul_f32 s0, s0, 0x5f7ffffc
	s_wait_alu 0xfffe
	s_delay_alu instid0(SALU_CYCLE_2) | instskip(SKIP_1) | instid1(SALU_CYCLE_2)
	s_mul_f32 s7, s0, 0x2f800000
	s_wait_alu 0xfffe
	s_trunc_f32 s7, s7
	s_wait_alu 0xfffe
	s_delay_alu instid0(SALU_CYCLE_2) | instskip(SKIP_2) | instid1(SALU_CYCLE_1)
	s_fmamk_f32 s0, s7, 0xcf800000, s0
	s_cvt_u32_f32 s9, s7
	s_wait_alu 0xfffe
	s_cvt_u32_f32 s8, s0
	s_wait_alu 0xfffe
	s_delay_alu instid0(SALU_CYCLE_2)
	s_mul_u64 s[16:17], s[12:13], s[8:9]
	s_wait_alu 0xfffe
	s_mul_hi_u32 s25, s8, s17
	s_mul_i32 s24, s8, s17
	s_mul_hi_u32 s14, s8, s16
	s_mul_i32 s7, s9, s16
	s_wait_alu 0xfffe
	s_add_nc_u64 s[14:15], s[14:15], s[24:25]
	s_mul_hi_u32 s0, s9, s16
	s_mul_hi_u32 s11, s9, s17
	s_wait_alu 0xfffe
	s_add_co_u32 s7, s14, s7
	s_add_co_ci_u32 s18, s15, s0
	s_mul_i32 s16, s9, s17
	s_add_co_ci_u32 s17, s11, 0
	s_wait_alu 0xfffe
	s_add_nc_u64 s[14:15], s[18:19], s[16:17]
	s_mov_b32 s17, s3
	s_wait_alu 0xfffe
	s_add_co_u32 s8, s8, s14
	s_cselect_b32 s0, -1, 0
	s_wait_alu 0xfffe
	s_cmp_lg_u32 s0, 0
	s_add_co_ci_u32 s9, s9, s15
	s_mov_b32 s15, s3
	s_wait_alu 0xfffe
	s_mul_u64 s[12:13], s[12:13], s[8:9]
	s_wait_alu 0xfffe
	s_mul_hi_u32 s19, s8, s13
	s_mul_i32 s18, s8, s13
	s_mul_hi_u32 s16, s8, s12
	s_mul_i32 s3, s9, s12
	s_wait_alu 0xfffe
	s_add_nc_u64 s[16:17], s[16:17], s[18:19]
	s_mul_hi_u32 s0, s9, s12
	s_mul_hi_u32 s7, s9, s13
	s_wait_alu 0xfffe
	s_add_co_u32 s3, s16, s3
	s_add_co_ci_u32 s14, s17, s0
	s_mul_i32 s12, s9, s13
	s_add_co_ci_u32 s13, s7, 0
	s_wait_alu 0xfffe
	s_add_nc_u64 s[12:13], s[14:15], s[12:13]
	s_wait_alu 0xfffe
	s_add_co_u32 s0, s8, s12
	s_cselect_b32 s3, -1, 0
	s_wait_alu 0xfffe
	v_mul_hi_u32 v20, v18, s0
	s_cmp_lg_u32 s3, 0
	v_mad_co_u64_u32 v[10:11], null, v19, s0, 0
	s_add_co_ci_u32 s3, s9, s13
	s_wait_alu 0xfffe
	v_mad_co_u64_u32 v[8:9], null, v18, s3, 0
	v_mad_co_u64_u32 v[14:15], null, v19, s3, 0
	s_delay_alu instid0(VALU_DEP_2) | instskip(SKIP_1) | instid1(VALU_DEP_3)
	v_add_co_u32 v8, vcc_lo, v20, v8
	s_wait_alu 0xfffd
	v_add_co_ci_u32_e64 v9, null, 0, v9, vcc_lo
	s_delay_alu instid0(VALU_DEP_2) | instskip(SKIP_1) | instid1(VALU_DEP_2)
	v_add_co_u32 v8, vcc_lo, v8, v10
	s_wait_alu 0xfffd
	v_add_co_ci_u32_e32 v8, vcc_lo, v9, v11, vcc_lo
	s_wait_alu 0xfffd
	v_add_co_ci_u32_e32 v9, vcc_lo, 0, v15, vcc_lo
	s_delay_alu instid0(VALU_DEP_2) | instskip(SKIP_1) | instid1(VALU_DEP_2)
	v_add_co_u32 v10, vcc_lo, v8, v14
	s_wait_alu 0xfffd
	v_add_co_ci_u32_e64 v11, null, 0, v9, vcc_lo
	s_delay_alu instid0(VALU_DEP_2) | instskip(SKIP_1) | instid1(VALU_DEP_3)
	v_mul_lo_u32 v14, s5, v10
	v_mad_co_u64_u32 v[8:9], null, s4, v10, 0
	v_mul_lo_u32 v15, s4, v11
	s_delay_alu instid0(VALU_DEP_2) | instskip(NEXT) | instid1(VALU_DEP_2)
	v_sub_co_u32 v8, vcc_lo, v18, v8
	v_add3_u32 v9, v9, v15, v14
	v_add_co_u32 v15, s0, v10, 2
	s_wait_alu 0xf1ff
	v_add_co_ci_u32_e64 v18, null, 0, v11, s0
	s_delay_alu instid0(VALU_DEP_3) | instskip(SKIP_3) | instid1(VALU_DEP_3)
	v_sub_nc_u32_e32 v14, v19, v9
	v_sub_co_u32 v20, s0, v8, s4
	s_wait_alu 0xfffd
	v_sub_co_ci_u32_e64 v9, null, v19, v9, vcc_lo
	v_subrev_co_ci_u32_e64 v14, null, s5, v14, vcc_lo
	s_delay_alu instid0(VALU_DEP_3) | instskip(SKIP_1) | instid1(VALU_DEP_2)
	v_cmp_le_u32_e32 vcc_lo, s4, v20
	s_wait_alu 0xf1ff
	v_subrev_co_ci_u32_e64 v14, null, 0, v14, s0
	s_wait_alu 0xfffd
	v_cndmask_b32_e64 v19, 0, -1, vcc_lo
	v_cmp_eq_u32_e64 s0, s5, v9
	s_delay_alu instid0(VALU_DEP_3)
	v_cmp_le_u32_e32 vcc_lo, s5, v14
	s_wait_alu 0xfffd
	v_cndmask_b32_e64 v20, 0, -1, vcc_lo
	v_cmp_le_u32_e32 vcc_lo, s4, v8
	s_wait_alu 0xfffd
	v_cndmask_b32_e64 v8, 0, -1, vcc_lo
	;; [unrolled: 3-line block ×3, first 2 shown]
	v_cmp_eq_u32_e32 vcc_lo, s5, v14
	s_wait_alu 0xf1ff
	s_delay_alu instid0(VALU_DEP_2)
	v_cndmask_b32_e64 v8, v21, v8, s0
	s_wait_alu 0xfffd
	v_cndmask_b32_e32 v14, v20, v19, vcc_lo
	v_add_co_u32 v19, vcc_lo, v10, 1
	s_wait_alu 0xfffd
	v_add_co_ci_u32_e64 v20, null, 0, v11, vcc_lo
	s_delay_alu instid0(VALU_DEP_3) | instskip(SKIP_1) | instid1(VALU_DEP_2)
	v_cmp_ne_u32_e32 vcc_lo, 0, v14
	s_wait_alu 0xfffd
	v_dual_cndmask_b32 v9, v20, v18 :: v_dual_cndmask_b32 v14, v19, v15
	v_cmp_ne_u32_e32 vcc_lo, 0, v8
	s_wait_alu 0xfffd
	s_delay_alu instid0(VALU_DEP_2) | instskip(NEXT) | instid1(VALU_DEP_1)
	v_dual_cndmask_b32 v8, v11, v9 :: v_dual_cndmask_b32 v9, v10, v14
                                        ; implicit-def: $vgpr14
	v_xor_b32_e32 v8, v8, v17
	s_delay_alu instid0(VALU_DEP_2) | instskip(NEXT) | instid1(VALU_DEP_1)
	v_xor_b32_e32 v9, v9, v17
	v_sub_co_u32 v10, vcc_lo, v9, v17
	s_wait_alu 0xfffd
	s_delay_alu instid0(VALU_DEP_3)
	v_sub_co_ci_u32_e64 v11, null, v8, v17, vcc_lo
.LBB5_123:
	s_wait_alu 0xfffe
	s_and_not1_saveexec_b32 s0, s6
	s_cbranch_execz .LBB5_125
; %bb.124:
	v_cvt_f32_u32_e32 v8, s2
	s_delay_alu instid0(VALU_DEP_1) | instskip(NEXT) | instid1(TRANS32_DEP_1)
	v_rcp_iflag_f32_e32 v8, v8
	v_mul_f32_e32 v8, 0x4f7ffffe, v8
	s_delay_alu instid0(VALU_DEP_1) | instskip(NEXT) | instid1(VALU_DEP_1)
	v_cvt_u32_f32_e32 v8, v8
	v_mul_lo_u32 v9, s1, v8
	s_delay_alu instid0(VALU_DEP_1) | instskip(NEXT) | instid1(VALU_DEP_1)
	v_mul_hi_u32 v9, v8, v9
	v_add_nc_u32_e32 v8, v8, v9
	s_delay_alu instid0(VALU_DEP_1) | instskip(NEXT) | instid1(VALU_DEP_1)
	v_mul_hi_u32 v8, v14, v8
	v_mul_lo_u32 v9, v8, s2
	v_add_nc_u32_e32 v10, 1, v8
	s_delay_alu instid0(VALU_DEP_2) | instskip(NEXT) | instid1(VALU_DEP_1)
	v_sub_nc_u32_e32 v9, v14, v9
	v_subrev_nc_u32_e32 v11, s2, v9
	v_cmp_le_u32_e32 vcc_lo, s2, v9
	s_wait_alu 0xfffd
	s_delay_alu instid0(VALU_DEP_2) | instskip(SKIP_1) | instid1(VALU_DEP_2)
	v_dual_cndmask_b32 v9, v9, v11 :: v_dual_cndmask_b32 v8, v8, v10
	v_mov_b32_e32 v11, 0
	v_cmp_le_u32_e32 vcc_lo, s2, v9
	s_delay_alu instid0(VALU_DEP_3) | instskip(SKIP_1) | instid1(VALU_DEP_1)
	v_add_nc_u32_e32 v10, 1, v8
	s_wait_alu 0xfffd
	v_cndmask_b32_e32 v10, v8, v10, vcc_lo
.LBB5_125:
	s_wait_alu 0xfffe
	s_or_b32 exec_lo, exec_lo, s0
	v_mov_b32_e32 v14, 0
	s_mov_b32 s0, exec_lo
	v_cmpx_gt_i64_e64 s[22:23], v[4:5]
	s_cbranch_execz .LBB5_133
; %bb.126:
	s_add_co_i32 s1, s2, -1
	s_wait_alu 0xfffe
	v_and_b32_e32 v4, s1, v0
	v_mov_b32_e32 v14, 0
	s_mov_b32 s1, exec_lo
	s_delay_alu instid0(VALU_DEP_2)
	v_lshlrev_b32_e32 v15, 2, v4
	v_cmpx_lt_i64_e32 0, v[10:11]
	s_cbranch_execz .LBB5_130
; %bb.127:
	v_mov_b32_e32 v8, v10
	s_delay_alu instid0(VALU_DEP_3)
	v_lshl_add_u32 v5, v2, 2, v15
	v_dual_mov_b32 v14, 0 :: v_dual_mov_b32 v9, v11
	s_lshl_b32 s4, s2, 2
	s_mov_b32 s3, 0
.LBB5_128:                              ; =>This Inner Loop Header: Depth=1
	ds_load_b32 v17, v5
	v_add_co_u32 v8, vcc_lo, v8, -1
	s_wait_alu 0xfffd
	v_add_co_ci_u32_e64 v9, null, -1, v9, vcc_lo
	s_wait_alu 0xfffe
	v_add_nc_u32_e32 v5, s4, v5
	s_delay_alu instid0(VALU_DEP_2)
	v_cmp_eq_u64_e32 vcc_lo, 0, v[8:9]
	s_or_b32 s3, vcc_lo, s3
	s_wait_dscnt 0x0
	v_add_f32_e32 v14, v14, v17
	s_wait_alu 0xfffe
	s_and_not1_b32 exec_lo, exec_lo, s3
	s_cbranch_execnz .LBB5_128
; %bb.129:
	s_or_b32 exec_lo, exec_lo, s3
.LBB5_130:
	s_wait_alu 0xfffe
	s_or_b32 exec_lo, exec_lo, s1
	v_mad_co_u64_u32 v[2:3], null, v10, s2, v[2:3]
	v_mov_b32_e32 v5, 0
	s_mov_b32 s1, exec_lo
	s_delay_alu instid0(VALU_DEP_2) | instskip(NEXT) | instid1(VALU_DEP_3)
	v_mad_co_u64_u32 v[8:9], null, v11, s2, v[3:4]
	v_sub_co_u32 v9, vcc_lo, v12, v2
	s_wait_alu 0xfffd
	s_delay_alu instid0(VALU_DEP_2) | instskip(NEXT) | instid1(VALU_DEP_1)
	v_sub_co_ci_u32_e64 v10, null, v13, v8, vcc_lo
	v_cmpx_gt_i64_e64 v[9:10], v[4:5]
	s_cbranch_execz .LBB5_132
; %bb.131:
	v_lshl_add_u32 v2, v2, 2, v15
	ds_load_b32 v2, v2
	s_wait_dscnt 0x0
	v_add_f32_e32 v14, v14, v2
.LBB5_132:
	s_wait_alu 0xfffe
	s_or_b32 exec_lo, exec_lo, s1
.LBB5_133:
	s_wait_alu 0xfffe
	s_or_b32 exec_lo, exec_lo, s0
	s_wait_storecnt 0x0
	s_barrier_signal -1
	s_barrier_wait -1
	global_inv scope:SCOPE_SE
	ds_store_b32 v16, v14
	s_wait_loadcnt_dscnt 0x0
	s_barrier_signal -1
	s_barrier_wait -1
	global_inv scope:SCOPE_SE
	s_mov_b32 s0, exec_lo
	v_cmpx_gt_i64_e64 s[22:23], v[0:1]
	s_cbranch_execz .LBB5_137
; %bb.134:
	v_mul_lo_u32 v1, s2, v0
	s_delay_alu instid0(VALU_DEP_1)
	v_dual_mov_b32 v1, 0 :: v_dual_lshlrev_b32 v2, 2, v1
.LBB5_135:                              ; =>This Inner Loop Header: Depth=1
	ds_load_b32 v3, v2
	v_add_nc_u32_e32 v2, 4, v2
	s_add_co_i32 s2, s2, -1
	s_wait_alu 0xfffe
	s_cmp_eq_u32 s2, 0
	s_wait_dscnt 0x0
	v_add_f32_e32 v1, v1, v3
	s_cbranch_scc0 .LBB5_135
; %bb.136:
	v_lshlrev_b32_e32 v0, 2, v0
	s_lshl_b32 s0, s10, 2
	v_lshlrev_b64_e32 v[2:3], 2, v[6:7]
	s_wait_alu 0xfffe
	s_delay_alu instid0(VALU_DEP_2)
	v_add3_u32 v0, 0x1000, s0, v0
	ds_load_b32 v0, v0
	s_wait_dscnt 0x0
	v_add_f32_e32 v4, v1, v0
	v_add_co_u32 v0, vcc_lo, s20, v2
	s_wait_alu 0xfffd
	v_add_co_ci_u32_e64 v1, null, s21, v3, vcc_lo
	global_atomic_add_f32 v[0:1], v4, off scope:SCOPE_DEV
.LBB5_137:
	s_endpgm
	.section	.rodata,"a",@progbits
	.p2align	6, 0x0
	.amdhsa_kernel _ZN9rocsparseL27csrmvn_symm_adaptive_kernelIliffffEEvbT_S1_PKS1_NS_24const_host_device_scalarIT4_EES3_PKT0_PKT1_PKT2_S6_PT3_21rocsparse_index_base_b
		.amdhsa_group_segment_fixed_size 4096
		.amdhsa_private_segment_fixed_size 0
		.amdhsa_kernarg_size 352
		.amdhsa_user_sgpr_count 2
		.amdhsa_user_sgpr_dispatch_ptr 0
		.amdhsa_user_sgpr_queue_ptr 0
		.amdhsa_user_sgpr_kernarg_segment_ptr 1
		.amdhsa_user_sgpr_dispatch_id 0
		.amdhsa_user_sgpr_private_segment_size 0
		.amdhsa_wavefront_size32 1
		.amdhsa_uses_dynamic_stack 0
		.amdhsa_enable_private_segment 0
		.amdhsa_system_sgpr_workgroup_id_x 1
		.amdhsa_system_sgpr_workgroup_id_y 0
		.amdhsa_system_sgpr_workgroup_id_z 0
		.amdhsa_system_sgpr_workgroup_info 0
		.amdhsa_system_vgpr_workitem_id 0
		.amdhsa_next_free_vgpr 22
		.amdhsa_next_free_sgpr 42
		.amdhsa_reserve_vcc 1
		.amdhsa_float_round_mode_32 0
		.amdhsa_float_round_mode_16_64 0
		.amdhsa_float_denorm_mode_32 3
		.amdhsa_float_denorm_mode_16_64 3
		.amdhsa_fp16_overflow 0
		.amdhsa_workgroup_processor_mode 1
		.amdhsa_memory_ordered 1
		.amdhsa_forward_progress 1
		.amdhsa_inst_pref_size 75
		.amdhsa_round_robin_scheduling 0
		.amdhsa_exception_fp_ieee_invalid_op 0
		.amdhsa_exception_fp_denorm_src 0
		.amdhsa_exception_fp_ieee_div_zero 0
		.amdhsa_exception_fp_ieee_overflow 0
		.amdhsa_exception_fp_ieee_underflow 0
		.amdhsa_exception_fp_ieee_inexact 0
		.amdhsa_exception_int_div_zero 0
	.end_amdhsa_kernel
	.section	.text._ZN9rocsparseL27csrmvn_symm_adaptive_kernelIliffffEEvbT_S1_PKS1_NS_24const_host_device_scalarIT4_EES3_PKT0_PKT1_PKT2_S6_PT3_21rocsparse_index_base_b,"axG",@progbits,_ZN9rocsparseL27csrmvn_symm_adaptive_kernelIliffffEEvbT_S1_PKS1_NS_24const_host_device_scalarIT4_EES3_PKT0_PKT1_PKT2_S6_PT3_21rocsparse_index_base_b,comdat
.Lfunc_end5:
	.size	_ZN9rocsparseL27csrmvn_symm_adaptive_kernelIliffffEEvbT_S1_PKS1_NS_24const_host_device_scalarIT4_EES3_PKT0_PKT1_PKT2_S6_PT3_21rocsparse_index_base_b, .Lfunc_end5-_ZN9rocsparseL27csrmvn_symm_adaptive_kernelIliffffEEvbT_S1_PKS1_NS_24const_host_device_scalarIT4_EES3_PKT0_PKT1_PKT2_S6_PT3_21rocsparse_index_base_b
                                        ; -- End function
	.set _ZN9rocsparseL27csrmvn_symm_adaptive_kernelIliffffEEvbT_S1_PKS1_NS_24const_host_device_scalarIT4_EES3_PKT0_PKT1_PKT2_S6_PT3_21rocsparse_index_base_b.num_vgpr, 22
	.set _ZN9rocsparseL27csrmvn_symm_adaptive_kernelIliffffEEvbT_S1_PKS1_NS_24const_host_device_scalarIT4_EES3_PKT0_PKT1_PKT2_S6_PT3_21rocsparse_index_base_b.num_agpr, 0
	.set _ZN9rocsparseL27csrmvn_symm_adaptive_kernelIliffffEEvbT_S1_PKS1_NS_24const_host_device_scalarIT4_EES3_PKT0_PKT1_PKT2_S6_PT3_21rocsparse_index_base_b.numbered_sgpr, 42
	.set _ZN9rocsparseL27csrmvn_symm_adaptive_kernelIliffffEEvbT_S1_PKS1_NS_24const_host_device_scalarIT4_EES3_PKT0_PKT1_PKT2_S6_PT3_21rocsparse_index_base_b.num_named_barrier, 0
	.set _ZN9rocsparseL27csrmvn_symm_adaptive_kernelIliffffEEvbT_S1_PKS1_NS_24const_host_device_scalarIT4_EES3_PKT0_PKT1_PKT2_S6_PT3_21rocsparse_index_base_b.private_seg_size, 0
	.set _ZN9rocsparseL27csrmvn_symm_adaptive_kernelIliffffEEvbT_S1_PKS1_NS_24const_host_device_scalarIT4_EES3_PKT0_PKT1_PKT2_S6_PT3_21rocsparse_index_base_b.uses_vcc, 1
	.set _ZN9rocsparseL27csrmvn_symm_adaptive_kernelIliffffEEvbT_S1_PKS1_NS_24const_host_device_scalarIT4_EES3_PKT0_PKT1_PKT2_S6_PT3_21rocsparse_index_base_b.uses_flat_scratch, 0
	.set _ZN9rocsparseL27csrmvn_symm_adaptive_kernelIliffffEEvbT_S1_PKS1_NS_24const_host_device_scalarIT4_EES3_PKT0_PKT1_PKT2_S6_PT3_21rocsparse_index_base_b.has_dyn_sized_stack, 0
	.set _ZN9rocsparseL27csrmvn_symm_adaptive_kernelIliffffEEvbT_S1_PKS1_NS_24const_host_device_scalarIT4_EES3_PKT0_PKT1_PKT2_S6_PT3_21rocsparse_index_base_b.has_recursion, 0
	.set _ZN9rocsparseL27csrmvn_symm_adaptive_kernelIliffffEEvbT_S1_PKS1_NS_24const_host_device_scalarIT4_EES3_PKT0_PKT1_PKT2_S6_PT3_21rocsparse_index_base_b.has_indirect_call, 0
	.section	.AMDGPU.csdata,"",@progbits
; Kernel info:
; codeLenInByte = 9524
; TotalNumSgprs: 44
; NumVgprs: 22
; ScratchSize: 0
; MemoryBound: 0
; FloatMode: 240
; IeeeMode: 1
; LDSByteSize: 4096 bytes/workgroup (compile time only)
; SGPRBlocks: 0
; VGPRBlocks: 2
; NumSGPRsForWavesPerEU: 44
; NumVGPRsForWavesPerEU: 22
; Occupancy: 16
; WaveLimiterHint : 1
; COMPUTE_PGM_RSRC2:SCRATCH_EN: 0
; COMPUTE_PGM_RSRC2:USER_SGPR: 2
; COMPUTE_PGM_RSRC2:TRAP_HANDLER: 0
; COMPUTE_PGM_RSRC2:TGID_X_EN: 1
; COMPUTE_PGM_RSRC2:TGID_Y_EN: 0
; COMPUTE_PGM_RSRC2:TGID_Z_EN: 0
; COMPUTE_PGM_RSRC2:TIDIG_COMP_CNT: 0
	.section	.text._ZL33csrmvn_symm_large_adaptive_kernelIliffffEvbT_PKS0_N9rocsparse24const_host_device_scalarIT4_EES2_PKT0_PKT1_PKT2_S6_PT3_21rocsparse_index_base_b,"axG",@progbits,_ZL33csrmvn_symm_large_adaptive_kernelIliffffEvbT_PKS0_N9rocsparse24const_host_device_scalarIT4_EES2_PKT0_PKT1_PKT2_S6_PT3_21rocsparse_index_base_b,comdat
	.globl	_ZL33csrmvn_symm_large_adaptive_kernelIliffffEvbT_PKS0_N9rocsparse24const_host_device_scalarIT4_EES2_PKT0_PKT1_PKT2_S6_PT3_21rocsparse_index_base_b ; -- Begin function _ZL33csrmvn_symm_large_adaptive_kernelIliffffEvbT_PKS0_N9rocsparse24const_host_device_scalarIT4_EES2_PKT0_PKT1_PKT2_S6_PT3_21rocsparse_index_base_b
	.p2align	8
	.type	_ZL33csrmvn_symm_large_adaptive_kernelIliffffEvbT_PKS0_N9rocsparse24const_host_device_scalarIT4_EES2_PKT0_PKT1_PKT2_S6_PT3_21rocsparse_index_base_b,@function
_ZL33csrmvn_symm_large_adaptive_kernelIliffffEvbT_PKS0_N9rocsparse24const_host_device_scalarIT4_EES2_PKT0_PKT1_PKT2_S6_PT3_21rocsparse_index_base_b: ; @_ZL33csrmvn_symm_large_adaptive_kernelIliffffEvbT_PKS0_N9rocsparse24const_host_device_scalarIT4_EES2_PKT0_PKT1_PKT2_S6_PT3_21rocsparse_index_base_b
; %bb.0:
	s_clause 0x2
	s_load_b64 s[6:7], s[0:1], 0x50
	s_load_b64 s[20:21], s[0:1], 0x18
	;; [unrolled: 1-line block ×3, first 2 shown]
	s_wait_kmcnt 0x0
	s_bitcmp1_b32 s7, 0
	s_cselect_b32 s4, -1, 0
	s_delay_alu instid0(SALU_CYCLE_1)
	s_and_b32 vcc_lo, exec_lo, s4
	s_xor_b32 s4, s4, -1
	s_cbranch_vccnz .LBB6_2
; %bb.1:
	s_load_b32 s20, s[20:21], 0x0
.LBB6_2:
	s_and_not1_b32 vcc_lo, exec_lo, s4
	s_cbranch_vccnz .LBB6_4
; %bb.3:
	s_load_b32 s2, s[2:3], 0x0
.LBB6_4:
	s_wait_kmcnt 0x0
	s_cmp_neq_f32 s20, 0
	s_mov_b32 s7, 0
	s_cselect_b32 s3, -1, 0
	s_cmp_neq_f32 s2, 1.0
	s_cselect_b32 s2, -1, 0
	s_delay_alu instid0(SALU_CYCLE_1) | instskip(NEXT) | instid1(SALU_CYCLE_1)
	s_or_b32 s2, s3, s2
	s_and_not1_b32 vcc_lo, exec_lo, s2
	s_cbranch_vccnz .LBB6_32
; %bb.5:
	s_load_b64 s[4:5], s[0:1], 0x10
	s_mov_b32 s2, ttmp9
	s_ashr_i32 s3, ttmp9, 31
	v_dual_mov_b32 v7, 0 :: v_dual_lshlrev_b32 v6, 2, v0
	s_lshl_b64 s[2:3], s[2:3], 3
	ds_store_2addr_stride64_b32 v6, v7, v7 offset1:4
	ds_store_2addr_stride64_b32 v6, v7, v7 offset0:8 offset1:12
	s_wait_dscnt 0x0
	s_barrier_signal -1
	s_barrier_wait -1
	global_inv scope:SCOPE_SE
	s_wait_kmcnt 0x0
	s_add_nc_u64 s[2:3], s[4:5], s[2:3]
	s_load_b128 s[16:19], s[2:3], 0x0
	s_clause 0x1
	s_load_b256 s[8:15], s[0:1], 0x20
	s_load_b64 s[22:23], s[0:1], 0x48
	v_sub_co_u32 v8, s1, v0, s6
	s_delay_alu instid0(VALU_DEP_1)
	v_sub_co_ci_u32_e64 v9, null, 0, 0, s1
	s_wait_kmcnt 0x0
	v_cmp_ge_i64_e64 s0, s[16:17], s[18:19]
	s_and_b32 vcc_lo, exec_lo, s0
	s_cbranch_vccnz .LBB6_23
; %bb.6:
	v_cmp_gt_u32_e64 s0, 64, v0
	v_cmp_gt_u32_e64 s1, 16, v0
	v_cmp_gt_u32_e64 s2, 4, v0
	v_cmp_eq_u32_e64 s3, 0, v0
	s_mov_b64 s[24:25], s[16:17]
	s_branch .LBB6_8
.LBB6_7:                                ;   in Loop: Header=BB6_8 Depth=1
	s_wait_alu 0xfffe
	s_or_b32 exec_lo, exec_lo, s4
	s_add_nc_u64 s[24:25], s[24:25], 1
	s_wait_alu 0xfffe
	v_cmp_ge_i64_e64 s4, s[24:25], s[18:19]
	s_and_b32 vcc_lo, exec_lo, s4
	s_wait_alu 0xfffe
	s_cbranch_vccnz .LBB6_23
.LBB6_8:                                ; =>This Loop Header: Depth=1
                                        ;     Child Loop BB6_10 Depth 2
	s_lshl_b64 s[4:5], s[24:25], 3
	v_mov_b32_e32 v10, 0
	s_wait_alu 0xfffe
	s_add_nc_u64 s[4:5], s[8:9], s[4:5]
	s_load_b128 s[28:31], s[4:5], 0x0
	s_mov_b32 s5, exec_lo
	s_wait_kmcnt 0x0
	v_add_co_u32 v0, vcc_lo, s28, v8
	s_wait_alu 0xfffd
	v_add_co_ci_u32_e64 v1, null, s29, v9, vcc_lo
	s_sub_nc_u64 s[26:27], s[30:31], s[6:7]
	s_wait_alu 0xfffe
	v_cmpx_gt_i64_e64 s[26:27], v[0:1]
	s_cbranch_execz .LBB6_12
; %bb.9:                                ;   in Loop: Header=BB6_8 Depth=1
	v_lshlrev_b64_e32 v[4:5], 2, v[0:1]
	v_mov_b32_e32 v10, 0
	s_mov_b32 s21, 0
	s_delay_alu instid0(VALU_DEP_2) | instskip(SKIP_1) | instid1(VALU_DEP_3)
	v_add_co_u32 v2, vcc_lo, s10, v4
	s_wait_alu 0xfffd
	v_add_co_ci_u32_e64 v3, null, s11, v5, vcc_lo
	v_add_co_u32 v4, vcc_lo, s12, v4
	s_wait_alu 0xfffd
	v_add_co_ci_u32_e64 v5, null, s13, v5, vcc_lo
.LBB6_10:                               ;   Parent Loop BB6_8 Depth=1
                                        ; =>  This Inner Loop Header: Depth=2
	global_load_b32 v11, v[2:3], off
	s_wait_loadcnt 0x0
	v_subrev_nc_u32_e32 v11, s6, v11
	s_delay_alu instid0(VALU_DEP_1) | instskip(NEXT) | instid1(VALU_DEP_1)
	v_ashrrev_i32_e32 v12, 31, v11
	v_lshlrev_b64_e32 v[11:12], 2, v[11:12]
	s_delay_alu instid0(VALU_DEP_1) | instskip(SKIP_1) | instid1(VALU_DEP_2)
	v_add_co_u32 v11, vcc_lo, s14, v11
	s_wait_alu 0xfffd
	v_add_co_ci_u32_e64 v12, null, s15, v12, vcc_lo
	v_add_co_u32 v0, vcc_lo, 0x100, v0
	global_load_b32 v13, v[4:5], off
	global_load_b32 v11, v[11:12], off
	s_wait_alu 0xfffd
	v_add_co_ci_u32_e64 v1, null, 0, v1, vcc_lo
	v_add_co_u32 v2, vcc_lo, 0x400, v2
	s_wait_alu 0xfffd
	v_add_co_ci_u32_e64 v3, null, 0, v3, vcc_lo
	s_delay_alu instid0(VALU_DEP_3)
	v_cmp_le_i64_e32 vcc_lo, s[26:27], v[0:1]
	v_add_co_u32 v4, s4, 0x400, v4
	s_wait_alu 0xf1ff
	v_add_co_ci_u32_e64 v5, null, 0, v5, s4
	s_wait_alu 0xfffe
	s_or_b32 s21, vcc_lo, s21
	s_wait_loadcnt 0x0
	v_fmac_f32_e32 v10, v13, v11
	s_wait_alu 0xfffe
	s_and_not1_b32 exec_lo, exec_lo, s21
	s_cbranch_execnz .LBB6_10
; %bb.11:                               ;   in Loop: Header=BB6_8 Depth=1
	s_or_b32 exec_lo, exec_lo, s21
.LBB6_12:                               ;   in Loop: Header=BB6_8 Depth=1
	s_delay_alu instid0(SALU_CYCLE_1)
	s_or_b32 exec_lo, exec_lo, s5
	ds_store_b32 v6, v10
	s_wait_loadcnt_dscnt 0x0
	s_barrier_signal -1
	s_barrier_wait -1
	global_inv scope:SCOPE_SE
	ds_load_2addr_stride64_b32 v[0:1], v6 offset1:4
	ds_load_2addr_stride64_b32 v[2:3], v6 offset0:8 offset1:12
	s_wait_dscnt 0x0
	v_add_f32_e32 v1, v1, v2
	s_delay_alu instid0(VALU_DEP_1) | instskip(NEXT) | instid1(VALU_DEP_1)
	v_add_f32_e32 v1, v1, v3
	v_add_f32_e32 v0, v0, v1
	ds_store_b32 v6, v0
	s_wait_loadcnt_dscnt 0x0
	s_barrier_signal -1
	s_barrier_wait -1
	global_inv scope:SCOPE_SE
	s_and_saveexec_b32 s4, s0
	s_cbranch_execz .LBB6_14
; %bb.13:                               ;   in Loop: Header=BB6_8 Depth=1
	ds_load_2addr_stride64_b32 v[0:1], v6 offset1:1
	ds_load_2addr_stride64_b32 v[2:3], v6 offset0:2 offset1:3
	s_wait_dscnt 0x0
	v_add_f32_e32 v1, v1, v2
	s_delay_alu instid0(VALU_DEP_1) | instskip(NEXT) | instid1(VALU_DEP_1)
	v_add_f32_e32 v1, v1, v3
	v_add_f32_e32 v0, v0, v1
	ds_store_b32 v6, v0
.LBB6_14:                               ;   in Loop: Header=BB6_8 Depth=1
	s_wait_alu 0xfffe
	s_or_b32 exec_lo, exec_lo, s4
	s_wait_loadcnt_dscnt 0x0
	s_barrier_signal -1
	s_barrier_wait -1
	global_inv scope:SCOPE_SE
	s_and_saveexec_b32 s4, s1
	s_cbranch_execz .LBB6_16
; %bb.15:                               ;   in Loop: Header=BB6_8 Depth=1
	ds_load_2addr_b32 v[0:1], v6 offset1:16
	ds_load_2addr_b32 v[2:3], v6 offset0:32 offset1:48
	s_wait_dscnt 0x0
	v_add_f32_e32 v1, v1, v2
	s_delay_alu instid0(VALU_DEP_1) | instskip(NEXT) | instid1(VALU_DEP_1)
	v_add_f32_e32 v1, v1, v3
	v_add_f32_e32 v0, v0, v1
	ds_store_b32 v6, v0
.LBB6_16:                               ;   in Loop: Header=BB6_8 Depth=1
	s_wait_alu 0xfffe
	s_or_b32 exec_lo, exec_lo, s4
	s_wait_loadcnt_dscnt 0x0
	s_barrier_signal -1
	s_barrier_wait -1
	global_inv scope:SCOPE_SE
	s_and_saveexec_b32 s4, s2
	s_cbranch_execz .LBB6_18
; %bb.17:                               ;   in Loop: Header=BB6_8 Depth=1
	ds_load_2addr_b32 v[0:1], v6 offset1:4
	ds_load_2addr_b32 v[2:3], v6 offset0:8 offset1:12
	s_wait_dscnt 0x0
	v_add_f32_e32 v1, v1, v2
	s_delay_alu instid0(VALU_DEP_1) | instskip(NEXT) | instid1(VALU_DEP_1)
	v_add_f32_e32 v1, v1, v3
	v_add_f32_e32 v0, v0, v1
	ds_store_b32 v6, v0
.LBB6_18:                               ;   in Loop: Header=BB6_8 Depth=1
	s_wait_alu 0xfffe
	s_or_b32 exec_lo, exec_lo, s4
	s_wait_loadcnt_dscnt 0x0
	s_barrier_signal -1
	s_barrier_wait -1
	global_inv scope:SCOPE_SE
	s_and_saveexec_b32 s4, s3
	s_cbranch_execz .LBB6_20
; %bb.19:                               ;   in Loop: Header=BB6_8 Depth=1
	ds_load_2addr_b32 v[0:1], v7 offset0:1 offset1:2
	ds_load_b32 v2, v7 offset:12
	ds_load_b32 v3, v6
	s_wait_dscnt 0x2
	v_add_f32_e32 v0, v0, v1
	s_wait_dscnt 0x1
	s_delay_alu instid0(VALU_DEP_1) | instskip(SKIP_1) | instid1(VALU_DEP_1)
	v_add_f32_e32 v0, v0, v2
	s_wait_dscnt 0x0
	v_add_f32_e32 v0, v3, v0
	ds_store_b32 v6, v0
.LBB6_20:                               ;   in Loop: Header=BB6_8 Depth=1
	s_wait_alu 0xfffe
	s_or_b32 exec_lo, exec_lo, s4
	s_wait_loadcnt_dscnt 0x0
	s_barrier_signal -1
	s_barrier_wait -1
	global_inv scope:SCOPE_SE
	s_and_saveexec_b32 s4, s3
	s_cbranch_execz .LBB6_7
; %bb.21:                               ;   in Loop: Header=BB6_8 Depth=1
	s_mov_b32 s5, exec_lo
	s_wait_alu 0xfffe
	v_mbcnt_lo_u32_b32 v0, s5, 0
	s_delay_alu instid0(VALU_DEP_1)
	v_cmp_eq_u32_e32 vcc_lo, 0, v0
	s_and_b32 s21, exec_lo, vcc_lo
	s_wait_alu 0xfffe
	s_mov_b32 exec_lo, s21
	s_cbranch_execz .LBB6_7
; %bb.22:                               ;   in Loop: Header=BB6_8 Depth=1
	ds_load_b32 v0, v7
	s_bcnt1_i32_b32 s5, s5
	s_lshl_b64 s[26:27], s[24:25], 2
	s_wait_alu 0xfffe
	v_cvt_f32_ubyte0_e32 v1, s5
	s_add_nc_u64 s[26:27], s[22:23], s[26:27]
	s_wait_dscnt 0x0
	v_mul_f32_e32 v0, s20, v0
	s_delay_alu instid0(VALU_DEP_1)
	v_mul_f32_e32 v0, v0, v1
	global_atomic_add_f32 v7, v0, s[26:27] scope:SCOPE_DEV
	s_branch .LBB6_7
.LBB6_23:
	s_lshl_b64 s[0:1], s[16:17], 3
	s_lshl_b64 s[2:3], s[18:19], 3
	s_wait_alu 0xfffe
	s_add_nc_u64 s[0:1], s[8:9], s[0:1]
	s_add_nc_u64 s[2:3], s[8:9], s[2:3]
	s_clause 0x1
	s_load_b64 s[0:1], s[0:1], 0x0
	s_load_b64 s[2:3], s[2:3], 0x0
	s_wait_kmcnt 0x0
	v_add_co_u32 v0, vcc_lo, s0, v8
	s_wait_alu 0xfffd
	v_add_co_ci_u32_e64 v1, null, s1, v9, vcc_lo
	s_sub_nc_u64 s[2:3], s[2:3], s[6:7]
	s_mov_b32 s0, exec_lo
	v_cmpx_gt_i64_e64 s[2:3], v[0:1]
	s_cbranch_execz .LBB6_32
; %bb.24:
	s_add_nc_u64 s[4:5], s[18:19], -1
	s_add_nc_u64 s[0:1], s[18:19], -2
	s_wait_alu 0xfffe
	v_cmp_lt_i64_e64 s7, s[16:17], s[4:5]
	s_cmp_lg_u64 s[16:17], s[0:1]
	s_cselect_b32 s0, -1, 0
	s_wait_alu 0xfffe
	s_and_b32 s1, s7, s0
	s_mov_b32 s7, 0
	s_branch .LBB6_26
.LBB6_25:                               ;   in Loop: Header=BB6_26 Depth=1
	s_wait_alu 0xfffe
	s_or_b32 exec_lo, exec_lo, s0
	v_add_co_u32 v0, vcc_lo, 0x100, v0
	s_wait_alu 0xfffd
	v_add_co_ci_u32_e64 v1, null, 0, v1, vcc_lo
	s_delay_alu instid0(VALU_DEP_1)
	v_cmp_le_i64_e32 vcc_lo, s[2:3], v[0:1]
	s_or_b32 s7, vcc_lo, s7
	s_wait_alu 0xfffe
	s_and_not1_b32 exec_lo, exec_lo, s7
	s_cbranch_execz .LBB6_32
.LBB6_26:                               ; =>This Loop Header: Depth=1
                                        ;     Child Loop BB6_28 Depth 2
	v_dual_mov_b32 v2, s16 :: v_dual_mov_b32 v3, s17
	v_dual_mov_b32 v4, s4 :: v_dual_mov_b32 v5, s5
	s_wait_alu 0xfffe
	s_and_not1_b32 vcc_lo, exec_lo, s1
	s_wait_alu 0xfffe
	s_cbranch_vccnz .LBB6_30
; %bb.27:                               ;   in Loop: Header=BB6_26 Depth=1
	v_dual_mov_b32 v2, s16 :: v_dual_mov_b32 v3, s17
	v_dual_mov_b32 v4, s4 :: v_dual_mov_b32 v5, s5
	s_mov_b32 s18, 0
.LBB6_28:                               ;   Parent Loop BB6_26 Depth=1
                                        ; =>  This Inner Loop Header: Depth=2
	s_delay_alu instid0(VALU_DEP_1) | instskip(SKIP_1) | instid1(VALU_DEP_2)
	v_add_co_u32 v6, vcc_lo, v4, v2
	s_wait_alu 0xfffd
	v_add_co_ci_u32_e64 v7, null, v5, v3, vcc_lo
	s_delay_alu instid0(VALU_DEP_1) | instskip(NEXT) | instid1(VALU_DEP_1)
	v_lshrrev_b32_e32 v8, 31, v7
	v_add_co_u32 v6, vcc_lo, v6, v8
	s_wait_alu 0xfffd
	v_add_co_ci_u32_e64 v7, null, 0, v7, vcc_lo
	s_delay_alu instid0(VALU_DEP_1) | instskip(NEXT) | instid1(VALU_DEP_1)
	v_ashrrev_i64 v[6:7], 1, v[6:7]
	v_lshlrev_b64_e32 v[8:9], 3, v[6:7]
	s_delay_alu instid0(VALU_DEP_1) | instskip(SKIP_1) | instid1(VALU_DEP_2)
	v_add_co_u32 v8, vcc_lo, s8, v8
	s_wait_alu 0xfffd
	v_add_co_ci_u32_e64 v9, null, s9, v9, vcc_lo
	global_load_b64 v[8:9], v[8:9], off
	s_wait_loadcnt 0x0
	v_sub_co_u32 v8, vcc_lo, v8, s6
	s_wait_alu 0xfffd
	v_subrev_co_ci_u32_e64 v9, null, 0, v9, vcc_lo
	s_delay_alu instid0(VALU_DEP_1) | instskip(SKIP_3) | instid1(VALU_DEP_2)
	v_cmp_lt_i64_e32 vcc_lo, v[0:1], v[8:9]
	s_wait_alu 0xfffd
	v_dual_cndmask_b32 v5, v5, v7 :: v_dual_cndmask_b32 v4, v4, v6
	v_dual_cndmask_b32 v3, v7, v3 :: v_dual_cndmask_b32 v2, v6, v2
	v_add_co_u32 v6, vcc_lo, v4, -1
	s_wait_alu 0xfffd
	s_delay_alu instid0(VALU_DEP_3) | instskip(NEXT) | instid1(VALU_DEP_3)
	v_add_co_ci_u32_e64 v7, null, -1, v5, vcc_lo
	v_cmp_ge_i64_e32 vcc_lo, v[2:3], v[4:5]
	s_delay_alu instid0(VALU_DEP_2)
	v_cmp_eq_u64_e64 s0, v[2:3], v[6:7]
	s_or_b32 s0, vcc_lo, s0
	s_wait_alu 0xfffe
	s_and_b32 s0, exec_lo, s0
	s_wait_alu 0xfffe
	s_or_b32 s18, s0, s18
	s_wait_alu 0xfffe
	s_and_not1_b32 exec_lo, exec_lo, s18
	s_cbranch_execnz .LBB6_28
; %bb.29:                               ;   in Loop: Header=BB6_26 Depth=1
	s_or_b32 exec_lo, exec_lo, s18
.LBB6_30:                               ;   in Loop: Header=BB6_26 Depth=1
	v_lshlrev_b64_e32 v[6:7], 3, v[4:5]
	v_lshlrev_b64_e32 v[8:9], 2, v[0:1]
	s_mov_b32 s0, exec_lo
	s_delay_alu instid0(VALU_DEP_2) | instskip(SKIP_1) | instid1(VALU_DEP_3)
	v_add_co_u32 v6, vcc_lo, s8, v6
	s_wait_alu 0xfffd
	v_add_co_ci_u32_e64 v7, null, s9, v7, vcc_lo
	s_delay_alu instid0(VALU_DEP_3)
	v_add_co_u32 v10, vcc_lo, s10, v8
	s_wait_alu 0xfffd
	v_add_co_ci_u32_e64 v11, null, s11, v9, vcc_lo
	global_load_b64 v[6:7], v[6:7], off
	global_load_b32 v10, v[10:11], off
	s_wait_loadcnt 0x1
	v_sub_co_u32 v6, vcc_lo, v6, s6
	s_wait_alu 0xfffd
	v_subrev_co_ci_u32_e64 v7, null, 0, v7, vcc_lo
	s_delay_alu instid0(VALU_DEP_1) | instskip(SKIP_2) | instid1(VALU_DEP_1)
	v_cmp_lt_i64_e32 vcc_lo, v[0:1], v[6:7]
	s_wait_loadcnt 0x0
	v_subrev_nc_u32_e32 v6, s6, v10
	v_ashrrev_i32_e32 v7, 31, v6
	s_wait_alu 0xfffd
	v_dual_cndmask_b32 v3, v5, v3 :: v_dual_cndmask_b32 v2, v4, v2
	s_delay_alu instid0(VALU_DEP_1)
	v_cmpx_ne_u64_e64 v[2:3], v[6:7]
	s_cbranch_execz .LBB6_25
; %bb.31:                               ;   in Loop: Header=BB6_26 Depth=1
	v_lshlrev_b64_e32 v[2:3], 2, v[2:3]
	v_add_co_u32 v4, vcc_lo, s12, v8
	s_wait_alu 0xfffd
	v_add_co_ci_u32_e64 v5, null, s13, v9, vcc_lo
	s_delay_alu instid0(VALU_DEP_3)
	v_add_co_u32 v2, vcc_lo, s14, v2
	global_load_b32 v4, v[4:5], off
	s_wait_alu 0xfffd
	v_add_co_ci_u32_e64 v3, null, s15, v3, vcc_lo
	global_load_b32 v5, v[2:3], off
	v_lshlrev_b64_e32 v[2:3], 2, v[6:7]
	s_delay_alu instid0(VALU_DEP_1) | instskip(SKIP_1) | instid1(VALU_DEP_2)
	v_add_co_u32 v2, vcc_lo, s22, v2
	s_wait_alu 0xfffd
	v_add_co_ci_u32_e64 v3, null, s23, v3, vcc_lo
	s_wait_loadcnt 0x1
	v_mul_f32_e32 v4, s20, v4
	s_wait_loadcnt 0x0
	s_delay_alu instid0(VALU_DEP_1)
	v_mul_f32_e32 v4, v4, v5
	global_atomic_add_f32 v[2:3], v4, off scope:SCOPE_DEV
	s_branch .LBB6_25
.LBB6_32:
	s_endpgm
	.section	.rodata,"a",@progbits
	.p2align	6, 0x0
	.amdhsa_kernel _ZL33csrmvn_symm_large_adaptive_kernelIliffffEvbT_PKS0_N9rocsparse24const_host_device_scalarIT4_EES2_PKT0_PKT1_PKT2_S6_PT3_21rocsparse_index_base_b
		.amdhsa_group_segment_fixed_size 4096
		.amdhsa_private_segment_fixed_size 0
		.amdhsa_kernarg_size 88
		.amdhsa_user_sgpr_count 2
		.amdhsa_user_sgpr_dispatch_ptr 0
		.amdhsa_user_sgpr_queue_ptr 0
		.amdhsa_user_sgpr_kernarg_segment_ptr 1
		.amdhsa_user_sgpr_dispatch_id 0
		.amdhsa_user_sgpr_private_segment_size 0
		.amdhsa_wavefront_size32 1
		.amdhsa_uses_dynamic_stack 0
		.amdhsa_enable_private_segment 0
		.amdhsa_system_sgpr_workgroup_id_x 1
		.amdhsa_system_sgpr_workgroup_id_y 0
		.amdhsa_system_sgpr_workgroup_id_z 0
		.amdhsa_system_sgpr_workgroup_info 0
		.amdhsa_system_vgpr_workitem_id 0
		.amdhsa_next_free_vgpr 14
		.amdhsa_next_free_sgpr 32
		.amdhsa_reserve_vcc 1
		.amdhsa_float_round_mode_32 0
		.amdhsa_float_round_mode_16_64 0
		.amdhsa_float_denorm_mode_32 3
		.amdhsa_float_denorm_mode_16_64 3
		.amdhsa_fp16_overflow 0
		.amdhsa_workgroup_processor_mode 1
		.amdhsa_memory_ordered 1
		.amdhsa_forward_progress 1
		.amdhsa_inst_pref_size 16
		.amdhsa_round_robin_scheduling 0
		.amdhsa_exception_fp_ieee_invalid_op 0
		.amdhsa_exception_fp_denorm_src 0
		.amdhsa_exception_fp_ieee_div_zero 0
		.amdhsa_exception_fp_ieee_overflow 0
		.amdhsa_exception_fp_ieee_underflow 0
		.amdhsa_exception_fp_ieee_inexact 0
		.amdhsa_exception_int_div_zero 0
	.end_amdhsa_kernel
	.section	.text._ZL33csrmvn_symm_large_adaptive_kernelIliffffEvbT_PKS0_N9rocsparse24const_host_device_scalarIT4_EES2_PKT0_PKT1_PKT2_S6_PT3_21rocsparse_index_base_b,"axG",@progbits,_ZL33csrmvn_symm_large_adaptive_kernelIliffffEvbT_PKS0_N9rocsparse24const_host_device_scalarIT4_EES2_PKT0_PKT1_PKT2_S6_PT3_21rocsparse_index_base_b,comdat
.Lfunc_end6:
	.size	_ZL33csrmvn_symm_large_adaptive_kernelIliffffEvbT_PKS0_N9rocsparse24const_host_device_scalarIT4_EES2_PKT0_PKT1_PKT2_S6_PT3_21rocsparse_index_base_b, .Lfunc_end6-_ZL33csrmvn_symm_large_adaptive_kernelIliffffEvbT_PKS0_N9rocsparse24const_host_device_scalarIT4_EES2_PKT0_PKT1_PKT2_S6_PT3_21rocsparse_index_base_b
                                        ; -- End function
	.set _ZL33csrmvn_symm_large_adaptive_kernelIliffffEvbT_PKS0_N9rocsparse24const_host_device_scalarIT4_EES2_PKT0_PKT1_PKT2_S6_PT3_21rocsparse_index_base_b.num_vgpr, 14
	.set _ZL33csrmvn_symm_large_adaptive_kernelIliffffEvbT_PKS0_N9rocsparse24const_host_device_scalarIT4_EES2_PKT0_PKT1_PKT2_S6_PT3_21rocsparse_index_base_b.num_agpr, 0
	.set _ZL33csrmvn_symm_large_adaptive_kernelIliffffEvbT_PKS0_N9rocsparse24const_host_device_scalarIT4_EES2_PKT0_PKT1_PKT2_S6_PT3_21rocsparse_index_base_b.numbered_sgpr, 32
	.set _ZL33csrmvn_symm_large_adaptive_kernelIliffffEvbT_PKS0_N9rocsparse24const_host_device_scalarIT4_EES2_PKT0_PKT1_PKT2_S6_PT3_21rocsparse_index_base_b.num_named_barrier, 0
	.set _ZL33csrmvn_symm_large_adaptive_kernelIliffffEvbT_PKS0_N9rocsparse24const_host_device_scalarIT4_EES2_PKT0_PKT1_PKT2_S6_PT3_21rocsparse_index_base_b.private_seg_size, 0
	.set _ZL33csrmvn_symm_large_adaptive_kernelIliffffEvbT_PKS0_N9rocsparse24const_host_device_scalarIT4_EES2_PKT0_PKT1_PKT2_S6_PT3_21rocsparse_index_base_b.uses_vcc, 1
	.set _ZL33csrmvn_symm_large_adaptive_kernelIliffffEvbT_PKS0_N9rocsparse24const_host_device_scalarIT4_EES2_PKT0_PKT1_PKT2_S6_PT3_21rocsparse_index_base_b.uses_flat_scratch, 0
	.set _ZL33csrmvn_symm_large_adaptive_kernelIliffffEvbT_PKS0_N9rocsparse24const_host_device_scalarIT4_EES2_PKT0_PKT1_PKT2_S6_PT3_21rocsparse_index_base_b.has_dyn_sized_stack, 0
	.set _ZL33csrmvn_symm_large_adaptive_kernelIliffffEvbT_PKS0_N9rocsparse24const_host_device_scalarIT4_EES2_PKT0_PKT1_PKT2_S6_PT3_21rocsparse_index_base_b.has_recursion, 0
	.set _ZL33csrmvn_symm_large_adaptive_kernelIliffffEvbT_PKS0_N9rocsparse24const_host_device_scalarIT4_EES2_PKT0_PKT1_PKT2_S6_PT3_21rocsparse_index_base_b.has_indirect_call, 0
	.section	.AMDGPU.csdata,"",@progbits
; Kernel info:
; codeLenInByte = 1992
; TotalNumSgprs: 34
; NumVgprs: 14
; ScratchSize: 0
; MemoryBound: 0
; FloatMode: 240
; IeeeMode: 1
; LDSByteSize: 4096 bytes/workgroup (compile time only)
; SGPRBlocks: 0
; VGPRBlocks: 1
; NumSGPRsForWavesPerEU: 34
; NumVGPRsForWavesPerEU: 14
; Occupancy: 16
; WaveLimiterHint : 1
; COMPUTE_PGM_RSRC2:SCRATCH_EN: 0
; COMPUTE_PGM_RSRC2:USER_SGPR: 2
; COMPUTE_PGM_RSRC2:TRAP_HANDLER: 0
; COMPUTE_PGM_RSRC2:TGID_X_EN: 1
; COMPUTE_PGM_RSRC2:TGID_Y_EN: 0
; COMPUTE_PGM_RSRC2:TGID_Z_EN: 0
; COMPUTE_PGM_RSRC2:TIDIG_COMP_CNT: 0
	.section	.text._ZN9rocsparseL22csrmvn_adaptive_kernelIllffffEEvbT_PKS1_PjPKT0_NS_24const_host_device_scalarIT4_EES3_S7_PKT1_PKT2_SA_PT3_21rocsparse_index_base_b,"axG",@progbits,_ZN9rocsparseL22csrmvn_adaptive_kernelIllffffEEvbT_PKS1_PjPKT0_NS_24const_host_device_scalarIT4_EES3_S7_PKT1_PKT2_SA_PT3_21rocsparse_index_base_b,comdat
	.globl	_ZN9rocsparseL22csrmvn_adaptive_kernelIllffffEEvbT_PKS1_PjPKT0_NS_24const_host_device_scalarIT4_EES3_S7_PKT1_PKT2_SA_PT3_21rocsparse_index_base_b ; -- Begin function _ZN9rocsparseL22csrmvn_adaptive_kernelIllffffEEvbT_PKS1_PjPKT0_NS_24const_host_device_scalarIT4_EES3_S7_PKT1_PKT2_SA_PT3_21rocsparse_index_base_b
	.p2align	8
	.type	_ZN9rocsparseL22csrmvn_adaptive_kernelIllffffEEvbT_PKS1_PjPKT0_NS_24const_host_device_scalarIT4_EES3_S7_PKT1_PKT2_SA_PT3_21rocsparse_index_base_b,@function
_ZN9rocsparseL22csrmvn_adaptive_kernelIllffffEEvbT_PKS1_PjPKT0_NS_24const_host_device_scalarIT4_EES3_S7_PKT1_PKT2_SA_PT3_21rocsparse_index_base_b: ; @_ZN9rocsparseL22csrmvn_adaptive_kernelIllffffEEvbT_PKS1_PjPKT0_NS_24const_host_device_scalarIT4_EES3_S7_PKT1_PKT2_SA_PT3_21rocsparse_index_base_b
; %bb.0:
	s_clause 0x2
	s_load_b64 s[38:39], s[0:1], 0x60
	s_load_b64 s[36:37], s[0:1], 0x28
	;; [unrolled: 1-line block ×3, first 2 shown]
	s_wait_kmcnt 0x0
	s_bitcmp1_b32 s39, 0
	s_cselect_b32 s2, -1, 0
	s_delay_alu instid0(SALU_CYCLE_1)
	s_and_b32 vcc_lo, exec_lo, s2
	s_xor_b32 s2, s2, -1
	s_cbranch_vccnz .LBB7_2
; %bb.1:
	s_load_b32 s36, s[36:37], 0x0
.LBB7_2:
	s_and_not1_b32 vcc_lo, exec_lo, s2
	s_cbranch_vccnz .LBB7_4
; %bb.3:
	s_load_b32 s24, s[24:25], 0x0
.LBB7_4:
	s_wait_kmcnt 0x0
	s_cmp_neq_f32 s36, 0
	s_cselect_b32 s2, -1, 0
	s_cmp_neq_f32 s24, 1.0
	s_cselect_b32 s3, -1, 0
	s_delay_alu instid0(SALU_CYCLE_1) | instskip(NEXT) | instid1(SALU_CYCLE_1)
	s_or_b32 s2, s2, s3
	s_and_not1_b32 vcc_lo, exec_lo, s2
	s_cbranch_vccnz .LBB7_114
; %bb.5:
	s_clause 0x1
	s_load_b64 s[2:3], s[0:1], 0x10
	s_load_b64 s[6:7], s[0:1], 0x20
	s_mov_b32 s40, ttmp9
	s_ashr_i32 s41, ttmp9, 31
	s_delay_alu instid0(SALU_CYCLE_1)
	s_lshl_b64 s[4:5], s[40:41], 3
	s_wait_kmcnt 0x0
	s_add_nc_u64 s[2:3], s[2:3], s[4:5]
	s_add_nc_u64 s[4:5], s[6:7], s[4:5]
	s_load_b128 s[20:23], s[2:3], 0x0
	s_clause 0x1
	s_load_b256 s[12:19], s[0:1], 0x30
	s_load_b64 s[26:27], s[0:1], 0x58
	s_wait_kmcnt 0x0
	s_lshl_b64 s[2:3], s[20:21], 3
	s_delay_alu instid0(SALU_CYCLE_1) | instskip(SKIP_3) | instid1(SALU_CYCLE_1)
	s_add_nc_u64 s[34:35], s[12:13], s[2:3]
	s_load_b64 s[28:29], s[4:5], 0x0
	s_load_b64 s[30:31], s[34:35], 0x0
	s_sub_nc_u64 s[2:3], s[22:23], s[20:21]
	v_cmp_lt_i64_e64 s4, s[2:3], 2
	s_and_b32 vcc_lo, exec_lo, s4
	s_mov_b32 s4, -1
	s_cbranch_vccz .LBB7_70
; %bb.6:
	s_cmp_lg_u64 s[2:3], 1
	v_cmp_gt_u32_e64 s2, 0x80, v0
	s_cselect_b32 s4, -1, 0
	s_wait_kmcnt 0x0
	s_cmp_lg_u64 s[28:29], 0
	v_cmp_gt_u32_e64 s3, 64, v0
	s_cselect_b32 s5, -1, 0
	v_cmp_gt_u32_e64 s6, 8, v0
	s_or_b32 s5, s4, s5
	v_cmp_gt_u32_e64 s4, 32, v0
	s_and_b32 vcc_lo, exec_lo, s5
	v_cmp_gt_u32_e64 s5, 16, v0
	v_cmp_gt_u32_e64 s7, 4, v0
	v_cmp_gt_u32_e64 s8, 2, v0
	v_cmp_eq_u32_e64 s9, 0, v0
	s_mov_b32 s10, -1
	s_cbranch_vccnz .LBB7_34
; %bb.7:
	v_sub_co_u32 v8, s10, v0, s38
	s_cmp_neq_f32 s24, 0
	v_dual_mov_b32 v7, 0 :: v_dual_lshlrev_b32 v10, 2, v0
	v_sub_co_ci_u32_e64 v9, null, 0, 0, s10
	s_cselect_b32 s11, -1, 0
	s_mov_b32 s39, 0
	s_mov_b64 s[42:43], s[20:21]
	s_branch .LBB7_10
.LBB7_8:                                ;   in Loop: Header=BB7_10 Depth=1
	s_lshl_b64 s[44:45], s[42:43], 2
	s_wait_alu 0xfffe
	s_add_nc_u64 s[44:45], s[26:27], s[44:45]
	s_wait_dscnt 0x0
	global_store_b32 v7, v1, s[44:45]
.LBB7_9:                                ;   in Loop: Header=BB7_10 Depth=1
	s_wait_alu 0xfffe
	s_or_b32 exec_lo, exec_lo, s10
	s_add_nc_u64 s[42:43], s[42:43], 1
	s_wait_alu 0xfffe
	v_cmp_ge_i64_e64 s10, s[42:43], s[22:23]
	s_and_b32 vcc_lo, exec_lo, s10
	s_wait_alu 0xfffe
	s_cbranch_vccnz .LBB7_33
.LBB7_10:                               ; =>This Loop Header: Depth=1
                                        ;     Child Loop BB7_12 Depth 2
	s_lshl_b64 s[44:45], s[42:43], 3
	v_mov_b32_e32 v11, 0
	s_wait_alu 0xfffe
	s_add_nc_u64 s[44:45], s[12:13], s[44:45]
	s_mov_b32 s25, exec_lo
	s_load_b128 s[44:47], s[44:45], 0x0
	s_wait_kmcnt 0x0
	v_add_co_u32 v1, vcc_lo, s44, v8
	s_wait_alu 0xfffd
	v_add_co_ci_u32_e64 v2, null, s45, v9, vcc_lo
	s_sub_nc_u64 s[44:45], s[46:47], s[38:39]
	s_wait_alu 0xfffe
	v_cmpx_gt_i64_e64 s[44:45], v[1:2]
	s_cbranch_execz .LBB7_14
; %bb.11:                               ;   in Loop: Header=BB7_10 Depth=1
	v_lshlrev_b64_e32 v[3:4], 2, v[1:2]
	v_lshlrev_b64_e32 v[5:6], 3, v[1:2]
	v_mov_b32_e32 v11, 0
	s_mov_b32 s33, 0
	s_delay_alu instid0(VALU_DEP_3)
	v_add_co_u32 v3, vcc_lo, s16, v3
	s_wait_alu 0xfffd
	v_add_co_ci_u32_e64 v4, null, s17, v4, vcc_lo
	v_add_co_u32 v5, vcc_lo, s14, v5
	s_wait_alu 0xfffd
	v_add_co_ci_u32_e64 v6, null, s15, v6, vcc_lo
.LBB7_12:                               ;   Parent Loop BB7_10 Depth=1
                                        ; =>  This Inner Loop Header: Depth=2
	global_load_b64 v[12:13], v[5:6], off
	global_load_b32 v14, v[3:4], off
	v_add_co_u32 v5, s10, 0x800, v5
	s_wait_alu 0xf1ff
	v_add_co_ci_u32_e64 v6, null, 0, v6, s10
	s_wait_loadcnt 0x1
	v_sub_co_u32 v12, vcc_lo, v12, s38
	s_wait_alu 0xfffd
	v_subrev_co_ci_u32_e64 v13, null, 0, v13, vcc_lo
	s_delay_alu instid0(VALU_DEP_1) | instskip(NEXT) | instid1(VALU_DEP_1)
	v_lshlrev_b64_e32 v[12:13], 2, v[12:13]
	v_add_co_u32 v12, vcc_lo, s18, v12
	s_wait_alu 0xfffd
	s_delay_alu instid0(VALU_DEP_2)
	v_add_co_ci_u32_e64 v13, null, s19, v13, vcc_lo
	v_add_co_u32 v1, vcc_lo, 0x100, v1
	s_wait_alu 0xfffd
	v_add_co_ci_u32_e64 v2, null, 0, v2, vcc_lo
	global_load_b32 v12, v[12:13], off
	v_add_co_u32 v3, vcc_lo, 0x400, v3
	s_wait_loadcnt 0x1
	v_mul_f32_e32 v13, s36, v14
	s_wait_alu 0xfffd
	v_add_co_ci_u32_e64 v4, null, 0, v4, vcc_lo
	v_cmp_le_i64_e32 vcc_lo, s[44:45], v[1:2]
	s_or_b32 s33, vcc_lo, s33
	s_wait_loadcnt 0x0
	v_fmac_f32_e32 v11, v13, v12
	s_and_not1_b32 exec_lo, exec_lo, s33
	s_cbranch_execnz .LBB7_12
; %bb.13:                               ;   in Loop: Header=BB7_10 Depth=1
	s_or_b32 exec_lo, exec_lo, s33
.LBB7_14:                               ;   in Loop: Header=BB7_10 Depth=1
	s_delay_alu instid0(SALU_CYCLE_1)
	s_or_b32 exec_lo, exec_lo, s25
	ds_store_b32 v10, v11
	s_wait_dscnt 0x0
	s_barrier_signal -1
	s_barrier_wait -1
	global_inv scope:SCOPE_SE
	s_and_saveexec_b32 s10, s2
	s_cbranch_execz .LBB7_16
; %bb.15:                               ;   in Loop: Header=BB7_10 Depth=1
	ds_load_2addr_stride64_b32 v[1:2], v10 offset1:2
	s_wait_dscnt 0x0
	v_add_f32_e32 v1, v1, v2
	ds_store_b32 v10, v1
.LBB7_16:                               ;   in Loop: Header=BB7_10 Depth=1
	s_wait_alu 0xfffe
	s_or_b32 exec_lo, exec_lo, s10
	s_wait_loadcnt_dscnt 0x0
	s_barrier_signal -1
	s_barrier_wait -1
	global_inv scope:SCOPE_SE
	s_and_saveexec_b32 s10, s3
	s_cbranch_execz .LBB7_18
; %bb.17:                               ;   in Loop: Header=BB7_10 Depth=1
	ds_load_2addr_stride64_b32 v[1:2], v10 offset1:1
	s_wait_dscnt 0x0
	v_add_f32_e32 v1, v1, v2
	ds_store_b32 v10, v1
.LBB7_18:                               ;   in Loop: Header=BB7_10 Depth=1
	s_wait_alu 0xfffe
	s_or_b32 exec_lo, exec_lo, s10
	s_wait_loadcnt_dscnt 0x0
	s_barrier_signal -1
	s_barrier_wait -1
	global_inv scope:SCOPE_SE
	s_and_saveexec_b32 s10, s4
	s_cbranch_execz .LBB7_20
; %bb.19:                               ;   in Loop: Header=BB7_10 Depth=1
	ds_load_2addr_b32 v[1:2], v10 offset1:32
	s_wait_dscnt 0x0
	v_add_f32_e32 v1, v1, v2
	ds_store_b32 v10, v1
.LBB7_20:                               ;   in Loop: Header=BB7_10 Depth=1
	s_wait_alu 0xfffe
	s_or_b32 exec_lo, exec_lo, s10
	s_wait_loadcnt_dscnt 0x0
	s_barrier_signal -1
	s_barrier_wait -1
	global_inv scope:SCOPE_SE
	s_and_saveexec_b32 s10, s5
	s_cbranch_execz .LBB7_22
; %bb.21:                               ;   in Loop: Header=BB7_10 Depth=1
	ds_load_2addr_b32 v[1:2], v10 offset1:16
	s_wait_dscnt 0x0
	v_add_f32_e32 v1, v1, v2
	ds_store_b32 v10, v1
.LBB7_22:                               ;   in Loop: Header=BB7_10 Depth=1
	;; [unrolled: 14-line block ×5, first 2 shown]
	s_wait_alu 0xfffe
	s_or_b32 exec_lo, exec_lo, s10
	s_wait_loadcnt_dscnt 0x0
	s_barrier_signal -1
	s_barrier_wait -1
	global_inv scope:SCOPE_SE
	s_and_saveexec_b32 s10, s9
	s_cbranch_execz .LBB7_30
; %bb.29:                               ;   in Loop: Header=BB7_10 Depth=1
	ds_load_b64 v[1:2], v7
	s_wait_dscnt 0x0
	v_add_f32_e32 v1, v1, v2
	ds_store_b32 v7, v1
.LBB7_30:                               ;   in Loop: Header=BB7_10 Depth=1
	s_wait_alu 0xfffe
	s_or_b32 exec_lo, exec_lo, s10
	s_wait_loadcnt_dscnt 0x0
	s_barrier_signal -1
	s_barrier_wait -1
	global_inv scope:SCOPE_SE
	s_and_saveexec_b32 s10, s9
	s_cbranch_execz .LBB7_9
; %bb.31:                               ;   in Loop: Header=BB7_10 Depth=1
	ds_load_b32 v1, v7
	s_and_not1_b32 vcc_lo, exec_lo, s11
	s_wait_alu 0xfffe
	s_cbranch_vccnz .LBB7_8
; %bb.32:                               ;   in Loop: Header=BB7_10 Depth=1
	s_lshl_b64 s[44:45], s[42:43], 2
	s_wait_alu 0xfffe
	s_add_nc_u64 s[44:45], s[26:27], s[44:45]
	global_load_b32 v2, v7, s[44:45]
	s_wait_loadcnt_dscnt 0x0
	v_fmac_f32_e32 v1, s24, v2
	s_branch .LBB7_8
.LBB7_33:
	s_mov_b32 s10, 0
.LBB7_34:
	s_wait_alu 0xfffe
	s_and_b32 vcc_lo, exec_lo, s10
	s_wait_alu 0xfffe
	s_cbranch_vccz .LBB7_69
; %bb.35:
	s_load_b64 s[6:7], s[0:1], 0x18
	v_mov_b32_e32 v8, 0
	s_lshl_b64 s[2:3], s[40:41], 2
	s_cmp_lg_u64 s[28:29], 0
	v_cmp_eq_u32_e32 vcc_lo, 0, v0
	s_cselect_b32 s25, -1, 0
	s_cmp_eq_u64 s[28:29], 0
	s_sub_nc_u64 s[8:9], s[40:41], s[28:29]
	s_mov_b32 s39, 0
	s_wait_kmcnt 0x0
	s_wait_alu 0xfffe
	s_add_nc_u64 s[4:5], s[6:7], s[2:3]
	s_cselect_b32 s2, -1, 0
	global_load_b32 v7, v8, s[4:5]
	s_wait_alu 0xfffe
	s_and_b32 s2, vcc_lo, s2
	s_wait_alu 0xfffe
	s_and_saveexec_b32 s3, s2
	s_cbranch_execz .LBB7_39
; %bb.36:
	v_mov_b32_e32 v1, 0
	s_lshl_b64 s[40:41], s[20:21], 2
	s_mov_b32 s10, exec_lo
	s_add_nc_u64 s[40:41], s[26:27], s[40:41]
	s_wait_alu 0xfffe
	v_mbcnt_lo_u32_b32 v3, s10, 0
	global_load_b32 v2, v1, s[40:41]
	s_add_f32 s11, s24, -1.0
	s_mov_b32 s33, exec_lo
	s_wait_loadcnt 0x0
	s_wait_storecnt 0x0
	global_inv scope:SCOPE_DEV
	v_cmpx_eq_u32_e32 0, v3
	s_cbranch_execz .LBB7_38
; %bb.37:
	s_bcnt1_i32_b32 s2, s10
	s_lshl_b64 s[40:41], s[8:9], 2
	s_wait_alu 0xfffe
	s_and_b32 s2, s2, 1
	s_add_nc_u64 s[40:41], s[6:7], s[40:41]
	s_wait_alu 0xfffe
	v_mov_b32_e32 v3, s2
	global_atomic_xor_b32 v1, v3, s[40:41] scope:SCOPE_DEV
.LBB7_38:
	s_or_b32 exec_lo, exec_lo, s33
	s_wait_alu 0xfffe
	v_mul_f32_e32 v8, s11, v2
.LBB7_39:
	s_wait_alu 0xfffe
	s_or_b32 exec_lo, exec_lo, s3
	s_load_b64 s[2:3], s[34:35], 0x8
	s_mul_u64 s[10:11], s[28:29], 0xc00
	s_sub_nc_u64 s[40:41], s[30:31], s[38:39]
	s_mov_b32 s33, exec_lo
	s_wait_alu 0xfffe
	s_add_nc_u64 s[40:41], s[40:41], s[10:11]
	s_delay_alu instid0(SALU_CYCLE_1)
	v_add_co_u32 v1, s10, s40, v0
	s_wait_alu 0xf1ff
	v_add_co_ci_u32_e64 v2, null, s41, 0, s10
	s_wait_kmcnt 0x0
	s_sub_nc_u64 s[10:11], s[2:3], s[38:39]
	s_wait_alu 0xfffe
	s_delay_alu instid0(VALU_DEP_1)
	v_cmpx_gt_i64_e64 s[10:11], v[1:2]
	s_cbranch_execz .LBB7_43
; %bb.40:
	v_lshlrev_b64_e32 v[3:4], 2, v[1:2]
	s_add_nc_u64 s[40:41], s[40:41], 0xc00
	v_lshlrev_b64_e32 v[5:6], 3, v[1:2]
	s_wait_alu 0xfffe
	v_cmp_lt_i64_e64 s3, s[40:41], s[10:11]
	s_mov_b32 s37, 0
	v_add_co_u32 v3, s2, s16, v3
	s_wait_alu 0xf1ff
	v_add_co_ci_u32_e64 v4, null, s17, v4, s2
	s_and_b32 s2, s3, exec_lo
	v_add_co_u32 v5, s2, s14, v5
	s_wait_alu 0xf1fe
	v_add_co_ci_u32_e64 v6, null, s15, v6, s2
	s_cselect_b32 s11, s41, s11
	s_cselect_b32 s10, s40, s10
.LBB7_41:                               ; =>This Inner Loop Header: Depth=1
	global_load_b64 v[9:10], v[5:6], off
	global_load_b32 v11, v[3:4], off
	v_add_co_u32 v5, s3, 0x800, v5
	s_wait_alu 0xf1ff
	v_add_co_ci_u32_e64 v6, null, 0, v6, s3
	s_wait_loadcnt 0x1
	v_sub_co_u32 v9, s2, v9, s38
	s_wait_alu 0xf1ff
	v_subrev_co_ci_u32_e64 v10, null, 0, v10, s2
	s_delay_alu instid0(VALU_DEP_1) | instskip(NEXT) | instid1(VALU_DEP_1)
	v_lshlrev_b64_e32 v[9:10], 2, v[9:10]
	v_add_co_u32 v9, s2, s18, v9
	s_wait_alu 0xf1ff
	s_delay_alu instid0(VALU_DEP_2)
	v_add_co_ci_u32_e64 v10, null, s19, v10, s2
	v_add_co_u32 v1, s2, 0x100, v1
	s_wait_alu 0xf1ff
	v_add_co_ci_u32_e64 v2, null, 0, v2, s2
	global_load_b32 v9, v[9:10], off
	v_add_co_u32 v3, s2, 0x400, v3
	s_wait_loadcnt 0x1
	v_mul_f32_e32 v10, s36, v11
	s_wait_alu 0xf1ff
	v_add_co_ci_u32_e64 v4, null, 0, v4, s2
	s_wait_alu 0xfffe
	v_cmp_le_i64_e64 s2, s[10:11], v[1:2]
	s_or_b32 s37, s2, s37
	s_wait_loadcnt 0x0
	v_fmac_f32_e32 v8, v10, v9
	s_wait_alu 0xfffe
	s_and_not1_b32 exec_lo, exec_lo, s37
	s_cbranch_execnz .LBB7_41
; %bb.42:
	s_or_b32 exec_lo, exec_lo, s37
.LBB7_43:
	s_delay_alu instid0(SALU_CYCLE_1)
	s_or_b32 exec_lo, exec_lo, s33
	v_lshlrev_b32_e32 v1, 2, v0
	s_mov_b32 s3, exec_lo
	ds_store_b32 v1, v8
	s_wait_storecnt 0x0
	s_wait_loadcnt_dscnt 0x0
	s_barrier_signal -1
	s_barrier_wait -1
	global_inv scope:SCOPE_SE
	v_cmpx_gt_u32_e32 0x80, v0
	s_cbranch_execz .LBB7_45
; %bb.44:
	ds_load_2addr_stride64_b32 v[2:3], v1 offset1:2
	s_wait_dscnt 0x0
	v_add_f32_e32 v2, v2, v3
	ds_store_b32 v1, v2
.LBB7_45:
	s_wait_alu 0xfffe
	s_or_b32 exec_lo, exec_lo, s3
	s_delay_alu instid0(SALU_CYCLE_1)
	s_mov_b32 s3, exec_lo
	s_wait_loadcnt_dscnt 0x0
	s_barrier_signal -1
	s_barrier_wait -1
	global_inv scope:SCOPE_SE
	v_cmpx_gt_u32_e32 64, v0
	s_cbranch_execz .LBB7_47
; %bb.46:
	ds_load_2addr_stride64_b32 v[2:3], v1 offset1:1
	s_wait_dscnt 0x0
	v_add_f32_e32 v2, v2, v3
	ds_store_b32 v1, v2
.LBB7_47:
	s_wait_alu 0xfffe
	s_or_b32 exec_lo, exec_lo, s3
	s_delay_alu instid0(SALU_CYCLE_1)
	s_mov_b32 s3, exec_lo
	s_wait_loadcnt_dscnt 0x0
	s_barrier_signal -1
	s_barrier_wait -1
	global_inv scope:SCOPE_SE
	v_cmpx_gt_u32_e32 32, v0
	s_cbranch_execz .LBB7_49
; %bb.48:
	ds_load_2addr_b32 v[2:3], v1 offset1:32
	s_wait_dscnt 0x0
	v_add_f32_e32 v2, v2, v3
	ds_store_b32 v1, v2
.LBB7_49:
	s_wait_alu 0xfffe
	s_or_b32 exec_lo, exec_lo, s3
	s_delay_alu instid0(SALU_CYCLE_1)
	s_mov_b32 s3, exec_lo
	s_wait_loadcnt_dscnt 0x0
	s_barrier_signal -1
	s_barrier_wait -1
	global_inv scope:SCOPE_SE
	v_cmpx_gt_u32_e32 16, v0
	s_cbranch_execz .LBB7_51
; %bb.50:
	ds_load_2addr_b32 v[2:3], v1 offset1:16
	s_wait_dscnt 0x0
	v_add_f32_e32 v2, v2, v3
	ds_store_b32 v1, v2
.LBB7_51:
	;; [unrolled: 16-line block ×5, first 2 shown]
	s_wait_alu 0xfffe
	s_or_b32 exec_lo, exec_lo, s3
	s_wait_loadcnt_dscnt 0x0
	s_barrier_signal -1
	s_barrier_wait -1
	global_inv scope:SCOPE_SE
	s_and_saveexec_b32 s2, vcc_lo
	s_cbranch_execz .LBB7_59
; %bb.58:
	v_mov_b32_e32 v3, 0
	ds_load_b64 v[1:2], v3
	s_wait_dscnt 0x0
	v_add_f32_e32 v1, v1, v2
	ds_store_b32 v3, v1
.LBB7_59:
	s_wait_alu 0xfffe
	s_or_b32 exec_lo, exec_lo, s2
	s_wait_loadcnt_dscnt 0x0
	s_barrier_signal -1
	s_barrier_wait -1
	global_inv scope:SCOPE_SE
	s_and_saveexec_b32 s10, vcc_lo
	s_cbranch_execz .LBB7_68
; %bb.60:
	s_and_not1_b32 vcc_lo, exec_lo, s25
	s_wait_alu 0xfffe
	s_cbranch_vccnz .LBB7_66
; %bb.61:
	v_mov_b32_e32 v1, 0
	s_lshl_b64 s[2:3], s[8:9], 2
	s_wait_alu 0xfffe
	s_add_nc_u64 s[2:3], s[6:7], s[2:3]
	s_branch .LBB7_63
.LBB7_62:                               ;   in Loop: Header=BB7_63 Depth=1
	s_wait_alu 0xfffe
	s_or_b32 exec_lo, exec_lo, s6
	s_wait_loadcnt 0x0
	v_readfirstlane_b32 s6, v2
	s_wait_alu 0xf1ff
	s_delay_alu instid0(VALU_DEP_1)
	v_cmp_eq_u32_e32 vcc_lo, s6, v7
	s_cbranch_vccz .LBB7_65
.LBB7_63:                               ; =>This Inner Loop Header: Depth=1
	v_mbcnt_lo_u32_b32 v2, exec_lo, 0
	s_delay_alu instid0(VALU_DEP_1)
	v_cmp_eq_u32_e32 vcc_lo, 0, v2
                                        ; implicit-def: $vgpr2
	s_and_saveexec_b32 s6, vcc_lo
	s_cbranch_execz .LBB7_62
; %bb.64:                               ;   in Loop: Header=BB7_63 Depth=1
	global_load_b32 v2, v1, s[2:3] scope:SCOPE_DEV
	s_branch .LBB7_62
.LBB7_65:
	v_mov_b32_e32 v1, 0
	global_load_u16 v2, v1, s[4:5]
	s_wait_loadcnt 0x0
	v_xor_b32_e32 v2, 1, v2
	global_store_b16 v1, v2, s[4:5]
.LBB7_66:
	s_mov_b32 s2, exec_lo
	s_wait_alu 0xfffe
	v_mbcnt_lo_u32_b32 v1, s2, 0
	s_delay_alu instid0(VALU_DEP_1)
	v_cmp_eq_u32_e32 vcc_lo, 0, v1
	s_and_b32 s3, exec_lo, vcc_lo
	s_wait_alu 0xfffe
	s_mov_b32 exec_lo, s3
	s_cbranch_execz .LBB7_68
; %bb.67:
	s_bcnt1_i32_b32 s2, s2
	s_wait_alu 0xfffe
	v_cvt_f32_ubyte0_e32 v3, s2
	v_mov_b32_e32 v1, 0
	s_lshl_b64 s[2:3], s[20:21], 2
	s_wait_alu 0xfffe
	s_add_nc_u64 s[2:3], s[26:27], s[2:3]
	ds_load_b32 v2, v1
	s_wait_dscnt 0x0
	v_mul_f32_e32 v2, v2, v3
	global_atomic_add_f32 v1, v2, s[2:3] scope:SCOPE_DEV
.LBB7_68:
	s_wait_alu 0xfffe
	s_or_b32 exec_lo, exec_lo, s10
.LBB7_69:
	s_mov_b32 s4, 0
.LBB7_70:
	s_delay_alu instid0(SALU_CYCLE_1)
	s_and_not1_b32 vcc_lo, exec_lo, s4
	s_wait_alu 0xfffe
	s_cbranch_vccnz .LBB7_114
; %bb.71:
	s_load_b64 s[0:1], s[0:1], 0x8
	v_sub_co_u32 v1, s2, v0, s38
	s_wait_alu 0xf1ff
	v_sub_co_ci_u32_e64 v2, null, 0, 0, s2
	s_mov_b32 s39, 0
	s_wait_kmcnt 0x0
	v_add_co_u32 v1, vcc_lo, s30, v1
	s_wait_alu 0xfffd
	v_add_co_ci_u32_e64 v2, null, s31, v2, vcc_lo
	s_delay_alu instid0(VALU_DEP_2) | instskip(SKIP_1) | instid1(VALU_DEP_2)
	v_add_co_u32 v3, vcc_lo, 0x300, v1
	s_wait_alu 0xfffd
	v_add_co_ci_u32_e64 v4, null, 0, v2, vcc_lo
	s_delay_alu instid0(VALU_DEP_1)
	v_cmp_le_i64_e32 vcc_lo, s[0:1], v[3:4]
	s_and_saveexec_b32 s0, vcc_lo
	s_wait_alu 0xfffe
	s_xor_b32 s1, exec_lo, s0
	s_cbranch_execz .LBB7_76
; %bb.72:
	s_lshl_b64 s[2:3], s[22:23], 3
	s_mov_b32 s4, exec_lo
	s_wait_alu 0xfffe
	s_add_nc_u64 s[2:3], s[12:13], s[2:3]
	s_load_b64 s[2:3], s[2:3], 0x0
	s_wait_kmcnt 0x0
	s_sub_nc_u64 s[2:3], s[2:3], s[38:39]
	s_wait_alu 0xfffe
	v_cmpx_gt_i64_e64 s[2:3], v[1:2]
	s_cbranch_execz .LBB7_75
; %bb.73:
	v_lshlrev_b64_e32 v[3:4], 2, v[1:2]
	v_lshlrev_b64_e32 v[5:6], 3, v[1:2]
	v_lshlrev_b32_e32 v7, 2, v0
	s_mov_b32 s5, 0
	s_delay_alu instid0(VALU_DEP_3)
	v_add_co_u32 v3, vcc_lo, s16, v3
	s_wait_alu 0xfffd
	v_add_co_ci_u32_e64 v4, null, s17, v4, vcc_lo
	v_add_co_u32 v5, vcc_lo, s14, v5
	s_wait_alu 0xfffd
	v_add_co_ci_u32_e64 v6, null, s15, v6, vcc_lo
.LBB7_74:                               ; =>This Inner Loop Header: Depth=1
	global_load_b64 v[8:9], v[5:6], off
	global_load_b32 v10, v[3:4], off
	s_wait_loadcnt 0x1
	v_sub_co_u32 v8, vcc_lo, v8, s38
	s_wait_alu 0xfffd
	v_subrev_co_ci_u32_e64 v9, null, 0, v9, vcc_lo
	s_delay_alu instid0(VALU_DEP_1) | instskip(NEXT) | instid1(VALU_DEP_1)
	v_lshlrev_b64_e32 v[8:9], 2, v[8:9]
	v_add_co_u32 v8, vcc_lo, s18, v8
	s_wait_alu 0xfffd
	s_delay_alu instid0(VALU_DEP_2)
	v_add_co_ci_u32_e64 v9, null, s19, v9, vcc_lo
	v_add_co_u32 v1, vcc_lo, 0x100, v1
	s_wait_alu 0xfffd
	v_add_co_ci_u32_e64 v2, null, 0, v2, vcc_lo
	global_load_b32 v8, v[8:9], off
	s_wait_loadcnt 0x1
	v_mul_f32_e32 v9, s36, v10
	v_add_co_u32 v3, vcc_lo, 0x400, v3
	v_cmp_le_i64_e64 s0, s[2:3], v[1:2]
	s_wait_alu 0xfffd
	v_add_co_ci_u32_e64 v4, null, 0, v4, vcc_lo
	v_add_co_u32 v5, vcc_lo, 0x800, v5
	s_wait_alu 0xfffd
	v_add_co_ci_u32_e64 v6, null, 0, v6, vcc_lo
	s_or_b32 s5, s0, s5
	s_wait_loadcnt 0x0
	v_mul_f32_e32 v8, v9, v8
	ds_store_b32 v7, v8
	v_add_nc_u32_e32 v7, 0x400, v7
	s_and_not1_b32 exec_lo, exec_lo, s5
	s_cbranch_execnz .LBB7_74
.LBB7_75:
	s_or_b32 exec_lo, exec_lo, s4
                                        ; implicit-def: $vgpr1_vgpr2
.LBB7_76:
	s_wait_alu 0xfffe
	s_or_saveexec_b32 s0, s1
	v_lshlrev_b32_e32 v9, 2, v0
	s_wait_alu 0xfffe
	s_xor_b32 exec_lo, exec_lo, s0
	s_cbranch_execz .LBB7_78
; %bb.77:
	v_lshlrev_b64_e32 v[3:4], 3, v[1:2]
	v_lshlrev_b64_e32 v[1:2], 2, v[1:2]
	s_delay_alu instid0(VALU_DEP_2) | instskip(SKIP_1) | instid1(VALU_DEP_3)
	v_add_co_u32 v3, vcc_lo, s14, v3
	s_wait_alu 0xfffd
	v_add_co_ci_u32_e64 v4, null, s15, v4, vcc_lo
	s_delay_alu instid0(VALU_DEP_3)
	v_add_co_u32 v1, vcc_lo, s16, v1
	s_wait_alu 0xfffd
	v_add_co_ci_u32_e64 v2, null, s17, v2, vcc_lo
	s_clause 0x3
	global_load_b64 v[5:6], v[3:4], off
	global_load_b64 v[7:8], v[3:4], off offset:2048
	global_load_b64 v[10:11], v[3:4], off offset:4096
	;; [unrolled: 1-line block ×3, first 2 shown]
	s_clause 0x3
	global_load_b32 v12, v[1:2], off
	global_load_b32 v13, v[1:2], off offset:1024
	global_load_b32 v14, v[1:2], off offset:2048
	;; [unrolled: 1-line block ×3, first 2 shown]
	s_wait_loadcnt 0x7
	v_sub_co_u32 v5, vcc_lo, v5, s38
	s_wait_alu 0xfffd
	v_subrev_co_ci_u32_e64 v6, null, 0, v6, vcc_lo
	s_wait_loadcnt 0x6
	v_sub_co_u32 v7, vcc_lo, v7, s38
	s_wait_alu 0xfffd
	v_subrev_co_ci_u32_e64 v8, null, 0, v8, vcc_lo
	;; [unrolled: 4-line block ×3, first 2 shown]
	s_wait_loadcnt 0x4
	v_sub_co_u32 v3, vcc_lo, v3, s38
	v_lshlrev_b64_e32 v[5:6], 2, v[5:6]
	s_wait_alu 0xfffd
	v_subrev_co_ci_u32_e64 v4, null, 0, v4, vcc_lo
	v_lshlrev_b64_e32 v[1:2], 2, v[7:8]
	v_lshlrev_b64_e32 v[7:8], 2, v[10:11]
	s_delay_alu instid0(VALU_DEP_3)
	v_lshlrev_b64_e32 v[3:4], 2, v[3:4]
	v_add_co_u32 v5, vcc_lo, s18, v5
	s_wait_alu 0xfffd
	v_add_co_ci_u32_e64 v6, null, s19, v6, vcc_lo
	v_add_co_u32 v1, vcc_lo, s18, v1
	s_wait_alu 0xfffd
	v_add_co_ci_u32_e64 v2, null, s19, v2, vcc_lo
	;; [unrolled: 3-line block ×4, first 2 shown]
	s_clause 0x3
	global_load_b32 v5, v[5:6], off
	global_load_b32 v1, v[1:2], off
	;; [unrolled: 1-line block ×4, first 2 shown]
	s_wait_loadcnt 0x5
	v_dual_mul_f32 v4, s36, v12 :: v_dual_mul_f32 v7, s36, v14
	s_wait_loadcnt 0x4
	v_mul_f32_e32 v8, s36, v15
	v_mul_f32_e32 v6, s36, v13
	s_wait_loadcnt 0x3
	v_mul_f32_e32 v4, v4, v5
	s_wait_loadcnt 0x0
	v_dual_mul_f32 v2, v7, v2 :: v_dual_mul_f32 v3, v8, v3
	v_mul_f32_e32 v1, v6, v1
	ds_store_2addr_stride64_b32 v9, v4, v1 offset1:4
	ds_store_2addr_stride64_b32 v9, v2, v3 offset0:8 offset1:12
.LBB7_78:
	s_or_b32 exec_lo, exec_lo, s0
	v_cmp_lt_i64_e64 s0, s[28:29], 2
	s_wait_storecnt 0x0
	s_wait_loadcnt_dscnt 0x0
	s_barrier_signal -1
	s_barrier_wait -1
	global_inv scope:SCOPE_SE
	s_and_b32 vcc_lo, exec_lo, s0
	s_mov_b32 s0, -1
	s_wait_alu 0xfffe
	s_cbranch_vccz .LBB7_89
; %bb.79:
	v_add_co_u32 v5, s0, s20, v0
	s_wait_alu 0xf1ff
	v_add_co_ci_u32_e64 v6, null, s21, 0, s0
	s_mov_b32 s1, exec_lo
	v_cmpx_gt_i64_e64 s[22:23], v[5:6]
	s_cbranch_execz .LBB7_88
; %bb.80:
	s_cmp_neq_f32 s24, 0
	s_mov_b32 s3, 0
	s_cselect_b32 s2, -1, 0
	s_lshl_b32 s0, s30, 2
	s_wait_alu 0xfffe
	s_sub_co_i32 s4, 0, s0
	s_branch .LBB7_82
.LBB7_81:                               ;   in Loop: Header=BB7_82 Depth=1
	v_add_co_u32 v5, vcc_lo, 0x100, v5
	s_wait_alu 0xfffd
	v_add_co_ci_u32_e64 v6, null, 0, v6, vcc_lo
	v_add_co_u32 v1, s0, s26, v1
	s_wait_alu 0xf1ff
	v_add_co_ci_u32_e64 v2, null, s27, v2, s0
	s_delay_alu instid0(VALU_DEP_3)
	v_cmp_le_i64_e32 vcc_lo, s[22:23], v[5:6]
	global_store_b32 v[1:2], v10, off
	s_or_b32 s3, vcc_lo, s3
	s_wait_alu 0xfffe
	s_and_not1_b32 exec_lo, exec_lo, s3
	s_cbranch_execz .LBB7_88
.LBB7_82:                               ; =>This Loop Header: Depth=1
                                        ;     Child Loop BB7_84 Depth 2
	v_lshlrev_b64_e32 v[1:2], 3, v[5:6]
	v_mov_b32_e32 v10, 0
	s_mov_b32 s0, exec_lo
	s_delay_alu instid0(VALU_DEP_2) | instskip(SKIP_1) | instid1(VALU_DEP_3)
	v_add_co_u32 v1, vcc_lo, s12, v1
	s_wait_alu 0xfffd
	v_add_co_ci_u32_e64 v2, null, s13, v2, vcc_lo
	global_load_b128 v[1:4], v[1:2], off
	s_wait_loadcnt 0x0
	v_cmpx_lt_i64_e64 v[1:2], v[3:4]
	s_cbranch_execz .LBB7_86
; %bb.83:                               ;   in Loop: Header=BB7_82 Depth=1
	v_sub_co_u32 v3, vcc_lo, v3, s30
	s_wait_alu 0xfffd
	v_subrev_co_ci_u32_e64 v4, null, s31, v4, vcc_lo
	v_sub_co_u32 v7, vcc_lo, v1, s30
	s_wait_alu 0xfffd
	v_subrev_co_ci_u32_e64 v8, null, s31, v2, vcc_lo
	v_lshl_add_u32 v1, v1, 2, s4
	v_mov_b32_e32 v10, 0
	s_mov_b32 s5, 0
.LBB7_84:                               ;   Parent Loop BB7_82 Depth=1
                                        ; =>  This Inner Loop Header: Depth=2
	ds_load_b32 v2, v1
	v_add_co_u32 v7, vcc_lo, v7, 1
	s_wait_alu 0xfffd
	v_add_co_ci_u32_e64 v8, null, 0, v8, vcc_lo
	v_add_nc_u32_e32 v1, 4, v1
	s_delay_alu instid0(VALU_DEP_2)
	v_cmp_ge_i64_e32 vcc_lo, v[7:8], v[3:4]
	s_wait_alu 0xfffe
	s_or_b32 s5, vcc_lo, s5
	s_wait_dscnt 0x0
	v_add_f32_e32 v10, v10, v2
	s_wait_alu 0xfffe
	s_and_not1_b32 exec_lo, exec_lo, s5
	s_cbranch_execnz .LBB7_84
; %bb.85:                               ;   in Loop: Header=BB7_82 Depth=1
	s_or_b32 exec_lo, exec_lo, s5
.LBB7_86:                               ;   in Loop: Header=BB7_82 Depth=1
	s_wait_alu 0xfffe
	s_or_b32 exec_lo, exec_lo, s0
	v_lshlrev_b64_e32 v[1:2], 2, v[5:6]
	s_and_b32 vcc_lo, exec_lo, s2
	s_wait_alu 0xfffe
	s_cbranch_vccz .LBB7_81
; %bb.87:                               ;   in Loop: Header=BB7_82 Depth=1
	s_delay_alu instid0(VALU_DEP_1)
	v_add_co_u32 v3, vcc_lo, s26, v1
	s_wait_alu 0xfffd
	v_add_co_ci_u32_e64 v4, null, s27, v2, vcc_lo
	global_load_b32 v3, v[3:4], off
	s_wait_loadcnt 0x0
	v_fmac_f32_e32 v10, s24, v3
	s_branch .LBB7_81
.LBB7_88:
	s_wait_alu 0xfffe
	s_or_b32 exec_lo, exec_lo, s1
	s_mov_b32 s0, 0
.LBB7_89:
	s_wait_alu 0xfffe
	s_and_not1_b32 vcc_lo, exec_lo, s0
	s_wait_alu 0xfffe
	s_cbranch_vccnz .LBB7_114
; %bb.90:
	s_clz_i32_u32 s0, s28
	s_mov_b32 s1, exec_lo
	s_wait_alu 0xfffe
	s_min_u32 s0, s0, 32
	s_wait_alu 0xfffe
	s_sub_co_i32 s0, 31, s0
	s_wait_alu 0xfffe
	v_lshrrev_b32_e32 v5, s0, v0
	s_delay_alu instid0(VALU_DEP_1)
	v_add_co_u32 v1, s0, s20, v5
	s_wait_alu 0xf1ff
	v_add_co_ci_u32_e64 v2, null, s21, 0, s0
	s_add_co_i32 s0, s28, -1
	s_wait_alu 0xfffe
	v_dual_mov_b32 v4, 0 :: v_dual_and_b32 v3, s0, v0
	v_cmp_le_i64_e64 s0, s[22:23], v[1:2]
	s_delay_alu instid0(VALU_DEP_2)
	v_mov_b32_e32 v0, v4
	v_cmpx_gt_i64_e64 s[22:23], v[1:2]
	s_cbranch_execz .LBB7_96
; %bb.91:
	v_lshlrev_b32_e32 v0, 3, v5
	global_load_b128 v[10:13], v0, s[34:35]
	v_sub_co_u32 v0, s2, v3, s30
	s_wait_alu 0xf1ff
	v_sub_co_ci_u32_e64 v8, null, 0, s31, s2
	s_mov_b32 s2, exec_lo
	s_wait_loadcnt 0x0
	v_sub_co_u32 v5, vcc_lo, v12, s30
	s_wait_alu 0xfffd
	v_subrev_co_ci_u32_e64 v6, null, s31, v13, vcc_lo
	v_add_co_u32 v7, vcc_lo, v10, v0
	s_wait_alu 0xfffd
	v_add_co_ci_u32_e64 v8, null, v11, v8, vcc_lo
	v_mov_b32_e32 v0, 0
	s_delay_alu instid0(VALU_DEP_2)
	v_cmpx_lt_i64_e64 v[7:8], v[5:6]
	s_cbranch_execz .LBB7_95
; %bb.92:
	v_lshlrev_b32_e32 v10, 2, v7
	v_mov_b32_e32 v0, 0
	s_lshl_b32 s4, s28, 2
	s_mov_b32 s3, 0
.LBB7_93:                               ; =>This Inner Loop Header: Depth=1
	ds_load_b32 v11, v10
	v_add_co_u32 v7, vcc_lo, v7, s28
	s_wait_alu 0xfffd
	v_add_co_ci_u32_e64 v8, null, s29, v8, vcc_lo
	s_wait_alu 0xfffe
	v_add_nc_u32_e32 v10, s4, v10
	s_delay_alu instid0(VALU_DEP_2)
	v_cmp_ge_i64_e32 vcc_lo, v[7:8], v[5:6]
	s_or_b32 s3, vcc_lo, s3
	s_wait_dscnt 0x0
	v_add_f32_e32 v0, v0, v11
	s_wait_alu 0xfffe
	s_and_not1_b32 exec_lo, exec_lo, s3
	s_cbranch_execnz .LBB7_93
; %bb.94:
	s_or_b32 exec_lo, exec_lo, s3
.LBB7_95:
	s_wait_alu 0xfffe
	s_or_b32 exec_lo, exec_lo, s2
.LBB7_96:
	s_delay_alu instid0(SALU_CYCLE_1)
	s_or_b32 exec_lo, exec_lo, s1
	v_cmp_gt_u64_e64 s1, 0x81, s[28:29]
	s_wait_loadcnt 0x0
	s_wait_storecnt 0x0
	s_barrier_signal -1
	s_barrier_wait -1
	global_inv scope:SCOPE_SE
	ds_store_b32 v9, v0
	s_and_b32 vcc_lo, exec_lo, s1
	s_wait_loadcnt_dscnt 0x0
	s_barrier_signal -1
	s_barrier_wait -1
	global_inv scope:SCOPE_SE
	s_wait_alu 0xfffe
	s_cbranch_vccnz .LBB7_98
; %bb.97:
	ds_load_b32 v5, v9 offset:512
	s_wait_loadcnt_dscnt 0x0
	s_barrier_signal -1
	s_barrier_wait -1
	global_inv scope:SCOPE_SE
	v_add_f32_e32 v0, v0, v5
	ds_store_b32 v9, v0
.LBB7_98:
	v_cmp_gt_u64_e64 s1, 0x41, s[28:29]
	s_wait_loadcnt_dscnt 0x0
	s_barrier_signal -1
	s_barrier_wait -1
	global_inv scope:SCOPE_SE
	s_and_b32 vcc_lo, exec_lo, s1
	s_wait_alu 0xfffe
	s_cbranch_vccnz .LBB7_100
; %bb.99:
	ds_load_b32 v5, v9 offset:256
	s_wait_loadcnt_dscnt 0x0
	s_barrier_signal -1
	s_barrier_wait -1
	global_inv scope:SCOPE_SE
	v_add_f32_e32 v0, v0, v5
	ds_store_b32 v9, v0
.LBB7_100:
	v_cmp_lt_u64_e64 s1, s[28:29], 33
	s_wait_loadcnt_dscnt 0x0
	s_barrier_signal -1
	s_barrier_wait -1
	global_inv scope:SCOPE_SE
	s_and_b32 vcc_lo, exec_lo, s1
	s_wait_alu 0xfffe
	s_cbranch_vccnz .LBB7_102
; %bb.101:
	ds_load_b32 v5, v9 offset:128
	s_wait_loadcnt_dscnt 0x0
	s_barrier_signal -1
	s_barrier_wait -1
	global_inv scope:SCOPE_SE
	v_add_f32_e32 v0, v0, v5
	ds_store_b32 v9, v0
.LBB7_102:
	v_cmp_lt_u64_e64 s1, s[28:29], 17
	;; [unrolled: 17-line block ×4, first 2 shown]
	s_wait_loadcnt_dscnt 0x0
	s_barrier_signal -1
	s_barrier_wait -1
	global_inv scope:SCOPE_SE
	s_and_b32 vcc_lo, exec_lo, s1
	s_wait_alu 0xfffe
	s_cbranch_vccnz .LBB7_108
; %bb.107:
	ds_load_b32 v5, v9 offset:16
	s_wait_loadcnt_dscnt 0x0
	s_barrier_signal -1
	s_barrier_wait -1
	global_inv scope:SCOPE_SE
	v_add_f32_e32 v0, v0, v5
	ds_store_b32 v9, v0
.LBB7_108:
	s_cmp_eq_u64 s[28:29], 2
	s_wait_loadcnt_dscnt 0x0
	s_barrier_signal -1
	s_barrier_wait -1
	global_inv scope:SCOPE_SE
	s_cbranch_scc1 .LBB7_110
; %bb.109:
	ds_load_b32 v5, v9 offset:8
	s_wait_loadcnt_dscnt 0x0
	s_barrier_signal -1
	s_barrier_wait -1
	global_inv scope:SCOPE_SE
	v_add_f32_e32 v0, v0, v5
	ds_store_b32 v9, v0
.LBB7_110:
	s_wait_loadcnt_dscnt 0x0
	s_barrier_signal -1
	s_barrier_wait -1
	global_inv scope:SCOPE_SE
	ds_load_b32 v5, v9 offset:4
	v_cmp_eq_u64_e32 vcc_lo, 0, v[3:4]
	s_xor_b32 s0, s0, -1
	s_wait_loadcnt_dscnt 0x0
	s_barrier_signal -1
	s_barrier_wait -1
	global_inv scope:SCOPE_SE
	s_wait_alu 0xfffe
	s_and_b32 s0, vcc_lo, s0
	v_add_f32_e32 v3, v0, v5
	ds_store_b32 v9, v3
	s_wait_alu 0xfffe
	s_and_saveexec_b32 s1, s0
	s_cbranch_execz .LBB7_114
; %bb.111:
	v_lshlrev_b64_e32 v[0:1], 2, v[1:2]
	s_cmp_eq_f32 s24, 0
	s_cbranch_scc1 .LBB7_113
; %bb.112:
	s_delay_alu instid0(VALU_DEP_1) | instskip(SKIP_1) | instid1(VALU_DEP_2)
	v_add_co_u32 v4, vcc_lo, s26, v0
	s_wait_alu 0xfffd
	v_add_co_ci_u32_e64 v5, null, s27, v1, vcc_lo
	global_load_b32 v2, v[4:5], off
	s_wait_loadcnt 0x0
	v_fmac_f32_e32 v3, s24, v2
.LBB7_113:
	s_delay_alu instid0(VALU_DEP_1) | instskip(SKIP_1) | instid1(VALU_DEP_2)
	v_add_co_u32 v0, vcc_lo, s26, v0
	s_wait_alu 0xfffd
	v_add_co_ci_u32_e64 v1, null, s27, v1, vcc_lo
	global_store_b32 v[0:1], v3, off
.LBB7_114:
	s_endpgm
	.section	.rodata,"a",@progbits
	.p2align	6, 0x0
	.amdhsa_kernel _ZN9rocsparseL22csrmvn_adaptive_kernelIllffffEEvbT_PKS1_PjPKT0_NS_24const_host_device_scalarIT4_EES3_S7_PKT1_PKT2_SA_PT3_21rocsparse_index_base_b
		.amdhsa_group_segment_fixed_size 4096
		.amdhsa_private_segment_fixed_size 0
		.amdhsa_kernarg_size 104
		.amdhsa_user_sgpr_count 2
		.amdhsa_user_sgpr_dispatch_ptr 0
		.amdhsa_user_sgpr_queue_ptr 0
		.amdhsa_user_sgpr_kernarg_segment_ptr 1
		.amdhsa_user_sgpr_dispatch_id 0
		.amdhsa_user_sgpr_private_segment_size 0
		.amdhsa_wavefront_size32 1
		.amdhsa_uses_dynamic_stack 0
		.amdhsa_enable_private_segment 0
		.amdhsa_system_sgpr_workgroup_id_x 1
		.amdhsa_system_sgpr_workgroup_id_y 0
		.amdhsa_system_sgpr_workgroup_id_z 0
		.amdhsa_system_sgpr_workgroup_info 0
		.amdhsa_system_vgpr_workitem_id 0
		.amdhsa_next_free_vgpr 16
		.amdhsa_next_free_sgpr 48
		.amdhsa_reserve_vcc 1
		.amdhsa_float_round_mode_32 0
		.amdhsa_float_round_mode_16_64 0
		.amdhsa_float_denorm_mode_32 3
		.amdhsa_float_denorm_mode_16_64 3
		.amdhsa_fp16_overflow 0
		.amdhsa_workgroup_processor_mode 1
		.amdhsa_memory_ordered 1
		.amdhsa_forward_progress 1
		.amdhsa_inst_pref_size 43
		.amdhsa_round_robin_scheduling 0
		.amdhsa_exception_fp_ieee_invalid_op 0
		.amdhsa_exception_fp_denorm_src 0
		.amdhsa_exception_fp_ieee_div_zero 0
		.amdhsa_exception_fp_ieee_overflow 0
		.amdhsa_exception_fp_ieee_underflow 0
		.amdhsa_exception_fp_ieee_inexact 0
		.amdhsa_exception_int_div_zero 0
	.end_amdhsa_kernel
	.section	.text._ZN9rocsparseL22csrmvn_adaptive_kernelIllffffEEvbT_PKS1_PjPKT0_NS_24const_host_device_scalarIT4_EES3_S7_PKT1_PKT2_SA_PT3_21rocsparse_index_base_b,"axG",@progbits,_ZN9rocsparseL22csrmvn_adaptive_kernelIllffffEEvbT_PKS1_PjPKT0_NS_24const_host_device_scalarIT4_EES3_S7_PKT1_PKT2_SA_PT3_21rocsparse_index_base_b,comdat
.Lfunc_end7:
	.size	_ZN9rocsparseL22csrmvn_adaptive_kernelIllffffEEvbT_PKS1_PjPKT0_NS_24const_host_device_scalarIT4_EES3_S7_PKT1_PKT2_SA_PT3_21rocsparse_index_base_b, .Lfunc_end7-_ZN9rocsparseL22csrmvn_adaptive_kernelIllffffEEvbT_PKS1_PjPKT0_NS_24const_host_device_scalarIT4_EES3_S7_PKT1_PKT2_SA_PT3_21rocsparse_index_base_b
                                        ; -- End function
	.set _ZN9rocsparseL22csrmvn_adaptive_kernelIllffffEEvbT_PKS1_PjPKT0_NS_24const_host_device_scalarIT4_EES3_S7_PKT1_PKT2_SA_PT3_21rocsparse_index_base_b.num_vgpr, 16
	.set _ZN9rocsparseL22csrmvn_adaptive_kernelIllffffEEvbT_PKS1_PjPKT0_NS_24const_host_device_scalarIT4_EES3_S7_PKT1_PKT2_SA_PT3_21rocsparse_index_base_b.num_agpr, 0
	.set _ZN9rocsparseL22csrmvn_adaptive_kernelIllffffEEvbT_PKS1_PjPKT0_NS_24const_host_device_scalarIT4_EES3_S7_PKT1_PKT2_SA_PT3_21rocsparse_index_base_b.numbered_sgpr, 48
	.set _ZN9rocsparseL22csrmvn_adaptive_kernelIllffffEEvbT_PKS1_PjPKT0_NS_24const_host_device_scalarIT4_EES3_S7_PKT1_PKT2_SA_PT3_21rocsparse_index_base_b.num_named_barrier, 0
	.set _ZN9rocsparseL22csrmvn_adaptive_kernelIllffffEEvbT_PKS1_PjPKT0_NS_24const_host_device_scalarIT4_EES3_S7_PKT1_PKT2_SA_PT3_21rocsparse_index_base_b.private_seg_size, 0
	.set _ZN9rocsparseL22csrmvn_adaptive_kernelIllffffEEvbT_PKS1_PjPKT0_NS_24const_host_device_scalarIT4_EES3_S7_PKT1_PKT2_SA_PT3_21rocsparse_index_base_b.uses_vcc, 1
	.set _ZN9rocsparseL22csrmvn_adaptive_kernelIllffffEEvbT_PKS1_PjPKT0_NS_24const_host_device_scalarIT4_EES3_S7_PKT1_PKT2_SA_PT3_21rocsparse_index_base_b.uses_flat_scratch, 0
	.set _ZN9rocsparseL22csrmvn_adaptive_kernelIllffffEEvbT_PKS1_PjPKT0_NS_24const_host_device_scalarIT4_EES3_S7_PKT1_PKT2_SA_PT3_21rocsparse_index_base_b.has_dyn_sized_stack, 0
	.set _ZN9rocsparseL22csrmvn_adaptive_kernelIllffffEEvbT_PKS1_PjPKT0_NS_24const_host_device_scalarIT4_EES3_S7_PKT1_PKT2_SA_PT3_21rocsparse_index_base_b.has_recursion, 0
	.set _ZN9rocsparseL22csrmvn_adaptive_kernelIllffffEEvbT_PKS1_PjPKT0_NS_24const_host_device_scalarIT4_EES3_S7_PKT1_PKT2_SA_PT3_21rocsparse_index_base_b.has_indirect_call, 0
	.section	.AMDGPU.csdata,"",@progbits
; Kernel info:
; codeLenInByte = 5496
; TotalNumSgprs: 50
; NumVgprs: 16
; ScratchSize: 0
; MemoryBound: 0
; FloatMode: 240
; IeeeMode: 1
; LDSByteSize: 4096 bytes/workgroup (compile time only)
; SGPRBlocks: 0
; VGPRBlocks: 1
; NumSGPRsForWavesPerEU: 50
; NumVGPRsForWavesPerEU: 16
; Occupancy: 16
; WaveLimiterHint : 1
; COMPUTE_PGM_RSRC2:SCRATCH_EN: 0
; COMPUTE_PGM_RSRC2:USER_SGPR: 2
; COMPUTE_PGM_RSRC2:TRAP_HANDLER: 0
; COMPUTE_PGM_RSRC2:TGID_X_EN: 1
; COMPUTE_PGM_RSRC2:TGID_Y_EN: 0
; COMPUTE_PGM_RSRC2:TGID_Z_EN: 0
; COMPUTE_PGM_RSRC2:TIDIG_COMP_CNT: 0
	.section	.text._ZN9rocsparseL22partial_scale_y_kernelIlffEEvT_S1_S1_NS_24const_host_device_scalarIT1_EEPT0_b,"axG",@progbits,_ZN9rocsparseL22partial_scale_y_kernelIlffEEvT_S1_S1_NS_24const_host_device_scalarIT1_EEPT0_b,comdat
	.globl	_ZN9rocsparseL22partial_scale_y_kernelIlffEEvT_S1_S1_NS_24const_host_device_scalarIT1_EEPT0_b ; -- Begin function _ZN9rocsparseL22partial_scale_y_kernelIlffEEvT_S1_S1_NS_24const_host_device_scalarIT1_EEPT0_b
	.p2align	8
	.type	_ZN9rocsparseL22partial_scale_y_kernelIlffEEvT_S1_S1_NS_24const_host_device_scalarIT1_EEPT0_b,@function
_ZN9rocsparseL22partial_scale_y_kernelIlffEEvT_S1_S1_NS_24const_host_device_scalarIT1_EEPT0_b: ; @_ZN9rocsparseL22partial_scale_y_kernelIlffEEvT_S1_S1_NS_24const_host_device_scalarIT1_EEPT0_b
; %bb.0:
	s_clause 0x1
	s_load_b32 s2, s[0:1], 0x28
	s_load_b256 s[4:11], s[0:1], 0x0
	s_wait_kmcnt 0x0
	s_bitcmp1_b32 s2, 0
	s_cselect_b32 s2, -1, 0
	s_delay_alu instid0(SALU_CYCLE_1)
	s_and_b32 vcc_lo, exec_lo, s2
	s_cbranch_vccnz .LBB8_2
; %bb.1:
	s_load_b32 s10, s[10:11], 0x0
.LBB8_2:
	s_wait_kmcnt 0x0
	s_cmp_eq_f32 s10, 1.0
	s_cbranch_scc1 .LBB8_12
; %bb.3:
	v_lshl_or_b32 v0, ttmp9, 8, v0
	v_mov_b32_e32 v1, 0
	s_add_nc_u64 s[2:3], s[6:7], s[4:5]
	s_delay_alu instid0(SALU_CYCLE_1)
	s_sub_nc_u64 s[2:3], s[2:3], s[8:9]
	s_delay_alu instid0(VALU_DEP_1) | instid1(SALU_CYCLE_1)
	v_cmp_gt_i64_e32 vcc_lo, s[2:3], v[0:1]
	s_and_saveexec_b32 s2, vcc_lo
	s_cbranch_execz .LBB8_12
; %bb.4:
	s_load_b64 s[0:1], s[0:1], 0x20
	s_cmp_neq_f32 s10, 0
	s_mov_b32 s3, exec_lo
	s_cselect_b32 s2, -1, 0
	v_cmpx_le_i64_e64 s[6:7], v[0:1]
	s_wait_alu 0xfffe
	s_xor_b32 s3, exec_lo, s3
	s_cbranch_execz .LBB8_8
; %bb.5:
	v_sub_co_u32 v0, s4, v0, s6
	s_delay_alu instid0(VALU_DEP_1)
	v_sub_co_ci_u32_e64 v1, null, 0, s7, s4
	s_lshl_b64 s[4:5], s[8:9], 2
	s_wait_kmcnt 0x0
	s_wait_alu 0xfffe
	s_add_nc_u64 s[4:5], s[0:1], s[4:5]
	v_lshlrev_b64_e32 v[0:1], 2, v[0:1]
	s_wait_alu 0xfffe
	s_delay_alu instid0(VALU_DEP_1) | instskip(NEXT) | instid1(VALU_DEP_1)
	v_add_co_u32 v2, vcc_lo, s4, v0
	v_add_co_ci_u32_e64 v3, null, s5, v1, vcc_lo
	s_and_b32 vcc_lo, exec_lo, s2
	s_wait_alu 0xfffe
	s_cbranch_vccz .LBB8_13
; %bb.6:
	global_load_b32 v0, v[2:3], off
	s_wait_loadcnt 0x0
	v_mul_f32_e32 v0, s10, v0
	global_store_b32 v[2:3], v0, off
                                        ; implicit-def: $vgpr0_vgpr1
	s_cbranch_execnz .LBB8_8
.LBB8_7:
	v_mov_b32_e32 v0, 0
	global_store_b32 v[2:3], v0, off
                                        ; implicit-def: $vgpr0_vgpr1
.LBB8_8:
	s_wait_alu 0xfffe
	s_and_not1_saveexec_b32 s3, s3
	s_cbranch_execz .LBB8_12
; %bb.9:
	v_lshlrev_b64_e32 v[0:1], 2, v[0:1]
	s_wait_kmcnt 0x0
	s_delay_alu instid0(VALU_DEP_1) | instskip(SKIP_1) | instid1(VALU_DEP_2)
	v_add_co_u32 v0, vcc_lo, s0, v0
	s_wait_alu 0xfffd
	v_add_co_ci_u32_e64 v1, null, s1, v1, vcc_lo
	s_and_b32 vcc_lo, exec_lo, s2
	s_wait_alu 0xfffe
	s_cbranch_vccz .LBB8_14
; %bb.10:
	global_load_b32 v2, v[0:1], off
	s_wait_loadcnt 0x0
	v_mul_f32_e32 v2, s10, v2
	global_store_b32 v[0:1], v2, off
	s_cbranch_execnz .LBB8_12
.LBB8_11:
	v_mov_b32_e32 v2, 0
	global_store_b32 v[0:1], v2, off
.LBB8_12:
	s_endpgm
.LBB8_13:
                                        ; implicit-def: $vgpr0_vgpr1
	s_branch .LBB8_7
.LBB8_14:
	s_branch .LBB8_11
	.section	.rodata,"a",@progbits
	.p2align	6, 0x0
	.amdhsa_kernel _ZN9rocsparseL22partial_scale_y_kernelIlffEEvT_S1_S1_NS_24const_host_device_scalarIT1_EEPT0_b
		.amdhsa_group_segment_fixed_size 0
		.amdhsa_private_segment_fixed_size 0
		.amdhsa_kernarg_size 44
		.amdhsa_user_sgpr_count 2
		.amdhsa_user_sgpr_dispatch_ptr 0
		.amdhsa_user_sgpr_queue_ptr 0
		.amdhsa_user_sgpr_kernarg_segment_ptr 1
		.amdhsa_user_sgpr_dispatch_id 0
		.amdhsa_user_sgpr_private_segment_size 0
		.amdhsa_wavefront_size32 1
		.amdhsa_uses_dynamic_stack 0
		.amdhsa_enable_private_segment 0
		.amdhsa_system_sgpr_workgroup_id_x 1
		.amdhsa_system_sgpr_workgroup_id_y 0
		.amdhsa_system_sgpr_workgroup_id_z 0
		.amdhsa_system_sgpr_workgroup_info 0
		.amdhsa_system_vgpr_workitem_id 0
		.amdhsa_next_free_vgpr 4
		.amdhsa_next_free_sgpr 12
		.amdhsa_reserve_vcc 1
		.amdhsa_float_round_mode_32 0
		.amdhsa_float_round_mode_16_64 0
		.amdhsa_float_denorm_mode_32 3
		.amdhsa_float_denorm_mode_16_64 3
		.amdhsa_fp16_overflow 0
		.amdhsa_workgroup_processor_mode 1
		.amdhsa_memory_ordered 1
		.amdhsa_forward_progress 1
		.amdhsa_inst_pref_size 4
		.amdhsa_round_robin_scheduling 0
		.amdhsa_exception_fp_ieee_invalid_op 0
		.amdhsa_exception_fp_denorm_src 0
		.amdhsa_exception_fp_ieee_div_zero 0
		.amdhsa_exception_fp_ieee_overflow 0
		.amdhsa_exception_fp_ieee_underflow 0
		.amdhsa_exception_fp_ieee_inexact 0
		.amdhsa_exception_int_div_zero 0
	.end_amdhsa_kernel
	.section	.text._ZN9rocsparseL22partial_scale_y_kernelIlffEEvT_S1_S1_NS_24const_host_device_scalarIT1_EEPT0_b,"axG",@progbits,_ZN9rocsparseL22partial_scale_y_kernelIlffEEvT_S1_S1_NS_24const_host_device_scalarIT1_EEPT0_b,comdat
.Lfunc_end8:
	.size	_ZN9rocsparseL22partial_scale_y_kernelIlffEEvT_S1_S1_NS_24const_host_device_scalarIT1_EEPT0_b, .Lfunc_end8-_ZN9rocsparseL22partial_scale_y_kernelIlffEEvT_S1_S1_NS_24const_host_device_scalarIT1_EEPT0_b
                                        ; -- End function
	.set _ZN9rocsparseL22partial_scale_y_kernelIlffEEvT_S1_S1_NS_24const_host_device_scalarIT1_EEPT0_b.num_vgpr, 4
	.set _ZN9rocsparseL22partial_scale_y_kernelIlffEEvT_S1_S1_NS_24const_host_device_scalarIT1_EEPT0_b.num_agpr, 0
	.set _ZN9rocsparseL22partial_scale_y_kernelIlffEEvT_S1_S1_NS_24const_host_device_scalarIT1_EEPT0_b.numbered_sgpr, 12
	.set _ZN9rocsparseL22partial_scale_y_kernelIlffEEvT_S1_S1_NS_24const_host_device_scalarIT1_EEPT0_b.num_named_barrier, 0
	.set _ZN9rocsparseL22partial_scale_y_kernelIlffEEvT_S1_S1_NS_24const_host_device_scalarIT1_EEPT0_b.private_seg_size, 0
	.set _ZN9rocsparseL22partial_scale_y_kernelIlffEEvT_S1_S1_NS_24const_host_device_scalarIT1_EEPT0_b.uses_vcc, 1
	.set _ZN9rocsparseL22partial_scale_y_kernelIlffEEvT_S1_S1_NS_24const_host_device_scalarIT1_EEPT0_b.uses_flat_scratch, 0
	.set _ZN9rocsparseL22partial_scale_y_kernelIlffEEvT_S1_S1_NS_24const_host_device_scalarIT1_EEPT0_b.has_dyn_sized_stack, 0
	.set _ZN9rocsparseL22partial_scale_y_kernelIlffEEvT_S1_S1_NS_24const_host_device_scalarIT1_EEPT0_b.has_recursion, 0
	.set _ZN9rocsparseL22partial_scale_y_kernelIlffEEvT_S1_S1_NS_24const_host_device_scalarIT1_EEPT0_b.has_indirect_call, 0
	.section	.AMDGPU.csdata,"",@progbits
; Kernel info:
; codeLenInByte = 392
; TotalNumSgprs: 14
; NumVgprs: 4
; ScratchSize: 0
; MemoryBound: 0
; FloatMode: 240
; IeeeMode: 1
; LDSByteSize: 0 bytes/workgroup (compile time only)
; SGPRBlocks: 0
; VGPRBlocks: 0
; NumSGPRsForWavesPerEU: 14
; NumVGPRsForWavesPerEU: 4
; Occupancy: 16
; WaveLimiterHint : 0
; COMPUTE_PGM_RSRC2:SCRATCH_EN: 0
; COMPUTE_PGM_RSRC2:USER_SGPR: 2
; COMPUTE_PGM_RSRC2:TRAP_HANDLER: 0
; COMPUTE_PGM_RSRC2:TGID_X_EN: 1
; COMPUTE_PGM_RSRC2:TGID_Y_EN: 0
; COMPUTE_PGM_RSRC2:TGID_Z_EN: 0
; COMPUTE_PGM_RSRC2:TIDIG_COMP_CNT: 0
	.section	.text._ZN9rocsparseL27csrmvn_symm_adaptive_kernelIllffffEEvbT_S1_PKS1_NS_24const_host_device_scalarIT4_EES3_PKT0_PKT1_PKT2_S6_PT3_21rocsparse_index_base_b,"axG",@progbits,_ZN9rocsparseL27csrmvn_symm_adaptive_kernelIllffffEEvbT_S1_PKS1_NS_24const_host_device_scalarIT4_EES3_PKT0_PKT1_PKT2_S6_PT3_21rocsparse_index_base_b,comdat
	.globl	_ZN9rocsparseL27csrmvn_symm_adaptive_kernelIllffffEEvbT_S1_PKS1_NS_24const_host_device_scalarIT4_EES3_PKT0_PKT1_PKT2_S6_PT3_21rocsparse_index_base_b ; -- Begin function _ZN9rocsparseL27csrmvn_symm_adaptive_kernelIllffffEEvbT_S1_PKS1_NS_24const_host_device_scalarIT4_EES3_PKT0_PKT1_PKT2_S6_PT3_21rocsparse_index_base_b
	.p2align	8
	.type	_ZN9rocsparseL27csrmvn_symm_adaptive_kernelIllffffEEvbT_S1_PKS1_NS_24const_host_device_scalarIT4_EES3_PKT0_PKT1_PKT2_S6_PT3_21rocsparse_index_base_b,@function
_ZN9rocsparseL27csrmvn_symm_adaptive_kernelIllffffEEvbT_S1_PKS1_NS_24const_host_device_scalarIT4_EES3_PKT0_PKT1_PKT2_S6_PT3_21rocsparse_index_base_b: ; @_ZN9rocsparseL27csrmvn_symm_adaptive_kernelIllffffEEvbT_S1_PKS1_NS_24const_host_device_scalarIT4_EES3_PKT0_PKT1_PKT2_S6_PT3_21rocsparse_index_base_b
; %bb.0:
	s_clause 0x2
	s_load_b64 s[24:25], s[0:1], 0x58
	s_load_b64 s[30:31], s[0:1], 0x20
	;; [unrolled: 1-line block ×3, first 2 shown]
	s_wait_kmcnt 0x0
	s_bitcmp1_b32 s25, 0
	s_cselect_b32 s4, -1, 0
	s_delay_alu instid0(SALU_CYCLE_1)
	s_and_b32 vcc_lo, exec_lo, s4
	s_xor_b32 s4, s4, -1
	s_cbranch_vccnz .LBB9_2
; %bb.1:
	s_load_b32 s30, s[30:31], 0x0
.LBB9_2:
	s_and_not1_b32 vcc_lo, exec_lo, s4
	s_cbranch_vccnz .LBB9_4
; %bb.3:
	s_load_b32 s2, s[2:3], 0x0
.LBB9_4:
	s_wait_kmcnt 0x0
	s_cmp_neq_f32 s30, 0
	s_cselect_b32 s3, -1, 0
	s_cmp_neq_f32 s2, 1.0
	s_cselect_b32 s2, -1, 0
	s_delay_alu instid0(SALU_CYCLE_1) | instskip(NEXT) | instid1(SALU_CYCLE_1)
	s_or_b32 s2, s3, s2
	s_and_not1_b32 vcc_lo, exec_lo, s2
	s_cbranch_vccnz .LBB9_137
; %bb.5:
	s_load_b64 s[4:5], s[0:1], 0x18
	s_mov_b32 s2, ttmp9
	s_ashr_i32 s3, ttmp9, 31
	v_dual_mov_b32 v1, 0 :: v_dual_lshlrev_b32 v14, 2, v0
	s_lshl_b64 s[2:3], s[2:3], 3
	ds_store_2addr_stride64_b32 v14, v1, v1 offset1:4
	ds_store_2addr_stride64_b32 v14, v1, v1 offset0:8 offset1:12
	s_wait_dscnt 0x0
	s_barrier_signal -1
	s_barrier_wait -1
	global_inv scope:SCOPE_SE
	s_wait_kmcnt 0x0
	s_add_nc_u64 s[2:3], s[4:5], s[2:3]
	s_load_b128 s[16:19], s[2:3], 0x0
	s_clause 0x1
	s_load_b256 s[8:15], s[0:1], 0x28
	s_load_b64 s[20:21], s[0:1], 0x50
	s_wait_kmcnt 0x0
	s_sub_nc_u64 s[22:23], s[18:19], s[16:17]
	s_delay_alu instid0(SALU_CYCLE_1)
	v_cmp_gt_i64_e64 s2, s[22:23], 2
	s_and_b32 vcc_lo, exec_lo, s2
	s_mov_b32 s2, -1
	s_cbranch_vccnz .LBB9_36
; %bb.6:
	v_cmp_le_i64_e64 s2, s[18:19], s[16:17]
	v_sub_co_u32 v7, s3, v0, s24
	s_delay_alu instid0(VALU_DEP_1)
	v_sub_co_ci_u32_e64 v8, null, 0, 0, s3
	s_mov_b32 s25, 0
	s_and_b32 vcc_lo, exec_lo, s2
	s_cbranch_vccnz .LBB9_26
; %bb.7:
	v_cmp_gt_u32_e64 s2, 0x100, v0
	v_cmp_gt_u32_e64 s3, 64, v0
	;; [unrolled: 1-line block ×4, first 2 shown]
	v_cmp_eq_u32_e64 s6, 0, v0
	v_mov_b32_e32 v9, 0
	s_mov_b64 s[26:27], s[16:17]
	s_branch .LBB9_9
.LBB9_8:                                ;   in Loop: Header=BB9_9 Depth=1
	s_wait_alu 0xfffe
	s_or_b32 exec_lo, exec_lo, s7
	s_add_nc_u64 s[26:27], s[26:27], 1
	s_wait_alu 0xfffe
	v_cmp_ge_i64_e64 s7, s[26:27], s[18:19]
	s_and_b32 vcc_lo, exec_lo, s7
	s_wait_alu 0xfffe
	s_cbranch_vccnz .LBB9_26
.LBB9_9:                                ; =>This Loop Header: Depth=1
                                        ;     Child Loop BB9_11 Depth 2
	s_lshl_b64 s[28:29], s[26:27], 3
	v_mov_b32_e32 v10, 0
	s_wait_alu 0xfffe
	s_add_nc_u64 s[28:29], s[8:9], s[28:29]
	s_mov_b32 s31, exec_lo
	s_load_b128 s[36:39], s[28:29], 0x0
	s_wait_kmcnt 0x0
	v_add_co_u32 v1, vcc_lo, s36, v7
	s_wait_alu 0xfffd
	v_add_co_ci_u32_e64 v2, null, s37, v8, vcc_lo
	s_sub_nc_u64 s[28:29], s[38:39], s[24:25]
	s_wait_alu 0xfffe
	v_cmpx_gt_i64_e64 s[28:29], v[1:2]
	s_cbranch_execz .LBB9_13
; %bb.10:                               ;   in Loop: Header=BB9_9 Depth=1
	v_lshlrev_b64_e32 v[3:4], 3, v[1:2]
	v_lshlrev_b64_e32 v[5:6], 2, v[1:2]
	v_mov_b32_e32 v10, 0
	s_mov_b32 s33, 0
	s_delay_alu instid0(VALU_DEP_3)
	v_add_co_u32 v3, vcc_lo, s10, v3
	s_wait_alu 0xfffd
	v_add_co_ci_u32_e64 v4, null, s11, v4, vcc_lo
	v_add_co_u32 v5, vcc_lo, s12, v5
	s_wait_alu 0xfffd
	v_add_co_ci_u32_e64 v6, null, s13, v6, vcc_lo
.LBB9_11:                               ;   Parent Loop BB9_9 Depth=1
                                        ; =>  This Inner Loop Header: Depth=2
	global_load_b64 v[11:12], v[3:4], off
	s_wait_loadcnt 0x0
	v_sub_co_u32 v11, vcc_lo, v11, s24
	s_wait_alu 0xfffd
	v_subrev_co_ci_u32_e64 v12, null, 0, v12, vcc_lo
	s_delay_alu instid0(VALU_DEP_1) | instskip(NEXT) | instid1(VALU_DEP_1)
	v_lshlrev_b64_e32 v[11:12], 2, v[11:12]
	v_add_co_u32 v11, vcc_lo, s14, v11
	s_wait_alu 0xfffd
	s_delay_alu instid0(VALU_DEP_2)
	v_add_co_ci_u32_e64 v12, null, s15, v12, vcc_lo
	v_add_co_u32 v1, vcc_lo, 0x100, v1
	global_load_b32 v13, v[5:6], off
	global_load_b32 v11, v[11:12], off
	s_wait_alu 0xfffd
	v_add_co_ci_u32_e64 v2, null, 0, v2, vcc_lo
	v_add_co_u32 v3, vcc_lo, 0x800, v3
	s_wait_alu 0xfffd
	v_add_co_ci_u32_e64 v4, null, 0, v4, vcc_lo
	s_delay_alu instid0(VALU_DEP_3)
	v_cmp_le_i64_e32 vcc_lo, s[28:29], v[1:2]
	v_add_co_u32 v5, s7, 0x400, v5
	s_wait_alu 0xf1ff
	v_add_co_ci_u32_e64 v6, null, 0, v6, s7
	s_or_b32 s33, vcc_lo, s33
	s_wait_loadcnt 0x0
	v_fmac_f32_e32 v10, v13, v11
	s_and_not1_b32 exec_lo, exec_lo, s33
	s_cbranch_execnz .LBB9_11
; %bb.12:                               ;   in Loop: Header=BB9_9 Depth=1
	s_or_b32 exec_lo, exec_lo, s33
.LBB9_13:                               ;   in Loop: Header=BB9_9 Depth=1
	s_delay_alu instid0(SALU_CYCLE_1)
	s_or_b32 exec_lo, exec_lo, s31
	ds_store_b32 v14, v10
	s_wait_loadcnt_dscnt 0x0
	s_barrier_signal -1
	s_barrier_wait -1
	global_inv scope:SCOPE_SE
	s_and_saveexec_b32 s7, s2
	s_cbranch_execz .LBB9_15
; %bb.14:                               ;   in Loop: Header=BB9_9 Depth=1
	ds_load_2addr_stride64_b32 v[1:2], v14 offset1:4
	ds_load_2addr_stride64_b32 v[3:4], v14 offset0:8 offset1:12
	s_wait_dscnt 0x0
	v_add_f32_e32 v2, v2, v3
	s_delay_alu instid0(VALU_DEP_1) | instskip(NEXT) | instid1(VALU_DEP_1)
	v_add_f32_e32 v2, v2, v4
	v_add_f32_e32 v1, v1, v2
	ds_store_b32 v14, v1
.LBB9_15:                               ;   in Loop: Header=BB9_9 Depth=1
	s_wait_alu 0xfffe
	s_or_b32 exec_lo, exec_lo, s7
	s_wait_loadcnt_dscnt 0x0
	s_barrier_signal -1
	s_barrier_wait -1
	global_inv scope:SCOPE_SE
	s_and_saveexec_b32 s7, s3
	s_cbranch_execz .LBB9_17
; %bb.16:                               ;   in Loop: Header=BB9_9 Depth=1
	ds_load_2addr_stride64_b32 v[1:2], v14 offset1:1
	ds_load_2addr_stride64_b32 v[3:4], v14 offset0:2 offset1:3
	s_wait_dscnt 0x0
	v_add_f32_e32 v2, v2, v3
	s_delay_alu instid0(VALU_DEP_1) | instskip(NEXT) | instid1(VALU_DEP_1)
	v_add_f32_e32 v2, v2, v4
	v_add_f32_e32 v1, v1, v2
	ds_store_b32 v14, v1
.LBB9_17:                               ;   in Loop: Header=BB9_9 Depth=1
	s_wait_alu 0xfffe
	s_or_b32 exec_lo, exec_lo, s7
	s_wait_loadcnt_dscnt 0x0
	s_barrier_signal -1
	s_barrier_wait -1
	global_inv scope:SCOPE_SE
	s_and_saveexec_b32 s7, s4
	s_cbranch_execz .LBB9_19
; %bb.18:                               ;   in Loop: Header=BB9_9 Depth=1
	ds_load_2addr_b32 v[1:2], v14 offset1:16
	ds_load_2addr_b32 v[3:4], v14 offset0:32 offset1:48
	s_wait_dscnt 0x0
	v_add_f32_e32 v2, v2, v3
	s_delay_alu instid0(VALU_DEP_1) | instskip(NEXT) | instid1(VALU_DEP_1)
	v_add_f32_e32 v2, v2, v4
	v_add_f32_e32 v1, v1, v2
	ds_store_b32 v14, v1
.LBB9_19:                               ;   in Loop: Header=BB9_9 Depth=1
	s_wait_alu 0xfffe
	s_or_b32 exec_lo, exec_lo, s7
	s_wait_loadcnt_dscnt 0x0
	s_barrier_signal -1
	s_barrier_wait -1
	global_inv scope:SCOPE_SE
	s_and_saveexec_b32 s7, s5
	s_cbranch_execz .LBB9_21
; %bb.20:                               ;   in Loop: Header=BB9_9 Depth=1
	ds_load_2addr_b32 v[1:2], v14 offset1:4
	ds_load_2addr_b32 v[3:4], v14 offset0:8 offset1:12
	s_wait_dscnt 0x0
	v_add_f32_e32 v2, v2, v3
	s_delay_alu instid0(VALU_DEP_1) | instskip(NEXT) | instid1(VALU_DEP_1)
	v_add_f32_e32 v2, v2, v4
	v_add_f32_e32 v1, v1, v2
	ds_store_b32 v14, v1
.LBB9_21:                               ;   in Loop: Header=BB9_9 Depth=1
	s_wait_alu 0xfffe
	s_or_b32 exec_lo, exec_lo, s7
	s_wait_loadcnt_dscnt 0x0
	s_barrier_signal -1
	s_barrier_wait -1
	global_inv scope:SCOPE_SE
	s_and_saveexec_b32 s7, s6
	s_cbranch_execz .LBB9_23
; %bb.22:                               ;   in Loop: Header=BB9_9 Depth=1
	ds_load_2addr_b32 v[1:2], v9 offset0:1 offset1:2
	ds_load_b32 v3, v9 offset:12
	ds_load_b32 v4, v14
	s_wait_dscnt 0x2
	v_add_f32_e32 v1, v1, v2
	s_wait_dscnt 0x1
	s_delay_alu instid0(VALU_DEP_1) | instskip(SKIP_1) | instid1(VALU_DEP_1)
	v_add_f32_e32 v1, v1, v3
	s_wait_dscnt 0x0
	v_add_f32_e32 v1, v4, v1
	ds_store_b32 v14, v1
.LBB9_23:                               ;   in Loop: Header=BB9_9 Depth=1
	s_wait_alu 0xfffe
	s_or_b32 exec_lo, exec_lo, s7
	s_wait_loadcnt_dscnt 0x0
	s_barrier_signal -1
	s_barrier_wait -1
	global_inv scope:SCOPE_SE
	s_and_saveexec_b32 s7, s6
	s_cbranch_execz .LBB9_8
; %bb.24:                               ;   in Loop: Header=BB9_9 Depth=1
	s_mov_b32 s28, exec_lo
	s_wait_alu 0xfffe
	v_mbcnt_lo_u32_b32 v1, s28, 0
	s_delay_alu instid0(VALU_DEP_1)
	v_cmp_eq_u32_e32 vcc_lo, 0, v1
	s_and_b32 s29, exec_lo, vcc_lo
	s_wait_alu 0xfffe
	s_mov_b32 exec_lo, s29
	s_cbranch_execz .LBB9_8
; %bb.25:                               ;   in Loop: Header=BB9_9 Depth=1
	ds_load_b32 v1, v9
	s_bcnt1_i32_b32 s28, s28
	s_wait_alu 0xfffe
	v_cvt_f32_ubyte0_e32 v2, s28
	s_lshl_b64 s[28:29], s[26:27], 2
	s_wait_alu 0xfffe
	s_add_nc_u64 s[28:29], s[20:21], s[28:29]
	s_wait_dscnt 0x0
	v_mul_f32_e32 v1, s30, v1
	s_delay_alu instid0(VALU_DEP_1)
	v_mul_f32_e32 v1, v1, v2
	global_atomic_add_f32 v9, v1, s[28:29] scope:SCOPE_DEV
	s_branch .LBB9_8
.LBB9_26:
	s_lshl_b64 s[2:3], s[16:17], 3
	s_lshl_b64 s[4:5], s[18:19], 3
	s_wait_alu 0xfffe
	s_add_nc_u64 s[2:3], s[8:9], s[2:3]
	s_add_nc_u64 s[4:5], s[8:9], s[4:5]
	s_clause 0x1
	s_load_b64 s[2:3], s[2:3], 0x0
	s_load_b64 s[4:5], s[4:5], 0x0
	s_wait_kmcnt 0x0
	v_add_co_u32 v1, vcc_lo, s2, v7
	s_wait_alu 0xfffd
	v_add_co_ci_u32_e64 v2, null, s3, v8, vcc_lo
	s_sub_nc_u64 s[4:5], s[4:5], s[24:25]
	s_mov_b32 s3, exec_lo
	v_cmpx_gt_i64_e64 s[4:5], v[1:2]
	s_cbranch_execz .LBB9_35
; %bb.27:
	s_add_nc_u64 s[6:7], s[18:19], -1
	s_add_nc_u64 s[26:27], s[18:19], -2
	s_wait_alu 0xfffe
	v_cmp_lt_i64_e64 s2, s[16:17], s[6:7]
	s_cmp_lg_u64 s[16:17], s[26:27]
	s_mov_b32 s26, 0
	s_cselect_b32 s25, -1, 0
	s_wait_alu 0xfffe
	s_and_b32 s25, s2, s25
	s_branch .LBB9_29
.LBB9_28:                               ;   in Loop: Header=BB9_29 Depth=1
	s_wait_alu 0xfffe
	s_or_b32 exec_lo, exec_lo, s2
	v_add_co_u32 v1, vcc_lo, 0x100, v1
	s_wait_alu 0xfffd
	v_add_co_ci_u32_e64 v2, null, 0, v2, vcc_lo
	s_delay_alu instid0(VALU_DEP_1)
	v_cmp_le_i64_e32 vcc_lo, s[4:5], v[1:2]
	s_or_b32 s26, vcc_lo, s26
	s_wait_alu 0xfffe
	s_and_not1_b32 exec_lo, exec_lo, s26
	s_cbranch_execz .LBB9_35
.LBB9_29:                               ; =>This Loop Header: Depth=1
                                        ;     Child Loop BB9_31 Depth 2
	v_dual_mov_b32 v3, s16 :: v_dual_mov_b32 v4, s17
	v_dual_mov_b32 v5, s6 :: v_dual_mov_b32 v6, s7
	s_wait_alu 0xfffe
	s_and_not1_b32 vcc_lo, exec_lo, s25
	s_wait_alu 0xfffe
	s_cbranch_vccnz .LBB9_33
; %bb.30:                               ;   in Loop: Header=BB9_29 Depth=1
	v_dual_mov_b32 v3, s16 :: v_dual_mov_b32 v4, s17
	v_dual_mov_b32 v5, s6 :: v_dual_mov_b32 v6, s7
	s_mov_b32 s27, 0
.LBB9_31:                               ;   Parent Loop BB9_29 Depth=1
                                        ; =>  This Inner Loop Header: Depth=2
	s_delay_alu instid0(VALU_DEP_1) | instskip(SKIP_1) | instid1(VALU_DEP_2)
	v_add_co_u32 v7, vcc_lo, v5, v3
	s_wait_alu 0xfffd
	v_add_co_ci_u32_e64 v8, null, v6, v4, vcc_lo
	s_delay_alu instid0(VALU_DEP_1) | instskip(NEXT) | instid1(VALU_DEP_1)
	v_lshrrev_b32_e32 v9, 31, v8
	v_add_co_u32 v7, vcc_lo, v7, v9
	s_wait_alu 0xfffd
	v_add_co_ci_u32_e64 v8, null, 0, v8, vcc_lo
	s_delay_alu instid0(VALU_DEP_1) | instskip(NEXT) | instid1(VALU_DEP_1)
	v_ashrrev_i64 v[7:8], 1, v[7:8]
	v_lshlrev_b64_e32 v[9:10], 3, v[7:8]
	s_delay_alu instid0(VALU_DEP_1) | instskip(SKIP_1) | instid1(VALU_DEP_2)
	v_add_co_u32 v9, vcc_lo, s8, v9
	s_wait_alu 0xfffd
	v_add_co_ci_u32_e64 v10, null, s9, v10, vcc_lo
	global_load_b64 v[9:10], v[9:10], off
	s_wait_loadcnt 0x0
	v_sub_co_u32 v9, vcc_lo, v9, s24
	s_wait_alu 0xfffd
	v_subrev_co_ci_u32_e64 v10, null, 0, v10, vcc_lo
	s_delay_alu instid0(VALU_DEP_1) | instskip(SKIP_3) | instid1(VALU_DEP_2)
	v_cmp_lt_i64_e32 vcc_lo, v[1:2], v[9:10]
	s_wait_alu 0xfffd
	v_dual_cndmask_b32 v6, v6, v8 :: v_dual_cndmask_b32 v5, v5, v7
	v_dual_cndmask_b32 v4, v8, v4 :: v_dual_cndmask_b32 v3, v7, v3
	v_add_co_u32 v7, vcc_lo, v5, -1
	s_wait_alu 0xfffd
	s_delay_alu instid0(VALU_DEP_3) | instskip(NEXT) | instid1(VALU_DEP_3)
	v_add_co_ci_u32_e64 v8, null, -1, v6, vcc_lo
	v_cmp_ge_i64_e32 vcc_lo, v[3:4], v[5:6]
	s_delay_alu instid0(VALU_DEP_2)
	v_cmp_eq_u64_e64 s2, v[3:4], v[7:8]
	s_or_b32 s2, vcc_lo, s2
	s_wait_alu 0xfffe
	s_and_b32 s2, exec_lo, s2
	s_wait_alu 0xfffe
	s_or_b32 s27, s2, s27
	s_wait_alu 0xfffe
	s_and_not1_b32 exec_lo, exec_lo, s27
	s_cbranch_execnz .LBB9_31
; %bb.32:                               ;   in Loop: Header=BB9_29 Depth=1
	s_or_b32 exec_lo, exec_lo, s27
.LBB9_33:                               ;   in Loop: Header=BB9_29 Depth=1
	v_lshlrev_b64_e32 v[7:8], 3, v[5:6]
	v_lshlrev_b64_e32 v[9:10], 3, v[1:2]
	s_mov_b32 s2, exec_lo
	s_delay_alu instid0(VALU_DEP_2) | instskip(SKIP_1) | instid1(VALU_DEP_3)
	v_add_co_u32 v7, vcc_lo, s8, v7
	s_wait_alu 0xfffd
	v_add_co_ci_u32_e64 v8, null, s9, v8, vcc_lo
	s_delay_alu instid0(VALU_DEP_3)
	v_add_co_u32 v9, vcc_lo, s10, v9
	s_wait_alu 0xfffd
	v_add_co_ci_u32_e64 v10, null, s11, v10, vcc_lo
	global_load_b64 v[7:8], v[7:8], off
	global_load_b64 v[9:10], v[9:10], off
	s_wait_loadcnt 0x1
	v_sub_co_u32 v7, vcc_lo, v7, s24
	s_wait_alu 0xfffd
	v_subrev_co_ci_u32_e64 v8, null, 0, v8, vcc_lo
	s_delay_alu instid0(VALU_DEP_1)
	v_cmp_lt_i64_e32 vcc_lo, v[1:2], v[7:8]
	s_wait_alu 0xfffd
	v_dual_cndmask_b32 v6, v6, v4 :: v_dual_cndmask_b32 v5, v5, v3
	s_wait_loadcnt 0x0
	v_sub_co_u32 v3, vcc_lo, v9, s24
	s_wait_alu 0xfffd
	v_subrev_co_ci_u32_e64 v4, null, 0, v10, vcc_lo
	s_delay_alu instid0(VALU_DEP_1)
	v_cmpx_ne_u64_e64 v[3:4], v[5:6]
	s_cbranch_execz .LBB9_28
; %bb.34:                               ;   in Loop: Header=BB9_29 Depth=1
	v_lshlrev_b64_e32 v[7:8], 2, v[1:2]
	v_lshlrev_b64_e32 v[5:6], 2, v[5:6]
	;; [unrolled: 1-line block ×3, first 2 shown]
	s_delay_alu instid0(VALU_DEP_3) | instskip(SKIP_1) | instid1(VALU_DEP_4)
	v_add_co_u32 v7, vcc_lo, s12, v7
	s_wait_alu 0xfffd
	v_add_co_ci_u32_e64 v8, null, s13, v8, vcc_lo
	s_delay_alu instid0(VALU_DEP_4)
	v_add_co_u32 v5, vcc_lo, s14, v5
	s_wait_alu 0xfffd
	v_add_co_ci_u32_e64 v6, null, s15, v6, vcc_lo
	global_load_b32 v7, v[7:8], off
	v_add_co_u32 v3, vcc_lo, s20, v3
	global_load_b32 v5, v[5:6], off
	s_wait_alu 0xfffd
	v_add_co_ci_u32_e64 v4, null, s21, v4, vcc_lo
	s_wait_loadcnt 0x1
	v_mul_f32_e32 v6, s30, v7
	s_wait_loadcnt 0x0
	s_delay_alu instid0(VALU_DEP_1)
	v_mul_f32_e32 v5, v6, v5
	global_atomic_add_f32 v[3:4], v5, off scope:SCOPE_DEV
	s_branch .LBB9_28
.LBB9_35:
	s_wait_alu 0xfffe
	s_or_b32 exec_lo, exec_lo, s3
	s_mov_b32 s2, 0
.LBB9_36:
	s_wait_alu 0xfffe
	s_and_b32 vcc_lo, exec_lo, s2
	s_wait_alu 0xfffe
	s_cbranch_vccz .LBB9_137
; %bb.37:
	s_load_b32 s2, s[0:1], 0x6c
	s_mov_b32 s25, 0
	s_mov_b64 s[28:29], 0
	s_wait_alu 0xfffe
	s_mov_b32 s7, s25
	s_wait_kmcnt 0x0
	s_and_b32 s6, s2, 0xffff
	s_wait_alu 0xfffe
	v_cmp_lt_u64_e64 s2, s[6:7], s[22:23]
	s_and_b32 vcc_lo, exec_lo, s2
	s_wait_alu 0xfffe
	s_cbranch_vccnz .LBB9_39
; %bb.38:
	v_cvt_f32_u32_e32 v1, s22
	s_sub_co_i32 s3, 0, s22
	s_delay_alu instid0(VALU_DEP_1) | instskip(NEXT) | instid1(TRANS32_DEP_1)
	v_rcp_iflag_f32_e32 v1, v1
	v_mul_f32_e32 v1, 0x4f7ffffe, v1
	s_delay_alu instid0(VALU_DEP_1) | instskip(NEXT) | instid1(VALU_DEP_1)
	v_cvt_u32_f32_e32 v1, v1
	v_readfirstlane_b32 s2, v1
	s_wait_alu 0xfffe
	s_mul_i32 s3, s3, s2
	s_wait_alu 0xfffe
	s_mul_hi_u32 s3, s2, s3
	s_wait_alu 0xfffe
	s_add_co_i32 s2, s2, s3
	s_wait_alu 0xfffe
	s_mul_hi_u32 s2, s6, s2
	s_wait_alu 0xfffe
	s_mul_i32 s3, s2, s22
	s_add_co_i32 s4, s2, 1
	s_wait_alu 0xfffe
	s_sub_co_i32 s3, s6, s3
	s_wait_alu 0xfffe
	s_sub_co_i32 s5, s3, s22
	s_cmp_ge_u32 s3, s22
	s_cselect_b32 s2, s4, s2
	s_wait_alu 0xfffe
	s_cselect_b32 s3, s5, s3
	s_add_co_i32 s4, s2, 1
	s_wait_alu 0xfffe
	s_cmp_ge_u32 s3, s22
	s_cselect_b32 s28, s4, s2
.LBB9_39:
	s_lshl_b64 s[2:3], s[16:17], 3
	v_sub_co_u32 v1, s7, v0, s24
	s_wait_alu 0xfffe
	s_add_nc_u64 s[26:27], s[8:9], s[2:3]
	s_load_b64 s[4:5], s[26:27], 0x0
	s_load_b128 s[0:3], s[0:1], 0x8
	v_sub_co_ci_u32_e64 v2, null, 0, 0, s7
	s_wait_kmcnt 0x0
	v_add_co_u32 v4, vcc_lo, s4, v1
	s_wait_alu 0xfffd
	s_delay_alu instid0(VALU_DEP_2) | instskip(SKIP_1) | instid1(VALU_DEP_3)
	v_add_co_ci_u32_e64 v5, null, s5, v2, vcc_lo
	v_mov_b32_e32 v1, 0
	v_add_co_u32 v2, vcc_lo, 0x300, v4
	s_wait_alu 0xfffd
	s_delay_alu instid0(VALU_DEP_3) | instskip(NEXT) | instid1(VALU_DEP_1)
	v_add_co_ci_u32_e64 v3, null, 0, v5, vcc_lo
	v_cmp_le_i64_e32 vcc_lo, s[0:1], v[2:3]
	s_and_saveexec_b32 s0, vcc_lo
	s_wait_alu 0xfffe
	s_xor_b32 s7, exec_lo, s0
	s_cbranch_execz .LBB9_44
; %bb.40:
	s_lshl_b64 s[0:1], s[18:19], 3
	s_mov_b32 s29, exec_lo
	s_wait_alu 0xfffe
	s_add_nc_u64 s[0:1], s[8:9], s[0:1]
	s_load_b64 s[0:1], s[0:1], 0x0
	s_wait_kmcnt 0x0
	s_sub_nc_u64 s[34:35], s[0:1], s[4:5]
	s_delay_alu instid0(SALU_CYCLE_1)
	v_cmpx_gt_i64_e64 s[34:35], v[0:1]
	s_cbranch_execz .LBB9_43
; %bb.41:
	v_lshlrev_b64_e32 v[6:7], 2, v[4:5]
	v_dual_mov_b32 v10, v14 :: v_dual_mov_b32 v9, v1
	v_mov_b32_e32 v8, v0
	s_mov_b32 s31, 0
	s_delay_alu instid0(VALU_DEP_3)
	v_add_co_u32 v6, s0, s12, v6
	s_wait_alu 0xf1ff
	v_add_co_ci_u32_e64 v7, null, s13, v7, s0
.LBB9_42:                               ; =>This Inner Loop Header: Depth=1
	global_load_b32 v11, v[6:7], off
	v_add_co_u32 v8, s0, 0x100, v8
	s_wait_alu 0xf1ff
	v_add_co_ci_u32_e64 v9, null, 0, v9, s0
	v_add_co_u32 v6, s0, 0x400, v6
	s_wait_alu 0xf1ff
	v_add_co_ci_u32_e64 v7, null, 0, v7, s0
	s_delay_alu instid0(VALU_DEP_3)
	v_cmp_le_i64_e64 s1, s[34:35], v[8:9]
	s_wait_alu 0xfffe
	s_or_b32 s31, s1, s31
	s_wait_loadcnt 0x0
	v_mul_f32_e32 v11, s30, v11
	ds_store_b32 v10, v11
	v_add_nc_u32_e32 v10, 0x400, v10
	s_wait_alu 0xfffe
	s_and_not1_b32 exec_lo, exec_lo, s31
	s_cbranch_execnz .LBB9_42
.LBB9_43:
	s_or_b32 exec_lo, exec_lo, s29
.LBB9_44:
	s_wait_alu 0xfffe
	s_and_not1_saveexec_b32 s1, s7
	s_cbranch_execz .LBB9_46
; %bb.45:
	v_lshlrev_b64_e32 v[6:7], 2, v[4:5]
	s_delay_alu instid0(VALU_DEP_1) | instskip(SKIP_1) | instid1(VALU_DEP_2)
	v_add_co_u32 v6, s0, s12, v6
	s_wait_alu 0xf1ff
	v_add_co_ci_u32_e64 v7, null, s13, v7, s0
	s_clause 0x3
	global_load_b32 v8, v[6:7], off
	global_load_b32 v9, v[6:7], off offset:1024
	global_load_b32 v10, v[6:7], off offset:2048
	;; [unrolled: 1-line block ×3, first 2 shown]
	s_wait_loadcnt 0x2
	v_dual_mul_f32 v7, s30, v8 :: v_dual_mul_f32 v8, s30, v9
	s_wait_loadcnt 0x1
	v_mul_f32_e32 v9, s30, v10
	s_wait_loadcnt 0x0
	v_mul_f32_e32 v6, s30, v6
	ds_store_2addr_stride64_b32 v14, v7, v8 offset1:4
	ds_store_2addr_stride64_b32 v14, v9, v6 offset0:8 offset1:12
.LBB9_46:
	s_wait_alu 0xfffe
	s_or_b32 exec_lo, exec_lo, s1
	v_lshl_add_u32 v15, v0, 2, 0x1000
	s_mov_b32 s1, exec_lo
	v_cmpx_gt_i64_e64 s[2:3], v[0:1]
	s_cbranch_execz .LBB9_49
; %bb.47:
	v_mov_b32_e32 v7, v1
	v_lshl_add_u32 v8, v0, 2, 0x1000
	v_dual_mov_b32 v9, 0 :: v_dual_mov_b32 v6, v0
	s_mov_b32 s7, 0
.LBB9_48:                               ; =>This Inner Loop Header: Depth=1
	s_delay_alu instid0(VALU_DEP_1)
	v_add_co_u32 v6, s0, 0x100, v6
	s_wait_alu 0xf1ff
	v_add_co_ci_u32_e64 v7, null, 0, v7, s0
	ds_store_b32 v8, v9
	v_add_nc_u32_e32 v8, 0x400, v8
	v_cmp_le_i64_e64 s0, s[2:3], v[6:7]
	s_wait_alu 0xfffe
	s_or_b32 s7, s0, s7
	s_wait_alu 0xfffe
	s_and_not1_b32 exec_lo, exec_lo, s7
	s_cbranch_execnz .LBB9_48
.LBB9_49:
	s_wait_alu 0xfffe
	s_or_b32 exec_lo, exec_lo, s1
	v_cmp_ge_i64_e64 s7, s[18:19], s[2:3]
	s_sub_nc_u64 s[0:1], s[18:19], s[2:3]
	s_wait_storecnt 0x0
	s_wait_loadcnt_dscnt 0x0
	s_barrier_signal -1
	s_barrier_wait -1
	global_inv scope:SCOPE_SE
	s_and_b32 s7, s7, exec_lo
	s_wait_alu 0xfffe
	s_cselect_b32 s13, s1, 0
	s_cselect_b32 s12, s0, 0
	s_and_saveexec_b32 s0, vcc_lo
	s_wait_alu 0xfffe
	s_xor_b32 s7, exec_lo, s0
	s_cbranch_execz .LBB9_66
; %bb.50:
	s_lshl_b64 s[0:1], s[18:19], 3
	s_mov_b32 s29, exec_lo
	s_wait_alu 0xfffe
	s_add_nc_u64 s[0:1], s[8:9], s[0:1]
	s_load_b64 s[0:1], s[0:1], 0x0
	s_wait_kmcnt 0x0
	s_sub_nc_u64 s[30:31], s[0:1], s[4:5]
	s_wait_alu 0xfffe
	v_cmpx_gt_i64_e64 s[30:31], v[0:1]
	s_cbranch_execz .LBB9_65
; %bb.51:
	s_add_nc_u64 s[34:35], s[18:19], -2
	s_sub_nc_u64 s[36:37], s[0:1], s[24:25]
	s_wait_alu 0xfffe
	s_cmp_lg_u64 s[16:17], s[34:35]
	s_add_nc_u64 s[34:35], s[18:19], -1
	s_cselect_b32 s33, -1, 0
	s_mov_b64 s[38:39], 0
	s_mov_b32 s1, 0
	s_branch .LBB9_54
.LBB9_52:                               ;   in Loop: Header=BB9_54 Depth=1
	s_wait_alu 0xfffe
	s_or_b32 exec_lo, exec_lo, s0
.LBB9_53:                               ;   in Loop: Header=BB9_54 Depth=1
	s_delay_alu instid0(SALU_CYCLE_1) | instskip(SKIP_2) | instid1(VALU_DEP_1)
	s_or_b32 exec_lo, exec_lo, s40
	v_lshlrev_b64_e32 v[2:3], 2, v[2:3]
	s_add_nc_u64 s[38:39], s[38:39], 0x100
	v_add_co_u32 v2, vcc_lo, s14, v2
	s_wait_alu 0xfffd
	s_delay_alu instid0(VALU_DEP_2)
	v_add_co_ci_u32_e64 v3, null, s15, v3, vcc_lo
	global_load_b32 v6, v[2:3], off
	s_wait_alu 0xfffe
	v_add_co_u32 v2, s0, s38, v0
	s_wait_alu 0xf1ff
	v_add_co_ci_u32_e64 v3, null, s39, 0, s0
	s_delay_alu instid0(VALU_DEP_1)
	v_cmp_le_i64_e32 vcc_lo, s[30:31], v[2:3]
	v_lshlrev_b32_e32 v2, 2, v10
	s_or_b32 s1, vcc_lo, s1
	s_wait_loadcnt_dscnt 0x0
	v_mul_f32_e32 v3, v6, v11
	ds_store_b32 v2, v3
	s_wait_alu 0xfffe
	s_and_not1_b32 exec_lo, exec_lo, s1
	s_cbranch_execz .LBB9_65
.LBB9_54:                               ; =>This Loop Header: Depth=1
                                        ;     Child Loop BB9_56 Depth 2
	v_add_co_u32 v6, vcc_lo, s38, v4
	s_wait_alu 0xfffd
	v_add_co_ci_u32_e64 v7, null, s39, v5, vcc_lo
	v_dual_mov_b32 v8, s16 :: v_dual_mov_b32 v9, s17
	s_wait_alu 0xfffe
	v_dual_mov_b32 v10, s34 :: v_dual_mov_b32 v11, s35
	s_and_not1_b32 vcc_lo, exec_lo, s33
	s_wait_alu 0xfffe
	s_cbranch_vccnz .LBB9_58
; %bb.55:                               ;   in Loop: Header=BB9_54 Depth=1
	v_dual_mov_b32 v8, s16 :: v_dual_mov_b32 v9, s17
	v_dual_mov_b32 v10, s34 :: v_dual_mov_b32 v11, s35
	s_mov_b32 s40, 0
.LBB9_56:                               ;   Parent Loop BB9_54 Depth=1
                                        ; =>  This Inner Loop Header: Depth=2
	s_delay_alu instid0(VALU_DEP_1) | instskip(SKIP_1) | instid1(VALU_DEP_2)
	v_add_co_u32 v2, vcc_lo, v10, v8
	s_wait_alu 0xfffd
	v_add_co_ci_u32_e64 v3, null, v11, v9, vcc_lo
	s_delay_alu instid0(VALU_DEP_1) | instskip(NEXT) | instid1(VALU_DEP_1)
	v_lshrrev_b32_e32 v12, 31, v3
	v_add_co_u32 v2, vcc_lo, v2, v12
	s_wait_alu 0xfffd
	v_add_co_ci_u32_e64 v3, null, 0, v3, vcc_lo
	s_delay_alu instid0(VALU_DEP_1) | instskip(NEXT) | instid1(VALU_DEP_1)
	v_ashrrev_i64 v[2:3], 1, v[2:3]
	v_lshlrev_b64_e32 v[12:13], 3, v[2:3]
	s_delay_alu instid0(VALU_DEP_1) | instskip(SKIP_1) | instid1(VALU_DEP_2)
	v_add_co_u32 v12, vcc_lo, s8, v12
	s_wait_alu 0xfffd
	v_add_co_ci_u32_e64 v13, null, s9, v13, vcc_lo
	global_load_b64 v[12:13], v[12:13], off
	s_wait_loadcnt 0x0
	v_sub_co_u32 v12, vcc_lo, v12, s24
	s_wait_alu 0xfffd
	v_subrev_co_ci_u32_e64 v13, null, 0, v13, vcc_lo
	s_delay_alu instid0(VALU_DEP_1) | instskip(SKIP_3) | instid1(VALU_DEP_2)
	v_cmp_lt_i64_e32 vcc_lo, v[6:7], v[12:13]
	s_wait_alu 0xfffd
	v_dual_cndmask_b32 v11, v11, v3 :: v_dual_cndmask_b32 v10, v10, v2
	v_dual_cndmask_b32 v9, v3, v9 :: v_dual_cndmask_b32 v8, v2, v8
	v_add_co_u32 v2, vcc_lo, v10, -1
	s_wait_alu 0xfffd
	s_delay_alu instid0(VALU_DEP_3) | instskip(NEXT) | instid1(VALU_DEP_3)
	v_add_co_ci_u32_e64 v3, null, -1, v11, vcc_lo
	v_cmp_ge_i64_e32 vcc_lo, v[8:9], v[10:11]
	s_delay_alu instid0(VALU_DEP_2)
	v_cmp_eq_u64_e64 s0, v[8:9], v[2:3]
	s_or_b32 s0, vcc_lo, s0
	s_wait_alu 0xfffe
	s_and_b32 s0, exec_lo, s0
	s_wait_alu 0xfffe
	s_or_b32 s40, s0, s40
	s_delay_alu instid0(SALU_CYCLE_1)
	s_and_not1_b32 exec_lo, exec_lo, s40
	s_cbranch_execnz .LBB9_56
; %bb.57:                               ;   in Loop: Header=BB9_54 Depth=1
	s_or_b32 exec_lo, exec_lo, s40
.LBB9_58:                               ;   in Loop: Header=BB9_54 Depth=1
	s_delay_alu instid0(VALU_DEP_1) | instskip(SKIP_1) | instid1(VALU_DEP_2)
	v_lshlrev_b64_e32 v[2:3], 3, v[10:11]
	v_lshlrev_b64_e32 v[12:13], 3, v[6:7]
	v_add_co_u32 v2, vcc_lo, s8, v2
	s_wait_alu 0xfffd
	s_delay_alu instid0(VALU_DEP_3) | instskip(NEXT) | instid1(VALU_DEP_3)
	v_add_co_ci_u32_e64 v3, null, s9, v3, vcc_lo
	v_add_co_u32 v12, vcc_lo, s10, v12
	s_wait_alu 0xfffd
	v_add_co_ci_u32_e64 v13, null, s11, v13, vcc_lo
	global_load_b64 v[2:3], v[2:3], off
	global_load_b64 v[12:13], v[12:13], off
	s_wait_loadcnt 0x1
	v_sub_co_u32 v2, vcc_lo, v2, s24
	s_wait_alu 0xfffd
	v_subrev_co_ci_u32_e64 v3, null, 0, v3, vcc_lo
	s_delay_alu instid0(VALU_DEP_1)
	v_cmp_lt_i64_e32 vcc_lo, v[6:7], v[2:3]
	s_wait_loadcnt 0x0
	v_sub_co_u32 v2, s0, v12, s24
	s_wait_alu 0xf1ff
	v_subrev_co_ci_u32_e64 v3, null, 0, v13, s0
	v_cmp_le_i64_e64 s0, s[36:37], v[6:7]
	s_wait_alu 0xfffd
	v_dual_cndmask_b32 v9, v11, v9 :: v_dual_cndmask_b32 v8, v10, v8
	v_add_co_u32 v10, null, s38, v0
                                        ; implicit-def: $vgpr11
	s_delay_alu instid0(VALU_DEP_2) | instskip(NEXT) | instid1(VALU_DEP_2)
	v_cmp_eq_u64_e32 vcc_lo, v[2:3], v[8:9]
	v_lshlrev_b32_e32 v12, 2, v10
	s_or_b32 s0, vcc_lo, s0
	s_wait_alu 0xfffe
	s_and_saveexec_b32 s40, s0
	s_delay_alu instid0(SALU_CYCLE_1)
	s_xor_b32 s0, exec_lo, s40
; %bb.59:                               ;   in Loop: Header=BB9_54 Depth=1
	ds_load_b32 v11, v12
                                        ; implicit-def: $vgpr12
                                        ; implicit-def: $vgpr8_vgpr9
; %bb.60:                               ;   in Loop: Header=BB9_54 Depth=1
	s_wait_alu 0xfffe
	s_and_not1_saveexec_b32 s40, s0
	s_cbranch_execz .LBB9_53
; %bb.61:                               ;   in Loop: Header=BB9_54 Depth=1
	v_cmp_gt_i64_e32 vcc_lo, s[12:13], v[2:3]
	v_cmp_le_i64_e64 s0, s[18:19], v[2:3]
	v_lshlrev_b64_e32 v[6:7], 2, v[8:9]
                                        ; implicit-def: $vgpr11
	s_or_b32 s0, vcc_lo, s0
	s_wait_alu 0xfffe
	s_and_saveexec_b32 s41, s0
	s_delay_alu instid0(SALU_CYCLE_1)
	s_xor_b32 s0, exec_lo, s41
	s_cbranch_execz .LBB9_63
; %bb.62:                               ;   in Loop: Header=BB9_54 Depth=1
	v_add_co_u32 v6, vcc_lo, s14, v6
	s_wait_alu 0xfffd
	v_add_co_ci_u32_e64 v7, null, s15, v7, vcc_lo
	s_wait_dscnt 0x0
	ds_load_b32 v11, v12
                                        ; implicit-def: $vgpr12
	global_load_b32 v8, v[6:7], off
	v_lshlrev_b64_e32 v[6:7], 2, v[2:3]
	s_delay_alu instid0(VALU_DEP_1) | instskip(SKIP_1) | instid1(VALU_DEP_2)
	v_add_co_u32 v6, vcc_lo, s20, v6
	s_wait_alu 0xfffd
	v_add_co_ci_u32_e64 v7, null, s21, v7, vcc_lo
	s_wait_loadcnt_dscnt 0x0
	v_mul_f32_e32 v8, v11, v8
	global_atomic_add_f32 v[6:7], v8, off scope:SCOPE_DEV
                                        ; implicit-def: $vgpr6_vgpr7
.LBB9_63:                               ;   in Loop: Header=BB9_54 Depth=1
	s_wait_alu 0xfffe
	s_and_not1_saveexec_b32 s0, s0
	s_cbranch_execz .LBB9_52
; %bb.64:                               ;   in Loop: Header=BB9_54 Depth=1
	v_add_co_u32 v6, vcc_lo, s14, v6
	s_wait_alu 0xfffd
	v_add_co_ci_u32_e64 v7, null, s15, v7, vcc_lo
	s_wait_dscnt 0x0
	ds_load_b32 v11, v12
	global_load_b32 v6, v[6:7], off
	v_subrev_nc_u32_e32 v7, s12, v2
	s_delay_alu instid0(VALU_DEP_1)
	v_lshl_add_u32 v7, v7, 2, 0x1000
	s_wait_loadcnt_dscnt 0x0
	v_mul_f32_e32 v6, v11, v6
	ds_add_f32 v7, v6
	s_branch .LBB9_52
.LBB9_65:
	s_or_b32 exec_lo, exec_lo, s29
                                        ; implicit-def: $vgpr2_vgpr3
                                        ; implicit-def: $vgpr4
.LBB9_66:
	s_wait_alu 0xfffe
	s_and_not1_saveexec_b32 s1, s7
	s_cbranch_execz .LBB9_108
; %bb.67:
	s_add_nc_u64 s[30:31], s[18:19], -1
	s_add_nc_u64 s[34:35], s[18:19], -2
	v_dual_mov_b32 v8, s16 :: v_dual_mov_b32 v9, s17
	s_wait_alu 0xfffe
	v_dual_mov_b32 v10, s30 :: v_dual_mov_b32 v11, s31
	s_cmp_lg_u64 s[16:17], s[34:35]
	s_cselect_b32 s7, -1, 0
	s_cmp_eq_u64 s[16:17], s[34:35]
	s_cbranch_scc1 .LBB9_71
; %bb.68:
	v_dual_mov_b32 v8, s16 :: v_dual_mov_b32 v9, s17
	v_dual_mov_b32 v10, s30 :: v_dual_mov_b32 v11, s31
	s_mov_b32 s29, 0
.LBB9_69:                               ; =>This Inner Loop Header: Depth=1
	s_delay_alu instid0(VALU_DEP_1) | instskip(SKIP_1) | instid1(VALU_DEP_2)
	v_add_co_u32 v6, vcc_lo, v10, v8
	s_wait_alu 0xfffd
	v_add_co_ci_u32_e64 v7, null, v11, v9, vcc_lo
	s_delay_alu instid0(VALU_DEP_1) | instskip(NEXT) | instid1(VALU_DEP_1)
	v_lshrrev_b32_e32 v12, 31, v7
	v_add_co_u32 v6, vcc_lo, v6, v12
	s_wait_alu 0xfffd
	v_add_co_ci_u32_e64 v7, null, 0, v7, vcc_lo
	s_delay_alu instid0(VALU_DEP_1) | instskip(NEXT) | instid1(VALU_DEP_1)
	v_ashrrev_i64 v[6:7], 1, v[6:7]
	v_lshlrev_b64_e32 v[12:13], 3, v[6:7]
	s_delay_alu instid0(VALU_DEP_1) | instskip(SKIP_1) | instid1(VALU_DEP_2)
	v_add_co_u32 v12, vcc_lo, s8, v12
	s_wait_alu 0xfffd
	v_add_co_ci_u32_e64 v13, null, s9, v13, vcc_lo
	global_load_b64 v[12:13], v[12:13], off
	s_wait_loadcnt 0x0
	v_sub_co_u32 v12, vcc_lo, v12, s24
	s_wait_alu 0xfffd
	v_subrev_co_ci_u32_e64 v13, null, 0, v13, vcc_lo
	s_delay_alu instid0(VALU_DEP_1) | instskip(SKIP_3) | instid1(VALU_DEP_2)
	v_cmp_lt_i64_e32 vcc_lo, v[4:5], v[12:13]
	s_wait_alu 0xfffd
	v_dual_cndmask_b32 v11, v11, v7 :: v_dual_cndmask_b32 v10, v10, v6
	v_dual_cndmask_b32 v9, v7, v9 :: v_dual_cndmask_b32 v8, v6, v8
	v_add_co_u32 v6, vcc_lo, v10, -1
	s_wait_alu 0xfffd
	s_delay_alu instid0(VALU_DEP_3) | instskip(NEXT) | instid1(VALU_DEP_3)
	v_add_co_ci_u32_e64 v7, null, -1, v11, vcc_lo
	v_cmp_ge_i64_e32 vcc_lo, v[8:9], v[10:11]
	s_delay_alu instid0(VALU_DEP_2)
	v_cmp_eq_u64_e64 s0, v[8:9], v[6:7]
	s_or_b32 s0, vcc_lo, s0
	s_wait_alu 0xfffe
	s_and_b32 s0, exec_lo, s0
	s_wait_alu 0xfffe
	s_or_b32 s29, s0, s29
	s_wait_alu 0xfffe
	s_and_not1_b32 exec_lo, exec_lo, s29
	s_cbranch_execnz .LBB9_69
; %bb.70:
	s_or_b32 exec_lo, exec_lo, s29
.LBB9_71:
	v_lshlrev_b64_e32 v[6:7], 3, v[10:11]
	s_mov_b32 s29, exec_lo
	s_delay_alu instid0(VALU_DEP_1) | instskip(SKIP_1) | instid1(VALU_DEP_2)
	v_add_co_u32 v6, vcc_lo, s8, v6
	s_wait_alu 0xfffd
	v_add_co_ci_u32_e64 v7, null, s9, v7, vcc_lo
	global_load_b64 v[12:13], v[6:7], off
	v_lshlrev_b64_e32 v[6:7], 3, v[4:5]
	s_delay_alu instid0(VALU_DEP_1) | instskip(SKIP_1) | instid1(VALU_DEP_2)
	v_add_co_u32 v6, vcc_lo, s10, v6
	s_wait_alu 0xfffd
	v_add_co_ci_u32_e64 v7, null, s11, v7, vcc_lo
	s_lshl_b64 s[10:11], s[18:19], 3
	s_wait_alu 0xfffe
	s_add_nc_u64 s[10:11], s[8:9], s[10:11]
	global_load_b64 v[16:17], v[6:7], off
	s_wait_loadcnt 0x1
	v_sub_co_u32 v12, vcc_lo, v12, s24
	s_wait_alu 0xfffd
	v_subrev_co_ci_u32_e64 v13, null, 0, v13, vcc_lo
	s_delay_alu instid0(VALU_DEP_1)
	v_cmp_lt_i64_e32 vcc_lo, v[4:5], v[12:13]
	s_wait_alu 0xfffd
	v_dual_cndmask_b32 v11, v11, v9 :: v_dual_cndmask_b32 v10, v10, v8
	s_wait_loadcnt 0x0
	v_sub_co_u32 v8, vcc_lo, v16, s24
	s_wait_alu 0xfffd
	v_subrev_co_ci_u32_e64 v9, null, 0, v17, vcc_lo
	s_delay_alu instid0(VALU_DEP_1)
	v_cmpx_ne_u64_e64 v[8:9], v[10:11]
	s_cbranch_execz .LBB9_77
; %bb.72:
	s_load_b64 s[34:35], s[10:11], 0x0
	s_wait_kmcnt 0x0
	s_sub_nc_u64 s[34:35], s[34:35], s[24:25]
	s_wait_alu 0xfffe
	v_cmp_gt_i64_e32 vcc_lo, s[34:35], v[4:5]
	s_and_b32 exec_lo, exec_lo, vcc_lo
	s_cbranch_execz .LBB9_77
; %bb.73:
	v_cmp_gt_i64_e32 vcc_lo, s[12:13], v[8:9]
	v_cmp_le_i64_e64 s0, s[18:19], v[8:9]
	v_lshlrev_b64_e32 v[10:11], 2, v[10:11]
	s_or_b32 s0, vcc_lo, s0
	s_wait_alu 0xfffe
	s_and_saveexec_b32 s33, s0
	s_delay_alu instid0(SALU_CYCLE_1)
	s_xor_b32 s0, exec_lo, s33
	s_cbranch_execz .LBB9_75
; %bb.74:
	v_add_co_u32 v10, vcc_lo, s14, v10
	s_wait_alu 0xfffd
	v_add_co_ci_u32_e64 v11, null, s15, v11, vcc_lo
	ds_load_b32 v13, v14
	global_load_b32 v12, v[10:11], off
	v_lshlrev_b64_e32 v[10:11], 2, v[8:9]
	s_delay_alu instid0(VALU_DEP_1) | instskip(SKIP_1) | instid1(VALU_DEP_2)
	v_add_co_u32 v10, vcc_lo, s20, v10
	s_wait_alu 0xfffd
	v_add_co_ci_u32_e64 v11, null, s21, v11, vcc_lo
	s_wait_loadcnt_dscnt 0x0
	v_mul_f32_e32 v12, v13, v12
	global_atomic_add_f32 v[10:11], v12, off scope:SCOPE_DEV
                                        ; implicit-def: $vgpr10_vgpr11
.LBB9_75:
	s_wait_alu 0xfffe
	s_and_not1_saveexec_b32 s0, s0
	s_cbranch_execz .LBB9_77
; %bb.76:
	v_add_co_u32 v10, vcc_lo, s14, v10
	s_wait_alu 0xfffd
	v_add_co_ci_u32_e64 v11, null, s15, v11, vcc_lo
	v_subrev_nc_u32_e32 v12, s12, v8
	global_load_b32 v10, v[10:11], off
	ds_load_b32 v11, v14
	v_lshl_add_u32 v12, v12, 2, 0x1000
	s_wait_loadcnt_dscnt 0x0
	v_mul_f32_e32 v10, v11, v10
	ds_add_f32 v12, v10
.LBB9_77:
	s_or_b32 exec_lo, exec_lo, s29
	v_lshlrev_b64_e32 v[8:9], 2, v[8:9]
	ds_load_b32 v11, v14
	v_cndmask_b32_e64 v16, 0, 1, s7
	v_dual_mov_b32 v12, s30 :: v_dual_mov_b32 v13, s31
	v_add_co_u32 v8, vcc_lo, s14, v8
	s_wait_alu 0xfffd
	v_add_co_ci_u32_e64 v9, null, s15, v9, vcc_lo
	global_load_b32 v10, v[8:9], off
	v_add_co_u32 v8, vcc_lo, 0x100, v4
	s_wait_alu 0xfffd
	v_add_co_ci_u32_e64 v9, null, 0, v5, vcc_lo
	s_and_not1_b32 vcc_lo, exec_lo, s7
	s_wait_loadcnt_dscnt 0x0
	v_dual_mul_f32 v17, v10, v11 :: v_dual_mov_b32 v10, s16
	v_mov_b32_e32 v11, s17
	ds_store_b32 v14, v17
	s_wait_alu 0xfffe
	s_cbranch_vccnz .LBB9_81
; %bb.78:
	v_dual_mov_b32 v10, s16 :: v_dual_mov_b32 v11, s17
	v_dual_mov_b32 v12, s30 :: v_dual_mov_b32 v13, s31
	s_mov_b32 s7, 0
.LBB9_79:                               ; =>This Inner Loop Header: Depth=1
	s_delay_alu instid0(VALU_DEP_1) | instskip(SKIP_1) | instid1(VALU_DEP_2)
	v_add_co_u32 v17, vcc_lo, v12, v10
	s_wait_alu 0xfffd
	v_add_co_ci_u32_e64 v18, null, v13, v11, vcc_lo
	s_delay_alu instid0(VALU_DEP_1) | instskip(NEXT) | instid1(VALU_DEP_1)
	v_lshrrev_b32_e32 v19, 31, v18
	v_add_co_u32 v17, vcc_lo, v17, v19
	s_wait_alu 0xfffd
	v_add_co_ci_u32_e64 v18, null, 0, v18, vcc_lo
	s_delay_alu instid0(VALU_DEP_1) | instskip(NEXT) | instid1(VALU_DEP_1)
	v_ashrrev_i64 v[17:18], 1, v[17:18]
	v_lshlrev_b64_e32 v[19:20], 3, v[17:18]
	s_delay_alu instid0(VALU_DEP_1) | instskip(SKIP_1) | instid1(VALU_DEP_2)
	v_add_co_u32 v19, vcc_lo, s8, v19
	s_wait_alu 0xfffd
	v_add_co_ci_u32_e64 v20, null, s9, v20, vcc_lo
	global_load_b64 v[19:20], v[19:20], off
	s_wait_loadcnt 0x0
	v_sub_co_u32 v19, vcc_lo, v19, s24
	s_wait_alu 0xfffd
	v_subrev_co_ci_u32_e64 v20, null, 0, v20, vcc_lo
	s_delay_alu instid0(VALU_DEP_1) | instskip(SKIP_3) | instid1(VALU_DEP_2)
	v_cmp_lt_i64_e32 vcc_lo, v[8:9], v[19:20]
	s_wait_alu 0xfffd
	v_dual_cndmask_b32 v13, v13, v18 :: v_dual_cndmask_b32 v12, v12, v17
	v_dual_cndmask_b32 v11, v18, v11 :: v_dual_cndmask_b32 v10, v17, v10
	v_add_co_u32 v17, vcc_lo, v12, -1
	s_wait_alu 0xfffd
	s_delay_alu instid0(VALU_DEP_3) | instskip(NEXT) | instid1(VALU_DEP_3)
	v_add_co_ci_u32_e64 v18, null, -1, v13, vcc_lo
	v_cmp_ge_i64_e32 vcc_lo, v[10:11], v[12:13]
	s_delay_alu instid0(VALU_DEP_2)
	v_cmp_eq_u64_e64 s0, v[10:11], v[17:18]
	s_or_b32 s0, vcc_lo, s0
	s_wait_alu 0xfffe
	s_and_b32 s0, exec_lo, s0
	s_wait_alu 0xfffe
	s_or_b32 s7, s0, s7
	s_wait_alu 0xfffe
	s_and_not1_b32 exec_lo, exec_lo, s7
	s_cbranch_execnz .LBB9_79
; %bb.80:
	s_or_b32 exec_lo, exec_lo, s7
.LBB9_81:
	v_lshlrev_b64_e32 v[17:18], 3, v[12:13]
	s_mov_b32 s7, exec_lo
	s_delay_alu instid0(VALU_DEP_1) | instskip(SKIP_1) | instid1(VALU_DEP_2)
	v_add_co_u32 v17, vcc_lo, s8, v17
	s_wait_alu 0xfffd
	v_add_co_ci_u32_e64 v18, null, s9, v18, vcc_lo
	global_load_b64 v[17:18], v[17:18], off
	global_load_b64 v[19:20], v[6:7], off offset:2048
	s_wait_loadcnt 0x1
	v_sub_co_u32 v17, vcc_lo, v17, s24
	s_wait_alu 0xfffd
	v_subrev_co_ci_u32_e64 v18, null, 0, v18, vcc_lo
	s_delay_alu instid0(VALU_DEP_1)
	v_cmp_lt_i64_e32 vcc_lo, v[8:9], v[17:18]
	s_wait_alu 0xfffd
	v_dual_cndmask_b32 v13, v13, v11 :: v_dual_cndmask_b32 v12, v12, v10
	s_wait_loadcnt 0x0
	v_sub_co_u32 v10, vcc_lo, v19, s24
	s_wait_alu 0xfffd
	v_subrev_co_ci_u32_e64 v11, null, 0, v20, vcc_lo
	s_delay_alu instid0(VALU_DEP_1)
	v_cmpx_ne_u64_e64 v[10:11], v[12:13]
	s_cbranch_execz .LBB9_87
; %bb.82:
	s_load_b64 s[34:35], s[10:11], 0x0
	s_wait_kmcnt 0x0
	s_sub_nc_u64 s[34:35], s[34:35], s[24:25]
	s_wait_alu 0xfffe
	v_cmp_gt_i64_e32 vcc_lo, s[34:35], v[8:9]
	s_and_b32 exec_lo, exec_lo, vcc_lo
	s_cbranch_execz .LBB9_87
; %bb.83:
	v_cmp_gt_i64_e32 vcc_lo, s[12:13], v[10:11]
	v_cmp_le_i64_e64 s0, s[18:19], v[10:11]
	v_lshlrev_b64_e32 v[8:9], 2, v[12:13]
	s_or_b32 s0, vcc_lo, s0
	s_wait_alu 0xfffe
	s_and_saveexec_b32 s29, s0
	s_wait_alu 0xfffe
	s_xor_b32 s0, exec_lo, s29
	s_cbranch_execz .LBB9_85
; %bb.84:
	v_add_co_u32 v8, vcc_lo, s14, v8
	s_wait_alu 0xfffd
	v_add_co_ci_u32_e64 v9, null, s15, v9, vcc_lo
	ds_load_b32 v13, v14 offset:1024
	global_load_b32 v12, v[8:9], off
	v_lshlrev_b64_e32 v[8:9], 2, v[10:11]
	s_delay_alu instid0(VALU_DEP_1) | instskip(SKIP_1) | instid1(VALU_DEP_2)
	v_add_co_u32 v8, vcc_lo, s20, v8
	s_wait_alu 0xfffd
	v_add_co_ci_u32_e64 v9, null, s21, v9, vcc_lo
	s_wait_loadcnt_dscnt 0x0
	v_mul_f32_e32 v12, v13, v12
	global_atomic_add_f32 v[8:9], v12, off scope:SCOPE_DEV
                                        ; implicit-def: $vgpr8_vgpr9
.LBB9_85:
	s_wait_alu 0xfffe
	s_and_not1_saveexec_b32 s0, s0
	s_cbranch_execz .LBB9_87
; %bb.86:
	v_add_co_u32 v8, vcc_lo, s14, v8
	s_wait_alu 0xfffd
	v_add_co_ci_u32_e64 v9, null, s15, v9, vcc_lo
	v_subrev_nc_u32_e32 v12, s12, v10
	global_load_b32 v8, v[8:9], off
	ds_load_b32 v9, v14 offset:1024
	v_lshl_add_u32 v12, v12, 2, 0x1000
	s_wait_loadcnt_dscnt 0x0
	v_mul_f32_e32 v8, v9, v8
	ds_add_f32 v12, v8
.LBB9_87:
	s_wait_alu 0xfffe
	s_or_b32 exec_lo, exec_lo, s7
	v_lshlrev_b64_e32 v[8:9], 2, v[10:11]
	v_dual_mov_b32 v10, s30 :: v_dual_mov_b32 v11, s31
	s_delay_alu instid0(VALU_DEP_2) | instskip(SKIP_1) | instid1(VALU_DEP_3)
	v_add_co_u32 v8, vcc_lo, s14, v8
	s_wait_alu 0xfffd
	v_add_co_ci_u32_e64 v9, null, s15, v9, vcc_lo
	v_add_co_u32 v4, vcc_lo, 0x200, v4
	s_wait_alu 0xfffd
	v_add_co_ci_u32_e64 v5, null, 0, v5, vcc_lo
	global_load_b32 v8, v[8:9], off
	ds_load_b32 v9, v14 offset:1024
	v_cmp_ne_u32_e32 vcc_lo, 1, v16
	s_and_b32 vcc_lo, exec_lo, vcc_lo
	s_wait_loadcnt_dscnt 0x0
	v_mul_f32_e32 v12, v8, v9
	v_dual_mov_b32 v8, s16 :: v_dual_mov_b32 v9, s17
	ds_store_b32 v14, v12 offset:1024
	s_wait_alu 0xfffe
	s_cbranch_vccnz .LBB9_91
; %bb.88:
	v_dual_mov_b32 v8, s16 :: v_dual_mov_b32 v9, s17
	v_dual_mov_b32 v10, s30 :: v_dual_mov_b32 v11, s31
	s_mov_b32 s7, 0
.LBB9_89:                               ; =>This Inner Loop Header: Depth=1
	s_delay_alu instid0(VALU_DEP_1) | instskip(SKIP_1) | instid1(VALU_DEP_2)
	v_add_co_u32 v12, vcc_lo, v10, v8
	s_wait_alu 0xfffd
	v_add_co_ci_u32_e64 v13, null, v11, v9, vcc_lo
	s_delay_alu instid0(VALU_DEP_1) | instskip(NEXT) | instid1(VALU_DEP_1)
	v_lshrrev_b32_e32 v17, 31, v13
	v_add_co_u32 v12, vcc_lo, v12, v17
	s_wait_alu 0xfffd
	v_add_co_ci_u32_e64 v13, null, 0, v13, vcc_lo
	s_delay_alu instid0(VALU_DEP_1) | instskip(NEXT) | instid1(VALU_DEP_1)
	v_ashrrev_i64 v[12:13], 1, v[12:13]
	v_lshlrev_b64_e32 v[17:18], 3, v[12:13]
	s_delay_alu instid0(VALU_DEP_1) | instskip(SKIP_1) | instid1(VALU_DEP_2)
	v_add_co_u32 v17, vcc_lo, s8, v17
	s_wait_alu 0xfffd
	v_add_co_ci_u32_e64 v18, null, s9, v18, vcc_lo
	global_load_b64 v[17:18], v[17:18], off
	s_wait_loadcnt 0x0
	v_sub_co_u32 v17, vcc_lo, v17, s24
	s_wait_alu 0xfffd
	v_subrev_co_ci_u32_e64 v18, null, 0, v18, vcc_lo
	s_delay_alu instid0(VALU_DEP_1) | instskip(SKIP_3) | instid1(VALU_DEP_2)
	v_cmp_lt_i64_e32 vcc_lo, v[4:5], v[17:18]
	s_wait_alu 0xfffd
	v_dual_cndmask_b32 v11, v11, v13 :: v_dual_cndmask_b32 v10, v10, v12
	v_dual_cndmask_b32 v9, v13, v9 :: v_dual_cndmask_b32 v8, v12, v8
	v_add_co_u32 v12, vcc_lo, v10, -1
	s_wait_alu 0xfffd
	s_delay_alu instid0(VALU_DEP_3) | instskip(NEXT) | instid1(VALU_DEP_3)
	v_add_co_ci_u32_e64 v13, null, -1, v11, vcc_lo
	v_cmp_ge_i64_e32 vcc_lo, v[8:9], v[10:11]
	s_delay_alu instid0(VALU_DEP_2)
	v_cmp_eq_u64_e64 s0, v[8:9], v[12:13]
	s_or_b32 s0, vcc_lo, s0
	s_wait_alu 0xfffe
	s_and_b32 s0, exec_lo, s0
	s_wait_alu 0xfffe
	s_or_b32 s7, s0, s7
	s_wait_alu 0xfffe
	s_and_not1_b32 exec_lo, exec_lo, s7
	s_cbranch_execnz .LBB9_89
; %bb.90:
	s_or_b32 exec_lo, exec_lo, s7
.LBB9_91:
	v_lshlrev_b64_e32 v[12:13], 3, v[10:11]
	s_mov_b32 s7, exec_lo
	s_delay_alu instid0(VALU_DEP_1) | instskip(SKIP_1) | instid1(VALU_DEP_2)
	v_add_co_u32 v12, vcc_lo, s8, v12
	s_wait_alu 0xfffd
	v_add_co_ci_u32_e64 v13, null, s9, v13, vcc_lo
	global_load_b64 v[12:13], v[12:13], off
	global_load_b64 v[17:18], v[6:7], off offset:4096
	s_wait_loadcnt 0x1
	v_sub_co_u32 v12, vcc_lo, v12, s24
	s_wait_alu 0xfffd
	v_subrev_co_ci_u32_e64 v13, null, 0, v13, vcc_lo
	s_delay_alu instid0(VALU_DEP_1)
	v_cmp_lt_i64_e32 vcc_lo, v[4:5], v[12:13]
	s_wait_alu 0xfffd
	v_dual_cndmask_b32 v11, v11, v9 :: v_dual_cndmask_b32 v10, v10, v8
	s_wait_loadcnt 0x0
	v_sub_co_u32 v8, vcc_lo, v17, s24
	s_wait_alu 0xfffd
	v_subrev_co_ci_u32_e64 v9, null, 0, v18, vcc_lo
	s_delay_alu instid0(VALU_DEP_1)
	v_cmpx_ne_u64_e64 v[8:9], v[10:11]
	s_cbranch_execz .LBB9_97
; %bb.92:
	s_load_b64 s[34:35], s[10:11], 0x0
	s_wait_kmcnt 0x0
	s_sub_nc_u64 s[34:35], s[34:35], s[24:25]
	s_wait_alu 0xfffe
	v_cmp_gt_i64_e32 vcc_lo, s[34:35], v[4:5]
	s_and_b32 exec_lo, exec_lo, vcc_lo
	s_cbranch_execz .LBB9_97
; %bb.93:
	v_cmp_gt_i64_e32 vcc_lo, s[12:13], v[8:9]
	v_cmp_le_i64_e64 s0, s[18:19], v[8:9]
	v_lshlrev_b64_e32 v[4:5], 2, v[10:11]
	s_or_b32 s0, vcc_lo, s0
	s_wait_alu 0xfffe
	s_and_saveexec_b32 s29, s0
	s_wait_alu 0xfffe
	s_xor_b32 s0, exec_lo, s29
	s_cbranch_execz .LBB9_95
; %bb.94:
	v_add_co_u32 v4, vcc_lo, s14, v4
	s_wait_alu 0xfffd
	v_add_co_ci_u32_e64 v5, null, s15, v5, vcc_lo
	ds_load_b32 v11, v14 offset:2048
	global_load_b32 v10, v[4:5], off
	v_lshlrev_b64_e32 v[4:5], 2, v[8:9]
	s_delay_alu instid0(VALU_DEP_1) | instskip(SKIP_1) | instid1(VALU_DEP_2)
	v_add_co_u32 v4, vcc_lo, s20, v4
	s_wait_alu 0xfffd
	v_add_co_ci_u32_e64 v5, null, s21, v5, vcc_lo
	s_wait_loadcnt_dscnt 0x0
	v_mul_f32_e32 v10, v11, v10
	global_atomic_add_f32 v[4:5], v10, off scope:SCOPE_DEV
                                        ; implicit-def: $vgpr4_vgpr5
.LBB9_95:
	s_wait_alu 0xfffe
	s_and_not1_saveexec_b32 s0, s0
	s_cbranch_execz .LBB9_97
; %bb.96:
	v_add_co_u32 v4, vcc_lo, s14, v4
	s_wait_alu 0xfffd
	v_add_co_ci_u32_e64 v5, null, s15, v5, vcc_lo
	v_subrev_nc_u32_e32 v10, s12, v8
	global_load_b32 v4, v[4:5], off
	ds_load_b32 v5, v14 offset:2048
	v_lshl_add_u32 v10, v10, 2, 0x1000
	s_wait_loadcnt_dscnt 0x0
	v_mul_f32_e32 v4, v5, v4
	ds_add_f32 v10, v4
.LBB9_97:
	s_wait_alu 0xfffe
	s_or_b32 exec_lo, exec_lo, s7
	v_lshlrev_b64_e32 v[4:5], 2, v[8:9]
	v_dual_mov_b32 v8, s30 :: v_dual_mov_b32 v9, s31
	s_delay_alu instid0(VALU_DEP_2) | instskip(SKIP_1) | instid1(VALU_DEP_3)
	v_add_co_u32 v4, vcc_lo, s14, v4
	s_wait_alu 0xfffd
	v_add_co_ci_u32_e64 v5, null, s15, v5, vcc_lo
	v_cmp_ne_u32_e32 vcc_lo, 1, v16
	global_load_b32 v4, v[4:5], off
	ds_load_b32 v5, v14 offset:2048
	s_and_b32 vcc_lo, exec_lo, vcc_lo
	s_wait_loadcnt_dscnt 0x0
	v_mul_f32_e32 v10, v4, v5
	v_dual_mov_b32 v4, s16 :: v_dual_mov_b32 v5, s17
	ds_store_b32 v14, v10 offset:2048
	s_wait_alu 0xfffe
	s_cbranch_vccnz .LBB9_101
; %bb.98:
	v_dual_mov_b32 v4, s16 :: v_dual_mov_b32 v5, s17
	v_dual_mov_b32 v8, s30 :: v_dual_mov_b32 v9, s31
	s_mov_b32 s7, 0
.LBB9_99:                               ; =>This Inner Loop Header: Depth=1
	s_delay_alu instid0(VALU_DEP_1) | instskip(SKIP_1) | instid1(VALU_DEP_2)
	v_add_co_u32 v10, vcc_lo, v8, v4
	s_wait_alu 0xfffd
	v_add_co_ci_u32_e64 v11, null, v9, v5, vcc_lo
	s_delay_alu instid0(VALU_DEP_1) | instskip(NEXT) | instid1(VALU_DEP_1)
	v_lshrrev_b32_e32 v12, 31, v11
	v_add_co_u32 v10, vcc_lo, v10, v12
	s_wait_alu 0xfffd
	v_add_co_ci_u32_e64 v11, null, 0, v11, vcc_lo
	s_delay_alu instid0(VALU_DEP_1) | instskip(NEXT) | instid1(VALU_DEP_1)
	v_ashrrev_i64 v[10:11], 1, v[10:11]
	v_lshlrev_b64_e32 v[12:13], 3, v[10:11]
	s_delay_alu instid0(VALU_DEP_1) | instskip(SKIP_1) | instid1(VALU_DEP_2)
	v_add_co_u32 v12, vcc_lo, s8, v12
	s_wait_alu 0xfffd
	v_add_co_ci_u32_e64 v13, null, s9, v13, vcc_lo
	global_load_b64 v[12:13], v[12:13], off
	s_wait_loadcnt 0x0
	v_sub_co_u32 v12, vcc_lo, v12, s24
	s_wait_alu 0xfffd
	v_subrev_co_ci_u32_e64 v13, null, 0, v13, vcc_lo
	s_delay_alu instid0(VALU_DEP_1) | instskip(SKIP_3) | instid1(VALU_DEP_2)
	v_cmp_lt_i64_e32 vcc_lo, v[2:3], v[12:13]
	s_wait_alu 0xfffd
	v_dual_cndmask_b32 v9, v9, v11 :: v_dual_cndmask_b32 v8, v8, v10
	v_dual_cndmask_b32 v5, v11, v5 :: v_dual_cndmask_b32 v4, v10, v4
	v_add_co_u32 v10, vcc_lo, v8, -1
	s_wait_alu 0xfffd
	s_delay_alu instid0(VALU_DEP_3) | instskip(NEXT) | instid1(VALU_DEP_3)
	v_add_co_ci_u32_e64 v11, null, -1, v9, vcc_lo
	v_cmp_ge_i64_e32 vcc_lo, v[4:5], v[8:9]
	s_delay_alu instid0(VALU_DEP_2)
	v_cmp_eq_u64_e64 s0, v[4:5], v[10:11]
	s_or_b32 s0, vcc_lo, s0
	s_wait_alu 0xfffe
	s_and_b32 s0, exec_lo, s0
	s_wait_alu 0xfffe
	s_or_b32 s7, s0, s7
	s_wait_alu 0xfffe
	s_and_not1_b32 exec_lo, exec_lo, s7
	s_cbranch_execnz .LBB9_99
; %bb.100:
	s_or_b32 exec_lo, exec_lo, s7
.LBB9_101:
	v_lshlrev_b64_e32 v[10:11], 3, v[8:9]
	s_mov_b32 s7, exec_lo
	s_delay_alu instid0(VALU_DEP_1) | instskip(SKIP_1) | instid1(VALU_DEP_2)
	v_add_co_u32 v10, vcc_lo, s8, v10
	s_wait_alu 0xfffd
	v_add_co_ci_u32_e64 v11, null, s9, v11, vcc_lo
	global_load_b64 v[10:11], v[10:11], off
	global_load_b64 v[12:13], v[6:7], off offset:6144
	s_wait_loadcnt 0x1
	v_sub_co_u32 v6, vcc_lo, v10, s24
	s_wait_alu 0xfffd
	v_subrev_co_ci_u32_e64 v7, null, 0, v11, vcc_lo
	s_delay_alu instid0(VALU_DEP_1)
	v_cmp_lt_i64_e32 vcc_lo, v[2:3], v[6:7]
	s_wait_alu 0xfffd
	v_dual_cndmask_b32 v7, v9, v5 :: v_dual_cndmask_b32 v6, v8, v4
	s_wait_loadcnt 0x0
	v_sub_co_u32 v4, vcc_lo, v12, s24
	s_wait_alu 0xfffd
	v_subrev_co_ci_u32_e64 v5, null, 0, v13, vcc_lo
	s_delay_alu instid0(VALU_DEP_1)
	v_cmpx_ne_u64_e64 v[4:5], v[6:7]
	s_cbranch_execz .LBB9_107
; %bb.102:
	s_load_b64 s[10:11], s[10:11], 0x0
	s_wait_kmcnt 0x0
	s_sub_nc_u64 s[10:11], s[10:11], s[24:25]
	s_wait_alu 0xfffe
	v_cmp_gt_i64_e32 vcc_lo, s[10:11], v[2:3]
	s_and_b32 exec_lo, exec_lo, vcc_lo
	s_cbranch_execz .LBB9_107
; %bb.103:
	v_cmp_gt_i64_e32 vcc_lo, s[12:13], v[4:5]
	v_cmp_le_i64_e64 s0, s[18:19], v[4:5]
	v_lshlrev_b64_e32 v[2:3], 2, v[6:7]
	s_or_b32 s0, vcc_lo, s0
	s_wait_alu 0xfffe
	s_and_saveexec_b32 s10, s0
	s_wait_alu 0xfffe
	s_xor_b32 s0, exec_lo, s10
	s_cbranch_execz .LBB9_105
; %bb.104:
	v_add_co_u32 v2, vcc_lo, s14, v2
	s_wait_alu 0xfffd
	v_add_co_ci_u32_e64 v3, null, s15, v3, vcc_lo
	ds_load_b32 v7, v14 offset:3072
	global_load_b32 v6, v[2:3], off
	v_lshlrev_b64_e32 v[2:3], 2, v[4:5]
	s_delay_alu instid0(VALU_DEP_1) | instskip(SKIP_1) | instid1(VALU_DEP_2)
	v_add_co_u32 v2, vcc_lo, s20, v2
	s_wait_alu 0xfffd
	v_add_co_ci_u32_e64 v3, null, s21, v3, vcc_lo
	s_wait_loadcnt_dscnt 0x0
	v_mul_f32_e32 v6, v7, v6
	global_atomic_add_f32 v[2:3], v6, off scope:SCOPE_DEV
                                        ; implicit-def: $vgpr2_vgpr3
.LBB9_105:
	s_wait_alu 0xfffe
	s_and_not1_saveexec_b32 s0, s0
	s_cbranch_execz .LBB9_107
; %bb.106:
	v_add_co_u32 v2, vcc_lo, s14, v2
	s_wait_alu 0xfffd
	v_add_co_ci_u32_e64 v3, null, s15, v3, vcc_lo
	v_subrev_nc_u32_e32 v6, s12, v4
	global_load_b32 v2, v[2:3], off
	ds_load_b32 v3, v14 offset:3072
	v_lshl_add_u32 v6, v6, 2, 0x1000
	s_wait_loadcnt_dscnt 0x0
	v_mul_f32_e32 v2, v3, v2
	ds_add_f32 v6, v2
.LBB9_107:
	s_wait_alu 0xfffe
	s_or_b32 exec_lo, exec_lo, s7
	v_lshlrev_b64_e32 v[2:3], 2, v[4:5]
	s_delay_alu instid0(VALU_DEP_1) | instskip(SKIP_1) | instid1(VALU_DEP_2)
	v_add_co_u32 v2, vcc_lo, s14, v2
	s_wait_alu 0xfffd
	v_add_co_ci_u32_e64 v3, null, s15, v3, vcc_lo
	global_load_b32 v2, v[2:3], off
	ds_load_b32 v3, v14 offset:3072
	s_wait_loadcnt_dscnt 0x0
	v_mul_f32_e32 v2, v2, v3
	ds_store_b32 v14, v2 offset:3072
.LBB9_108:
	s_wait_alu 0xfffe
	s_or_b32 exec_lo, exec_lo, s1
	v_cmp_lt_i64_e64 s0, s[18:19], s[2:3]
	s_mov_b32 s1, exec_lo
	s_wait_storecnt 0x0
	s_wait_loadcnt_dscnt 0x0
	s_barrier_signal -1
	s_barrier_wait -1
	global_inv scope:SCOPE_SE
	s_and_b32 s0, s0, exec_lo
	s_cselect_b32 s13, s19, s3
	s_cselect_b32 s12, s18, s2
	s_wait_alu 0xfffe
	s_sub_nc_u64 s[10:11], s[12:13], s[22:23]
	s_wait_alu 0xfffe
	v_cmpx_gt_i64_e64 s[10:11], v[0:1]
	s_cbranch_execz .LBB9_111
; %bb.109:
	v_cmp_gt_i64_e64 s0, s[18:19], s[2:3]
	v_dual_mov_b32 v5, v1 :: v_dual_lshlrev_b32 v2, 2, v0
	v_mov_b32_e32 v4, v0
	s_and_b32 s0, s0, exec_lo
	s_cselect_b32 s15, s19, s3
	s_cselect_b32 s14, s18, s2
	s_lshl_b64 s[2:3], s[2:3], 2
	s_wait_alu 0xfffe
	s_lshl_b64 s[14:15], s[14:15], 2
	s_wait_alu 0xfffe
	v_add_co_u32 v2, s0, s14, v2
	s_wait_alu 0xf1ff
	v_add_co_ci_u32_e64 v3, null, s15, 0, s0
	s_delay_alu instid0(VALU_DEP_2) | instskip(SKIP_1) | instid1(VALU_DEP_2)
	v_sub_co_u32 v2, vcc_lo, v2, s2
	s_wait_alu 0xfffd
	v_subrev_co_ci_u32_e64 v3, null, s3, v3, vcc_lo
	s_mov_b32 s2, 0
	v_add_co_u32 v2, vcc_lo, s20, v2
	s_wait_alu 0xfffd
	v_add_co_ci_u32_e64 v3, null, s21, v3, vcc_lo
.LBB9_110:                              ; =>This Inner Loop Header: Depth=1
	ds_load_b32 v6, v15
	v_add_co_u32 v4, vcc_lo, 0x100, v4
	s_wait_alu 0xfffd
	v_add_co_ci_u32_e64 v5, null, 0, v5, vcc_lo
	v_add_nc_u32_e32 v15, 0x400, v15
	s_delay_alu instid0(VALU_DEP_2)
	v_cmp_le_i64_e32 vcc_lo, s[10:11], v[4:5]
	s_wait_alu 0xfffe
	s_or_b32 s2, vcc_lo, s2
	s_wait_dscnt 0x0
	global_atomic_add_f32 v[2:3], v6, off scope:SCOPE_DEV
	v_add_co_u32 v2, s0, 0x400, v2
	s_wait_alu 0xf1ff
	v_add_co_ci_u32_e64 v3, null, 0, v3, s0
	s_wait_alu 0xfffe
	s_and_not1_b32 exec_lo, exec_lo, s2
	s_cbranch_execnz .LBB9_110
.LBB9_111:
	s_or_b32 exec_lo, exec_lo, s1
	s_add_co_i32 s0, s28, -1
	v_add_co_u32 v6, s2, s16, v0
	s_wait_alu 0xfffe
	s_ashr_i32 s1, s0, 1
	v_add_co_ci_u32_e64 v7, null, s17, 0, s2
	s_wait_alu 0xfffe
	s_or_b32 s0, s1, s0
	s_wait_loadcnt 0x0
	s_wait_storecnt 0x0
	s_wait_alu 0xfffe
	s_ashr_i32 s1, s0, 2
	s_barrier_signal -1
	s_wait_alu 0xfffe
	s_or_b32 s0, s1, s0
	s_barrier_wait -1
	s_wait_alu 0xfffe
	s_ashr_i32 s1, s0, 4
	global_inv scope:SCOPE_SE
	s_wait_alu 0xfffe
	s_or_b32 s0, s1, s0
	s_wait_alu 0xfffe
	s_ashr_i32 s1, s0, 8
	s_wait_alu 0xfffe
	s_or_b32 s0, s1, s0
	s_wait_alu 0xfffe
	s_ashr_i32 s1, s0, 16
	s_wait_alu 0xfffe
	s_or_b32 s1, s1, s0
	s_mov_b32 s0, -1
	s_wait_alu 0xfffe
	s_add_co_i32 s1, s1, 1
	s_wait_alu 0xfffe
	s_ashr_i32 s2, s1, 1
	s_wait_alu 0xfffe
	s_cmp_gt_i32 s2, 1
	s_cbranch_scc1 .LBB9_120
; %bb.112:
	s_mov_b32 s0, exec_lo
	v_cmpx_gt_i64_e64 s[18:19], v[6:7]
	s_cbranch_execz .LBB9_119
; %bb.113:
	s_sub_co_i32 s1, s12, s18
	v_dual_mov_b32 v9, v7 :: v_dual_mov_b32 v8, v6
	s_lshl_b32 s7, s4, 2
	s_wait_alu 0xfffe
	s_lshl_b32 s1, s1, 2
	s_mov_b32 s3, 0
	s_wait_alu 0xfffe
	s_addk_co_i32 s1, 0x1000
	s_sub_co_i32 s7, 0, s7
	s_branch .LBB9_115
.LBB9_114:                              ;   in Loop: Header=BB9_115 Depth=1
	s_wait_alu 0xfffe
	s_or_b32 exec_lo, exec_lo, s11
	v_lshl_add_u32 v2, v8, 2, s1
	ds_load_b32 v4, v2
	v_lshlrev_b64_e32 v[2:3], 2, v[8:9]
	s_delay_alu instid0(VALU_DEP_1) | instskip(SKIP_1) | instid1(VALU_DEP_2)
	v_add_co_u32 v2, vcc_lo, s20, v2
	s_wait_alu 0xfffd
	v_add_co_ci_u32_e64 v3, null, s21, v3, vcc_lo
	v_add_co_u32 v8, vcc_lo, v8, s6
	s_wait_alu 0xfffd
	v_add_co_ci_u32_e64 v9, null, 0, v9, vcc_lo
	s_delay_alu instid0(VALU_DEP_1)
	v_cmp_le_i64_e32 vcc_lo, s[18:19], v[8:9]
	s_wait_dscnt 0x0
	v_add_f32_e32 v4, v12, v4
	s_or_b32 s3, vcc_lo, s3
	global_atomic_add_f32 v[2:3], v4, off scope:SCOPE_DEV
	s_wait_alu 0xfffe
	s_and_not1_b32 exec_lo, exec_lo, s3
	s_cbranch_execz .LBB9_119
.LBB9_115:                              ; =>This Loop Header: Depth=1
                                        ;     Child Loop BB9_117 Depth 2
	v_lshlrev_b64_e32 v[2:3], 3, v[8:9]
	v_mov_b32_e32 v12, 0
	s_mov_b32 s11, exec_lo
	s_delay_alu instid0(VALU_DEP_2) | instskip(SKIP_1) | instid1(VALU_DEP_3)
	v_add_co_u32 v2, vcc_lo, s8, v2
	s_wait_alu 0xfffd
	v_add_co_ci_u32_e64 v3, null, s9, v3, vcc_lo
	global_load_b128 v[2:5], v[2:3], off
	s_wait_loadcnt 0x0
	v_cmpx_lt_i64_e64 v[2:3], v[4:5]
	s_cbranch_execz .LBB9_114
; %bb.116:                              ;   in Loop: Header=BB9_115 Depth=1
	v_sub_co_u32 v4, vcc_lo, v4, s4
	s_wait_alu 0xfffd
	v_subrev_co_ci_u32_e64 v5, null, s5, v5, vcc_lo
	v_sub_co_u32 v10, vcc_lo, v2, s4
	s_wait_alu 0xfffd
	v_subrev_co_ci_u32_e64 v11, null, s5, v3, vcc_lo
	s_wait_alu 0xfffe
	v_lshl_add_u32 v2, v2, 2, s7
	v_mov_b32_e32 v12, 0
	s_mov_b32 s12, 0
.LBB9_117:                              ;   Parent Loop BB9_115 Depth=1
                                        ; =>  This Inner Loop Header: Depth=2
	ds_load_b32 v3, v2
	v_add_co_u32 v10, vcc_lo, v10, 1
	s_wait_alu 0xfffd
	v_add_co_ci_u32_e64 v11, null, 0, v11, vcc_lo
	v_add_nc_u32_e32 v2, 4, v2
	s_delay_alu instid0(VALU_DEP_2)
	v_cmp_ge_i64_e32 vcc_lo, v[10:11], v[4:5]
	s_wait_alu 0xfffe
	s_or_b32 s12, vcc_lo, s12
	s_wait_dscnt 0x0
	v_add_f32_e32 v12, v12, v3
	s_wait_alu 0xfffe
	s_and_not1_b32 exec_lo, exec_lo, s12
	s_cbranch_execnz .LBB9_117
; %bb.118:                              ;   in Loop: Header=BB9_115 Depth=1
	s_or_b32 exec_lo, exec_lo, s12
	s_branch .LBB9_114
.LBB9_119:
	s_wait_alu 0xfffe
	s_or_b32 exec_lo, exec_lo, s0
	s_mov_b32 s0, 0
.LBB9_120:
	s_wait_alu 0xfffe
	s_and_not1_b32 vcc_lo, exec_lo, s0
	s_wait_alu 0xfffe
	s_cbranch_vccnz .LBB9_137
; %bb.121:
	s_cvt_f32_u32 s0, s2
	s_sub_co_i32 s1, 0, s2
	s_wait_alu 0xfffe
	s_delay_alu instid0(SALU_CYCLE_1) | instskip(NEXT) | instid1(TRANS32_DEP_1)
	v_rcp_iflag_f32_e32 v2, s0
	v_readfirstlane_b32 s0, v2
	s_mul_f32 s0, s0, 0x4f7ffffe
	s_wait_alu 0xfffe
	s_delay_alu instid0(SALU_CYCLE_2) | instskip(SKIP_1) | instid1(SALU_CYCLE_2)
	s_cvt_u32_f32 s0, s0
	s_wait_alu 0xfffe
	s_mul_i32 s3, s1, s0
	s_wait_alu 0xfffe
	s_mul_hi_u32 s3, s0, s3
	s_wait_alu 0xfffe
	s_add_co_i32 s0, s0, s3
	s_mov_b32 s3, 0
	s_wait_alu 0xfffe
	v_mul_hi_u32 v2, v0, s0
	s_mov_b32 s0, exec_lo
	s_delay_alu instid0(VALU_DEP_1) | instskip(NEXT) | instid1(VALU_DEP_1)
	v_mul_lo_u32 v3, v2, s2
	v_sub_nc_u32_e32 v3, v0, v3
	s_delay_alu instid0(VALU_DEP_1) | instskip(SKIP_2) | instid1(VALU_DEP_2)
	v_subrev_nc_u32_e32 v5, s2, v3
	v_cmp_le_u32_e32 vcc_lo, s2, v3
	s_wait_alu 0xfffd
	v_dual_cndmask_b32 v3, v3, v5 :: v_dual_add_nc_u32 v4, 1, v2
	s_delay_alu instid0(VALU_DEP_1) | instskip(NEXT) | instid1(VALU_DEP_2)
	v_dual_cndmask_b32 v2, v2, v4 :: v_dual_mov_b32 v5, 0
	v_cmp_le_u32_e32 vcc_lo, s2, v3
	s_delay_alu instid0(VALU_DEP_2) | instskip(SKIP_1) | instid1(VALU_DEP_1)
	v_add_nc_u32_e32 v4, 1, v2
	s_wait_alu 0xfffd
	v_cndmask_b32_e32 v4, v2, v4, vcc_lo
	s_delay_alu instid0(VALU_DEP_1) | instskip(NEXT) | instid1(VALU_DEP_1)
	v_lshlrev_b64_e32 v[2:3], 3, v[4:5]
	v_add_co_u32 v2, vcc_lo, s26, v2
	s_wait_alu 0xfffd
	s_delay_alu instid0(VALU_DEP_2)
	v_add_co_ci_u32_e64 v3, null, s27, v3, vcc_lo
	global_load_b128 v[8:11], v[2:3], off
	s_wait_loadcnt 0x0
	v_sub_co_u32 v2, vcc_lo, v8, s4
	s_wait_alu 0xfffd
	v_subrev_co_ci_u32_e64 v3, null, s5, v9, vcc_lo
	v_sub_co_u32 v12, vcc_lo, v10, s4
	s_wait_alu 0xfffd
	v_subrev_co_ci_u32_e64 v13, null, s5, v11, vcc_lo
	v_mov_b32_e32 v8, v5
	s_delay_alu instid0(VALU_DEP_3) | instskip(SKIP_1) | instid1(VALU_DEP_3)
	v_sub_co_u32 v15, vcc_lo, v12, v2
	s_wait_alu 0xfffd
	v_sub_co_ci_u32_e64 v9, null, v13, v3, vcc_lo
                                        ; implicit-def: $vgpr10_vgpr11
	s_delay_alu instid0(VALU_DEP_1)
	v_cmpx_ne_u64_e32 0, v[8:9]
	s_wait_alu 0xfffe
	s_xor_b32 s6, exec_lo, s0
	s_cbranch_execz .LBB9_123
; %bb.122:
	s_add_nc_u64 s[4:5], s[2:3], 0
	s_mov_b32 s15, s3
	s_wait_alu 0xfffe
	s_xor_b64 s[4:5], s[4:5], 0
	s_mov_b32 s19, s3
	s_wait_alu 0xfffe
	s_cvt_f32_u32 s0, s4
	s_cvt_f32_u32 s7, s5
	s_sub_nc_u64 s[12:13], 0, s[4:5]
	v_ashrrev_i32_e32 v17, 31, v9
	s_wait_alu 0xfffe
	s_fmamk_f32 s0, s7, 0x4f800000, s0
	s_delay_alu instid0(VALU_DEP_1) | instskip(SKIP_1) | instid1(SALU_CYCLE_1)
	v_add_co_u32 v8, vcc_lo, v15, v17
	s_wait_alu 0xfffe
	v_s_rcp_f32 s0, s0
	s_wait_alu 0xfffd
	v_add_co_ci_u32_e64 v9, null, v9, v17, vcc_lo
	v_xor_b32_e32 v18, v8, v17
	s_delay_alu instid0(VALU_DEP_2) | instskip(NEXT) | instid1(TRANS32_DEP_1)
	v_xor_b32_e32 v19, v9, v17
	s_mul_f32 s0, s0, 0x5f7ffffc
	s_wait_alu 0xfffe
	s_delay_alu instid0(SALU_CYCLE_2) | instskip(SKIP_1) | instid1(SALU_CYCLE_2)
	s_mul_f32 s7, s0, 0x2f800000
	s_wait_alu 0xfffe
	s_trunc_f32 s7, s7
	s_wait_alu 0xfffe
	s_delay_alu instid0(SALU_CYCLE_2) | instskip(SKIP_2) | instid1(SALU_CYCLE_1)
	s_fmamk_f32 s0, s7, 0xcf800000, s0
	s_cvt_u32_f32 s9, s7
	s_wait_alu 0xfffe
	s_cvt_u32_f32 s8, s0
	s_wait_alu 0xfffe
	s_delay_alu instid0(SALU_CYCLE_2)
	s_mul_u64 s[16:17], s[12:13], s[8:9]
	s_wait_alu 0xfffe
	s_mul_hi_u32 s25, s8, s17
	s_mul_i32 s24, s8, s17
	s_mul_hi_u32 s14, s8, s16
	s_mul_i32 s7, s9, s16
	s_wait_alu 0xfffe
	s_add_nc_u64 s[14:15], s[14:15], s[24:25]
	s_mul_hi_u32 s0, s9, s16
	s_mul_hi_u32 s11, s9, s17
	s_wait_alu 0xfffe
	s_add_co_u32 s7, s14, s7
	s_add_co_ci_u32 s18, s15, s0
	s_mul_i32 s16, s9, s17
	s_add_co_ci_u32 s17, s11, 0
	s_wait_alu 0xfffe
	s_add_nc_u64 s[14:15], s[18:19], s[16:17]
	s_mov_b32 s17, s3
	s_wait_alu 0xfffe
	s_add_co_u32 s8, s8, s14
	s_cselect_b32 s0, -1, 0
	s_wait_alu 0xfffe
	s_cmp_lg_u32 s0, 0
	s_add_co_ci_u32 s9, s9, s15
	s_mov_b32 s15, s3
	s_wait_alu 0xfffe
	s_mul_u64 s[12:13], s[12:13], s[8:9]
	s_wait_alu 0xfffe
	s_mul_hi_u32 s19, s8, s13
	s_mul_i32 s18, s8, s13
	s_mul_hi_u32 s16, s8, s12
	s_mul_i32 s3, s9, s12
	s_wait_alu 0xfffe
	s_add_nc_u64 s[16:17], s[16:17], s[18:19]
	s_mul_hi_u32 s0, s9, s12
	s_mul_hi_u32 s7, s9, s13
	s_wait_alu 0xfffe
	s_add_co_u32 s3, s16, s3
	s_add_co_ci_u32 s14, s17, s0
	s_mul_i32 s12, s9, s13
	s_add_co_ci_u32 s13, s7, 0
	s_wait_alu 0xfffe
	s_add_nc_u64 s[12:13], s[14:15], s[12:13]
	s_wait_alu 0xfffe
	s_add_co_u32 s0, s8, s12
	s_cselect_b32 s3, -1, 0
	s_wait_alu 0xfffe
	v_mul_hi_u32 v20, v18, s0
	s_cmp_lg_u32 s3, 0
	v_mad_co_u64_u32 v[10:11], null, v19, s0, 0
	s_add_co_ci_u32 s3, s9, s13
	s_wait_alu 0xfffe
	v_mad_co_u64_u32 v[8:9], null, v18, s3, 0
	v_mad_co_u64_u32 v[15:16], null, v19, s3, 0
	s_delay_alu instid0(VALU_DEP_2) | instskip(SKIP_1) | instid1(VALU_DEP_3)
	v_add_co_u32 v8, vcc_lo, v20, v8
	s_wait_alu 0xfffd
	v_add_co_ci_u32_e64 v9, null, 0, v9, vcc_lo
	s_delay_alu instid0(VALU_DEP_2) | instskip(SKIP_1) | instid1(VALU_DEP_2)
	v_add_co_u32 v8, vcc_lo, v8, v10
	s_wait_alu 0xfffd
	v_add_co_ci_u32_e32 v8, vcc_lo, v9, v11, vcc_lo
	s_wait_alu 0xfffd
	v_add_co_ci_u32_e32 v9, vcc_lo, 0, v16, vcc_lo
	s_delay_alu instid0(VALU_DEP_2) | instskip(SKIP_1) | instid1(VALU_DEP_2)
	v_add_co_u32 v10, vcc_lo, v8, v15
	s_wait_alu 0xfffd
	v_add_co_ci_u32_e64 v11, null, 0, v9, vcc_lo
	s_delay_alu instid0(VALU_DEP_2) | instskip(SKIP_1) | instid1(VALU_DEP_3)
	v_mul_lo_u32 v15, s5, v10
	v_mad_co_u64_u32 v[8:9], null, s4, v10, 0
	v_mul_lo_u32 v16, s4, v11
	s_delay_alu instid0(VALU_DEP_2) | instskip(NEXT) | instid1(VALU_DEP_2)
	v_sub_co_u32 v8, vcc_lo, v18, v8
	v_add3_u32 v9, v9, v16, v15
	v_add_co_u32 v16, s0, v10, 2
	s_wait_alu 0xf1ff
	v_add_co_ci_u32_e64 v18, null, 0, v11, s0
	s_delay_alu instid0(VALU_DEP_3) | instskip(SKIP_3) | instid1(VALU_DEP_3)
	v_sub_nc_u32_e32 v15, v19, v9
	v_sub_co_u32 v20, s0, v8, s4
	s_wait_alu 0xfffd
	v_sub_co_ci_u32_e64 v9, null, v19, v9, vcc_lo
	v_subrev_co_ci_u32_e64 v15, null, s5, v15, vcc_lo
	s_delay_alu instid0(VALU_DEP_3) | instskip(SKIP_1) | instid1(VALU_DEP_2)
	v_cmp_le_u32_e32 vcc_lo, s4, v20
	s_wait_alu 0xf1ff
	v_subrev_co_ci_u32_e64 v15, null, 0, v15, s0
	s_wait_alu 0xfffd
	v_cndmask_b32_e64 v19, 0, -1, vcc_lo
	v_cmp_eq_u32_e64 s0, s5, v9
	s_delay_alu instid0(VALU_DEP_3)
	v_cmp_le_u32_e32 vcc_lo, s5, v15
	s_wait_alu 0xfffd
	v_cndmask_b32_e64 v20, 0, -1, vcc_lo
	v_cmp_le_u32_e32 vcc_lo, s4, v8
	s_wait_alu 0xfffd
	v_cndmask_b32_e64 v8, 0, -1, vcc_lo
	;; [unrolled: 3-line block ×3, first 2 shown]
	v_cmp_eq_u32_e32 vcc_lo, s5, v15
	s_wait_alu 0xf1ff
	s_delay_alu instid0(VALU_DEP_2)
	v_cndmask_b32_e64 v8, v21, v8, s0
	s_wait_alu 0xfffd
	v_cndmask_b32_e32 v15, v20, v19, vcc_lo
	v_add_co_u32 v19, vcc_lo, v10, 1
	s_wait_alu 0xfffd
	v_add_co_ci_u32_e64 v20, null, 0, v11, vcc_lo
	s_delay_alu instid0(VALU_DEP_3) | instskip(SKIP_1) | instid1(VALU_DEP_2)
	v_cmp_ne_u32_e32 vcc_lo, 0, v15
	s_wait_alu 0xfffd
	v_cndmask_b32_e32 v9, v20, v18, vcc_lo
	v_cndmask_b32_e32 v15, v19, v16, vcc_lo
	v_cmp_ne_u32_e32 vcc_lo, 0, v8
	s_wait_alu 0xfffd
	s_delay_alu instid0(VALU_DEP_2) | instskip(NEXT) | instid1(VALU_DEP_1)
	v_dual_cndmask_b32 v8, v11, v9 :: v_dual_cndmask_b32 v9, v10, v15
                                        ; implicit-def: $vgpr15
	v_xor_b32_e32 v8, v8, v17
	s_delay_alu instid0(VALU_DEP_2) | instskip(NEXT) | instid1(VALU_DEP_1)
	v_xor_b32_e32 v9, v9, v17
	v_sub_co_u32 v10, vcc_lo, v9, v17
	s_wait_alu 0xfffd
	s_delay_alu instid0(VALU_DEP_3)
	v_sub_co_ci_u32_e64 v11, null, v8, v17, vcc_lo
.LBB9_123:
	s_wait_alu 0xfffe
	s_and_not1_saveexec_b32 s0, s6
	s_cbranch_execz .LBB9_125
; %bb.124:
	v_cvt_f32_u32_e32 v8, s2
	s_delay_alu instid0(VALU_DEP_1) | instskip(NEXT) | instid1(TRANS32_DEP_1)
	v_rcp_iflag_f32_e32 v8, v8
	v_mul_f32_e32 v8, 0x4f7ffffe, v8
	s_delay_alu instid0(VALU_DEP_1) | instskip(NEXT) | instid1(VALU_DEP_1)
	v_cvt_u32_f32_e32 v8, v8
	v_mul_lo_u32 v9, s1, v8
	s_delay_alu instid0(VALU_DEP_1) | instskip(NEXT) | instid1(VALU_DEP_1)
	v_mul_hi_u32 v9, v8, v9
	v_add_nc_u32_e32 v8, v8, v9
	s_delay_alu instid0(VALU_DEP_1) | instskip(NEXT) | instid1(VALU_DEP_1)
	v_mul_hi_u32 v8, v15, v8
	v_mul_lo_u32 v9, v8, s2
	v_add_nc_u32_e32 v10, 1, v8
	s_delay_alu instid0(VALU_DEP_2) | instskip(NEXT) | instid1(VALU_DEP_1)
	v_sub_nc_u32_e32 v9, v15, v9
	v_subrev_nc_u32_e32 v11, s2, v9
	v_cmp_le_u32_e32 vcc_lo, s2, v9
	s_wait_alu 0xfffd
	s_delay_alu instid0(VALU_DEP_2) | instskip(SKIP_1) | instid1(VALU_DEP_2)
	v_dual_cndmask_b32 v9, v9, v11 :: v_dual_cndmask_b32 v8, v8, v10
	v_mov_b32_e32 v11, 0
	v_cmp_le_u32_e32 vcc_lo, s2, v9
	s_delay_alu instid0(VALU_DEP_3) | instskip(SKIP_1) | instid1(VALU_DEP_1)
	v_add_nc_u32_e32 v10, 1, v8
	s_wait_alu 0xfffd
	v_cndmask_b32_e32 v10, v8, v10, vcc_lo
.LBB9_125:
	s_wait_alu 0xfffe
	s_or_b32 exec_lo, exec_lo, s0
	v_mov_b32_e32 v15, 0
	s_mov_b32 s0, exec_lo
	v_cmpx_gt_i64_e64 s[22:23], v[4:5]
	s_cbranch_execz .LBB9_133
; %bb.126:
	s_add_co_i32 s1, s2, -1
	s_wait_alu 0xfffe
	v_dual_mov_b32 v15, 0 :: v_dual_and_b32 v4, s1, v0
	s_mov_b32 s1, exec_lo
	s_delay_alu instid0(VALU_DEP_1)
	v_lshlrev_b32_e32 v16, 2, v4
	v_cmpx_lt_i64_e32 0, v[10:11]
	s_cbranch_execz .LBB9_130
; %bb.127:
	v_dual_mov_b32 v15, 0 :: v_dual_mov_b32 v8, v10
	s_delay_alu instid0(VALU_DEP_3)
	v_lshl_add_u32 v5, v2, 2, v16
	v_mov_b32_e32 v9, v11
	s_lshl_b32 s4, s2, 2
	s_mov_b32 s3, 0
.LBB9_128:                              ; =>This Inner Loop Header: Depth=1
	ds_load_b32 v17, v5
	v_add_co_u32 v8, vcc_lo, v8, -1
	s_wait_alu 0xfffd
	v_add_co_ci_u32_e64 v9, null, -1, v9, vcc_lo
	s_wait_alu 0xfffe
	v_add_nc_u32_e32 v5, s4, v5
	s_delay_alu instid0(VALU_DEP_2)
	v_cmp_eq_u64_e32 vcc_lo, 0, v[8:9]
	s_or_b32 s3, vcc_lo, s3
	s_wait_dscnt 0x0
	v_add_f32_e32 v15, v15, v17
	s_wait_alu 0xfffe
	s_and_not1_b32 exec_lo, exec_lo, s3
	s_cbranch_execnz .LBB9_128
; %bb.129:
	s_or_b32 exec_lo, exec_lo, s3
.LBB9_130:
	s_wait_alu 0xfffe
	s_or_b32 exec_lo, exec_lo, s1
	v_mad_co_u64_u32 v[2:3], null, v10, s2, v[2:3]
	v_mov_b32_e32 v5, 0
	s_mov_b32 s1, exec_lo
	s_delay_alu instid0(VALU_DEP_2) | instskip(NEXT) | instid1(VALU_DEP_3)
	v_mad_co_u64_u32 v[8:9], null, v11, s2, v[3:4]
	v_sub_co_u32 v9, vcc_lo, v12, v2
	s_wait_alu 0xfffd
	s_delay_alu instid0(VALU_DEP_2) | instskip(NEXT) | instid1(VALU_DEP_1)
	v_sub_co_ci_u32_e64 v10, null, v13, v8, vcc_lo
	v_cmpx_gt_i64_e64 v[9:10], v[4:5]
	s_cbranch_execz .LBB9_132
; %bb.131:
	v_lshl_add_u32 v2, v2, 2, v16
	ds_load_b32 v2, v2
	s_wait_dscnt 0x0
	v_add_f32_e32 v15, v15, v2
.LBB9_132:
	s_wait_alu 0xfffe
	s_or_b32 exec_lo, exec_lo, s1
.LBB9_133:
	s_wait_alu 0xfffe
	s_or_b32 exec_lo, exec_lo, s0
	s_wait_storecnt 0x0
	s_barrier_signal -1
	s_barrier_wait -1
	global_inv scope:SCOPE_SE
	ds_store_b32 v14, v15
	s_wait_loadcnt_dscnt 0x0
	s_barrier_signal -1
	s_barrier_wait -1
	global_inv scope:SCOPE_SE
	s_mov_b32 s0, exec_lo
	v_cmpx_gt_i64_e64 s[22:23], v[0:1]
	s_cbranch_execz .LBB9_137
; %bb.134:
	v_mul_lo_u32 v1, s2, v0
	s_delay_alu instid0(VALU_DEP_1)
	v_dual_mov_b32 v1, 0 :: v_dual_lshlrev_b32 v2, 2, v1
.LBB9_135:                              ; =>This Inner Loop Header: Depth=1
	ds_load_b32 v3, v2
	v_add_nc_u32_e32 v2, 4, v2
	s_add_co_i32 s2, s2, -1
	s_wait_alu 0xfffe
	s_cmp_eq_u32 s2, 0
	s_wait_dscnt 0x0
	v_add_f32_e32 v1, v1, v3
	s_cbranch_scc0 .LBB9_135
; %bb.136:
	v_lshlrev_b32_e32 v0, 2, v0
	s_lshl_b32 s0, s10, 2
	v_lshlrev_b64_e32 v[2:3], 2, v[6:7]
	s_wait_alu 0xfffe
	s_delay_alu instid0(VALU_DEP_2)
	v_add3_u32 v0, 0x1000, s0, v0
	ds_load_b32 v0, v0
	s_wait_dscnt 0x0
	v_add_f32_e32 v4, v1, v0
	v_add_co_u32 v0, vcc_lo, s20, v2
	s_wait_alu 0xfffd
	v_add_co_ci_u32_e64 v1, null, s21, v3, vcc_lo
	global_atomic_add_f32 v[0:1], v4, off scope:SCOPE_DEV
.LBB9_137:
	s_endpgm
	.section	.rodata,"a",@progbits
	.p2align	6, 0x0
	.amdhsa_kernel _ZN9rocsparseL27csrmvn_symm_adaptive_kernelIllffffEEvbT_S1_PKS1_NS_24const_host_device_scalarIT4_EES3_PKT0_PKT1_PKT2_S6_PT3_21rocsparse_index_base_b
		.amdhsa_group_segment_fixed_size 4096
		.amdhsa_private_segment_fixed_size 0
		.amdhsa_kernarg_size 352
		.amdhsa_user_sgpr_count 2
		.amdhsa_user_sgpr_dispatch_ptr 0
		.amdhsa_user_sgpr_queue_ptr 0
		.amdhsa_user_sgpr_kernarg_segment_ptr 1
		.amdhsa_user_sgpr_dispatch_id 0
		.amdhsa_user_sgpr_private_segment_size 0
		.amdhsa_wavefront_size32 1
		.amdhsa_uses_dynamic_stack 0
		.amdhsa_enable_private_segment 0
		.amdhsa_system_sgpr_workgroup_id_x 1
		.amdhsa_system_sgpr_workgroup_id_y 0
		.amdhsa_system_sgpr_workgroup_id_z 0
		.amdhsa_system_sgpr_workgroup_info 0
		.amdhsa_system_vgpr_workitem_id 0
		.amdhsa_next_free_vgpr 22
		.amdhsa_next_free_sgpr 42
		.amdhsa_reserve_vcc 1
		.amdhsa_float_round_mode_32 0
		.amdhsa_float_round_mode_16_64 0
		.amdhsa_float_denorm_mode_32 3
		.amdhsa_float_denorm_mode_16_64 3
		.amdhsa_fp16_overflow 0
		.amdhsa_workgroup_processor_mode 1
		.amdhsa_memory_ordered 1
		.amdhsa_forward_progress 1
		.amdhsa_inst_pref_size 76
		.amdhsa_round_robin_scheduling 0
		.amdhsa_exception_fp_ieee_invalid_op 0
		.amdhsa_exception_fp_denorm_src 0
		.amdhsa_exception_fp_ieee_div_zero 0
		.amdhsa_exception_fp_ieee_overflow 0
		.amdhsa_exception_fp_ieee_underflow 0
		.amdhsa_exception_fp_ieee_inexact 0
		.amdhsa_exception_int_div_zero 0
	.end_amdhsa_kernel
	.section	.text._ZN9rocsparseL27csrmvn_symm_adaptive_kernelIllffffEEvbT_S1_PKS1_NS_24const_host_device_scalarIT4_EES3_PKT0_PKT1_PKT2_S6_PT3_21rocsparse_index_base_b,"axG",@progbits,_ZN9rocsparseL27csrmvn_symm_adaptive_kernelIllffffEEvbT_S1_PKS1_NS_24const_host_device_scalarIT4_EES3_PKT0_PKT1_PKT2_S6_PT3_21rocsparse_index_base_b,comdat
.Lfunc_end9:
	.size	_ZN9rocsparseL27csrmvn_symm_adaptive_kernelIllffffEEvbT_S1_PKS1_NS_24const_host_device_scalarIT4_EES3_PKT0_PKT1_PKT2_S6_PT3_21rocsparse_index_base_b, .Lfunc_end9-_ZN9rocsparseL27csrmvn_symm_adaptive_kernelIllffffEEvbT_S1_PKS1_NS_24const_host_device_scalarIT4_EES3_PKT0_PKT1_PKT2_S6_PT3_21rocsparse_index_base_b
                                        ; -- End function
	.set _ZN9rocsparseL27csrmvn_symm_adaptive_kernelIllffffEEvbT_S1_PKS1_NS_24const_host_device_scalarIT4_EES3_PKT0_PKT1_PKT2_S6_PT3_21rocsparse_index_base_b.num_vgpr, 22
	.set _ZN9rocsparseL27csrmvn_symm_adaptive_kernelIllffffEEvbT_S1_PKS1_NS_24const_host_device_scalarIT4_EES3_PKT0_PKT1_PKT2_S6_PT3_21rocsparse_index_base_b.num_agpr, 0
	.set _ZN9rocsparseL27csrmvn_symm_adaptive_kernelIllffffEEvbT_S1_PKS1_NS_24const_host_device_scalarIT4_EES3_PKT0_PKT1_PKT2_S6_PT3_21rocsparse_index_base_b.numbered_sgpr, 42
	.set _ZN9rocsparseL27csrmvn_symm_adaptive_kernelIllffffEEvbT_S1_PKS1_NS_24const_host_device_scalarIT4_EES3_PKT0_PKT1_PKT2_S6_PT3_21rocsparse_index_base_b.num_named_barrier, 0
	.set _ZN9rocsparseL27csrmvn_symm_adaptive_kernelIllffffEEvbT_S1_PKS1_NS_24const_host_device_scalarIT4_EES3_PKT0_PKT1_PKT2_S6_PT3_21rocsparse_index_base_b.private_seg_size, 0
	.set _ZN9rocsparseL27csrmvn_symm_adaptive_kernelIllffffEEvbT_S1_PKS1_NS_24const_host_device_scalarIT4_EES3_PKT0_PKT1_PKT2_S6_PT3_21rocsparse_index_base_b.uses_vcc, 1
	.set _ZN9rocsparseL27csrmvn_symm_adaptive_kernelIllffffEEvbT_S1_PKS1_NS_24const_host_device_scalarIT4_EES3_PKT0_PKT1_PKT2_S6_PT3_21rocsparse_index_base_b.uses_flat_scratch, 0
	.set _ZN9rocsparseL27csrmvn_symm_adaptive_kernelIllffffEEvbT_S1_PKS1_NS_24const_host_device_scalarIT4_EES3_PKT0_PKT1_PKT2_S6_PT3_21rocsparse_index_base_b.has_dyn_sized_stack, 0
	.set _ZN9rocsparseL27csrmvn_symm_adaptive_kernelIllffffEEvbT_S1_PKS1_NS_24const_host_device_scalarIT4_EES3_PKT0_PKT1_PKT2_S6_PT3_21rocsparse_index_base_b.has_recursion, 0
	.set _ZN9rocsparseL27csrmvn_symm_adaptive_kernelIllffffEEvbT_S1_PKS1_NS_24const_host_device_scalarIT4_EES3_PKT0_PKT1_PKT2_S6_PT3_21rocsparse_index_base_b.has_indirect_call, 0
	.section	.AMDGPU.csdata,"",@progbits
; Kernel info:
; codeLenInByte = 9620
; TotalNumSgprs: 44
; NumVgprs: 22
; ScratchSize: 0
; MemoryBound: 0
; FloatMode: 240
; IeeeMode: 1
; LDSByteSize: 4096 bytes/workgroup (compile time only)
; SGPRBlocks: 0
; VGPRBlocks: 2
; NumSGPRsForWavesPerEU: 44
; NumVGPRsForWavesPerEU: 22
; Occupancy: 16
; WaveLimiterHint : 1
; COMPUTE_PGM_RSRC2:SCRATCH_EN: 0
; COMPUTE_PGM_RSRC2:USER_SGPR: 2
; COMPUTE_PGM_RSRC2:TRAP_HANDLER: 0
; COMPUTE_PGM_RSRC2:TGID_X_EN: 1
; COMPUTE_PGM_RSRC2:TGID_Y_EN: 0
; COMPUTE_PGM_RSRC2:TGID_Z_EN: 0
; COMPUTE_PGM_RSRC2:TIDIG_COMP_CNT: 0
	.section	.text._ZL33csrmvn_symm_large_adaptive_kernelIllffffEvbT_PKS0_N9rocsparse24const_host_device_scalarIT4_EES2_PKT0_PKT1_PKT2_S6_PT3_21rocsparse_index_base_b,"axG",@progbits,_ZL33csrmvn_symm_large_adaptive_kernelIllffffEvbT_PKS0_N9rocsparse24const_host_device_scalarIT4_EES2_PKT0_PKT1_PKT2_S6_PT3_21rocsparse_index_base_b,comdat
	.globl	_ZL33csrmvn_symm_large_adaptive_kernelIllffffEvbT_PKS0_N9rocsparse24const_host_device_scalarIT4_EES2_PKT0_PKT1_PKT2_S6_PT3_21rocsparse_index_base_b ; -- Begin function _ZL33csrmvn_symm_large_adaptive_kernelIllffffEvbT_PKS0_N9rocsparse24const_host_device_scalarIT4_EES2_PKT0_PKT1_PKT2_S6_PT3_21rocsparse_index_base_b
	.p2align	8
	.type	_ZL33csrmvn_symm_large_adaptive_kernelIllffffEvbT_PKS0_N9rocsparse24const_host_device_scalarIT4_EES2_PKT0_PKT1_PKT2_S6_PT3_21rocsparse_index_base_b,@function
_ZL33csrmvn_symm_large_adaptive_kernelIllffffEvbT_PKS0_N9rocsparse24const_host_device_scalarIT4_EES2_PKT0_PKT1_PKT2_S6_PT3_21rocsparse_index_base_b: ; @_ZL33csrmvn_symm_large_adaptive_kernelIllffffEvbT_PKS0_N9rocsparse24const_host_device_scalarIT4_EES2_PKT0_PKT1_PKT2_S6_PT3_21rocsparse_index_base_b
; %bb.0:
	s_clause 0x2
	s_load_b64 s[6:7], s[0:1], 0x50
	s_load_b64 s[20:21], s[0:1], 0x18
	s_load_b64 s[2:3], s[0:1], 0x40
	s_wait_kmcnt 0x0
	s_bitcmp1_b32 s7, 0
	s_cselect_b32 s4, -1, 0
	s_delay_alu instid0(SALU_CYCLE_1)
	s_and_b32 vcc_lo, exec_lo, s4
	s_xor_b32 s4, s4, -1
	s_cbranch_vccnz .LBB10_2
; %bb.1:
	s_load_b32 s20, s[20:21], 0x0
.LBB10_2:
	s_and_not1_b32 vcc_lo, exec_lo, s4
	s_cbranch_vccnz .LBB10_4
; %bb.3:
	s_load_b32 s2, s[2:3], 0x0
.LBB10_4:
	s_wait_kmcnt 0x0
	s_cmp_neq_f32 s20, 0
	s_mov_b32 s7, 0
	s_cselect_b32 s3, -1, 0
	s_cmp_neq_f32 s2, 1.0
	s_cselect_b32 s2, -1, 0
	s_delay_alu instid0(SALU_CYCLE_1) | instskip(NEXT) | instid1(SALU_CYCLE_1)
	s_or_b32 s2, s3, s2
	s_and_not1_b32 vcc_lo, exec_lo, s2
	s_cbranch_vccnz .LBB10_34
; %bb.5:
	s_load_b64 s[4:5], s[0:1], 0x10
	s_mov_b32 s2, ttmp9
	s_ashr_i32 s3, ttmp9, 31
	v_dual_mov_b32 v7, 0 :: v_dual_lshlrev_b32 v6, 2, v0
	s_lshl_b64 s[2:3], s[2:3], 3
	ds_store_2addr_stride64_b32 v6, v7, v7 offset1:4
	ds_store_2addr_stride64_b32 v6, v7, v7 offset0:8 offset1:12
	s_wait_dscnt 0x0
	s_barrier_signal -1
	s_barrier_wait -1
	global_inv scope:SCOPE_SE
	s_wait_kmcnt 0x0
	s_add_nc_u64 s[2:3], s[4:5], s[2:3]
	s_load_b128 s[16:19], s[2:3], 0x0
	s_clause 0x1
	s_load_b256 s[8:15], s[0:1], 0x20
	s_load_b64 s[22:23], s[0:1], 0x48
	v_sub_co_u32 v8, s1, v0, s6
	s_delay_alu instid0(VALU_DEP_1)
	v_sub_co_ci_u32_e64 v9, null, 0, 0, s1
	s_wait_kmcnt 0x0
	v_cmp_ge_i64_e64 s0, s[16:17], s[18:19]
	s_and_b32 vcc_lo, exec_lo, s0
	s_cbranch_vccnz .LBB10_25
; %bb.6:
	v_cmp_gt_u32_e64 s0, 0x100, v0
	v_cmp_gt_u32_e64 s1, 64, v0
	;; [unrolled: 1-line block ×4, first 2 shown]
	v_cmp_eq_u32_e64 s4, 0, v0
	s_mov_b64 s[24:25], s[16:17]
	s_branch .LBB10_8
.LBB10_7:                               ;   in Loop: Header=BB10_8 Depth=1
	s_wait_alu 0xfffe
	s_or_b32 exec_lo, exec_lo, s5
	s_add_nc_u64 s[24:25], s[24:25], 1
	s_wait_alu 0xfffe
	v_cmp_ge_i64_e64 s5, s[24:25], s[18:19]
	s_and_b32 vcc_lo, exec_lo, s5
	s_wait_alu 0xfffe
	s_cbranch_vccnz .LBB10_25
.LBB10_8:                               ; =>This Loop Header: Depth=1
                                        ;     Child Loop BB10_10 Depth 2
	s_lshl_b64 s[26:27], s[24:25], 3
	v_mov_b32_e32 v10, 0
	s_wait_alu 0xfffe
	s_add_nc_u64 s[26:27], s[8:9], s[26:27]
	s_mov_b32 s21, exec_lo
	s_load_b128 s[28:31], s[26:27], 0x0
	s_wait_kmcnt 0x0
	v_add_co_u32 v0, vcc_lo, s28, v8
	s_wait_alu 0xfffd
	v_add_co_ci_u32_e64 v1, null, s29, v9, vcc_lo
	s_sub_nc_u64 s[26:27], s[30:31], s[6:7]
	s_wait_alu 0xfffe
	v_cmpx_gt_i64_e64 s[26:27], v[0:1]
	s_cbranch_execz .LBB10_12
; %bb.9:                                ;   in Loop: Header=BB10_8 Depth=1
	v_lshlrev_b64_e32 v[2:3], 3, v[0:1]
	v_lshlrev_b64_e32 v[4:5], 2, v[0:1]
	v_mov_b32_e32 v10, 0
	s_mov_b32 s28, 0
	s_delay_alu instid0(VALU_DEP_3)
	v_add_co_u32 v2, vcc_lo, s10, v2
	s_wait_alu 0xfffd
	v_add_co_ci_u32_e64 v3, null, s11, v3, vcc_lo
	v_add_co_u32 v4, vcc_lo, s12, v4
	s_wait_alu 0xfffd
	v_add_co_ci_u32_e64 v5, null, s13, v5, vcc_lo
.LBB10_10:                              ;   Parent Loop BB10_8 Depth=1
                                        ; =>  This Inner Loop Header: Depth=2
	global_load_b64 v[11:12], v[2:3], off
	s_wait_loadcnt 0x0
	v_sub_co_u32 v11, vcc_lo, v11, s6
	s_wait_alu 0xfffd
	v_subrev_co_ci_u32_e64 v12, null, 0, v12, vcc_lo
	s_delay_alu instid0(VALU_DEP_1) | instskip(NEXT) | instid1(VALU_DEP_1)
	v_lshlrev_b64_e32 v[11:12], 2, v[11:12]
	v_add_co_u32 v11, vcc_lo, s14, v11
	s_wait_alu 0xfffd
	s_delay_alu instid0(VALU_DEP_2)
	v_add_co_ci_u32_e64 v12, null, s15, v12, vcc_lo
	v_add_co_u32 v0, vcc_lo, 0x100, v0
	global_load_b32 v13, v[4:5], off
	global_load_b32 v11, v[11:12], off
	s_wait_alu 0xfffd
	v_add_co_ci_u32_e64 v1, null, 0, v1, vcc_lo
	v_add_co_u32 v2, vcc_lo, 0x800, v2
	s_wait_alu 0xfffd
	v_add_co_ci_u32_e64 v3, null, 0, v3, vcc_lo
	s_delay_alu instid0(VALU_DEP_3)
	v_cmp_le_i64_e32 vcc_lo, s[26:27], v[0:1]
	v_add_co_u32 v4, s5, 0x400, v4
	s_wait_alu 0xf1ff
	v_add_co_ci_u32_e64 v5, null, 0, v5, s5
	s_wait_alu 0xfffe
	s_or_b32 s28, vcc_lo, s28
	s_wait_loadcnt 0x0
	v_fmac_f32_e32 v10, v13, v11
	s_wait_alu 0xfffe
	s_and_not1_b32 exec_lo, exec_lo, s28
	s_cbranch_execnz .LBB10_10
; %bb.11:                               ;   in Loop: Header=BB10_8 Depth=1
	s_or_b32 exec_lo, exec_lo, s28
.LBB10_12:                              ;   in Loop: Header=BB10_8 Depth=1
	s_delay_alu instid0(SALU_CYCLE_1)
	s_or_b32 exec_lo, exec_lo, s21
	ds_store_b32 v6, v10
	s_wait_loadcnt_dscnt 0x0
	s_barrier_signal -1
	s_barrier_wait -1
	global_inv scope:SCOPE_SE
	s_and_saveexec_b32 s5, s0
	s_cbranch_execz .LBB10_14
; %bb.13:                               ;   in Loop: Header=BB10_8 Depth=1
	ds_load_2addr_stride64_b32 v[0:1], v6 offset1:4
	ds_load_2addr_stride64_b32 v[2:3], v6 offset0:8 offset1:12
	s_wait_dscnt 0x0
	v_add_f32_e32 v1, v1, v2
	s_delay_alu instid0(VALU_DEP_1) | instskip(NEXT) | instid1(VALU_DEP_1)
	v_add_f32_e32 v1, v1, v3
	v_add_f32_e32 v0, v0, v1
	ds_store_b32 v6, v0
.LBB10_14:                              ;   in Loop: Header=BB10_8 Depth=1
	s_wait_alu 0xfffe
	s_or_b32 exec_lo, exec_lo, s5
	s_wait_loadcnt_dscnt 0x0
	s_barrier_signal -1
	s_barrier_wait -1
	global_inv scope:SCOPE_SE
	s_and_saveexec_b32 s5, s1
	s_cbranch_execz .LBB10_16
; %bb.15:                               ;   in Loop: Header=BB10_8 Depth=1
	ds_load_2addr_stride64_b32 v[0:1], v6 offset1:1
	ds_load_2addr_stride64_b32 v[2:3], v6 offset0:2 offset1:3
	s_wait_dscnt 0x0
	v_add_f32_e32 v1, v1, v2
	s_delay_alu instid0(VALU_DEP_1) | instskip(NEXT) | instid1(VALU_DEP_1)
	v_add_f32_e32 v1, v1, v3
	v_add_f32_e32 v0, v0, v1
	ds_store_b32 v6, v0
.LBB10_16:                              ;   in Loop: Header=BB10_8 Depth=1
	s_wait_alu 0xfffe
	s_or_b32 exec_lo, exec_lo, s5
	s_wait_loadcnt_dscnt 0x0
	s_barrier_signal -1
	s_barrier_wait -1
	global_inv scope:SCOPE_SE
	s_and_saveexec_b32 s5, s2
	s_cbranch_execz .LBB10_18
; %bb.17:                               ;   in Loop: Header=BB10_8 Depth=1
	ds_load_2addr_b32 v[0:1], v6 offset1:16
	ds_load_2addr_b32 v[2:3], v6 offset0:32 offset1:48
	s_wait_dscnt 0x0
	v_add_f32_e32 v1, v1, v2
	s_delay_alu instid0(VALU_DEP_1) | instskip(NEXT) | instid1(VALU_DEP_1)
	v_add_f32_e32 v1, v1, v3
	v_add_f32_e32 v0, v0, v1
	ds_store_b32 v6, v0
.LBB10_18:                              ;   in Loop: Header=BB10_8 Depth=1
	s_wait_alu 0xfffe
	s_or_b32 exec_lo, exec_lo, s5
	s_wait_loadcnt_dscnt 0x0
	s_barrier_signal -1
	s_barrier_wait -1
	global_inv scope:SCOPE_SE
	s_and_saveexec_b32 s5, s3
	s_cbranch_execz .LBB10_20
; %bb.19:                               ;   in Loop: Header=BB10_8 Depth=1
	ds_load_2addr_b32 v[0:1], v6 offset1:4
	ds_load_2addr_b32 v[2:3], v6 offset0:8 offset1:12
	s_wait_dscnt 0x0
	v_add_f32_e32 v1, v1, v2
	s_delay_alu instid0(VALU_DEP_1) | instskip(NEXT) | instid1(VALU_DEP_1)
	v_add_f32_e32 v1, v1, v3
	v_add_f32_e32 v0, v0, v1
	ds_store_b32 v6, v0
.LBB10_20:                              ;   in Loop: Header=BB10_8 Depth=1
	s_wait_alu 0xfffe
	s_or_b32 exec_lo, exec_lo, s5
	s_wait_loadcnt_dscnt 0x0
	s_barrier_signal -1
	s_barrier_wait -1
	global_inv scope:SCOPE_SE
	s_and_saveexec_b32 s5, s4
	s_cbranch_execz .LBB10_22
; %bb.21:                               ;   in Loop: Header=BB10_8 Depth=1
	ds_load_2addr_b32 v[0:1], v7 offset0:1 offset1:2
	ds_load_b32 v2, v7 offset:12
	ds_load_b32 v3, v6
	s_wait_dscnt 0x2
	v_add_f32_e32 v0, v0, v1
	s_wait_dscnt 0x1
	s_delay_alu instid0(VALU_DEP_1) | instskip(SKIP_1) | instid1(VALU_DEP_1)
	v_add_f32_e32 v0, v0, v2
	s_wait_dscnt 0x0
	v_add_f32_e32 v0, v3, v0
	ds_store_b32 v6, v0
.LBB10_22:                              ;   in Loop: Header=BB10_8 Depth=1
	s_wait_alu 0xfffe
	s_or_b32 exec_lo, exec_lo, s5
	s_wait_loadcnt_dscnt 0x0
	s_barrier_signal -1
	s_barrier_wait -1
	global_inv scope:SCOPE_SE
	s_and_saveexec_b32 s5, s4
	s_cbranch_execz .LBB10_7
; %bb.23:                               ;   in Loop: Header=BB10_8 Depth=1
	s_mov_b32 s21, exec_lo
	s_wait_alu 0xfffe
	v_mbcnt_lo_u32_b32 v0, s21, 0
	s_delay_alu instid0(VALU_DEP_1)
	v_cmp_eq_u32_e32 vcc_lo, 0, v0
	s_and_b32 s26, exec_lo, vcc_lo
	s_wait_alu 0xfffe
	s_mov_b32 exec_lo, s26
	s_cbranch_execz .LBB10_7
; %bb.24:                               ;   in Loop: Header=BB10_8 Depth=1
	ds_load_b32 v0, v7
	s_bcnt1_i32_b32 s21, s21
	s_lshl_b64 s[26:27], s[24:25], 2
	s_wait_alu 0xfffe
	v_cvt_f32_ubyte0_e32 v1, s21
	s_add_nc_u64 s[26:27], s[22:23], s[26:27]
	s_wait_dscnt 0x0
	v_mul_f32_e32 v0, s20, v0
	s_delay_alu instid0(VALU_DEP_1)
	v_mul_f32_e32 v0, v0, v1
	global_atomic_add_f32 v7, v0, s[26:27] scope:SCOPE_DEV
	s_branch .LBB10_7
.LBB10_25:
	s_lshl_b64 s[0:1], s[16:17], 3
	s_lshl_b64 s[2:3], s[18:19], 3
	s_wait_alu 0xfffe
	s_add_nc_u64 s[0:1], s[8:9], s[0:1]
	s_add_nc_u64 s[2:3], s[8:9], s[2:3]
	s_clause 0x1
	s_load_b64 s[0:1], s[0:1], 0x0
	s_load_b64 s[2:3], s[2:3], 0x0
	s_wait_kmcnt 0x0
	v_add_co_u32 v0, vcc_lo, s0, v8
	s_wait_alu 0xfffd
	v_add_co_ci_u32_e64 v1, null, s1, v9, vcc_lo
	s_sub_nc_u64 s[2:3], s[2:3], s[6:7]
	s_mov_b32 s0, exec_lo
	v_cmpx_gt_i64_e64 s[2:3], v[0:1]
	s_cbranch_execz .LBB10_34
; %bb.26:
	s_add_nc_u64 s[4:5], s[18:19], -1
	s_add_nc_u64 s[0:1], s[18:19], -2
	s_wait_alu 0xfffe
	v_cmp_lt_i64_e64 s7, s[16:17], s[4:5]
	s_cmp_lg_u64 s[16:17], s[0:1]
	s_cselect_b32 s0, -1, 0
	s_wait_alu 0xfffe
	s_and_b32 s1, s7, s0
	s_mov_b32 s7, 0
	s_branch .LBB10_28
.LBB10_27:                              ;   in Loop: Header=BB10_28 Depth=1
	s_wait_alu 0xfffe
	s_or_b32 exec_lo, exec_lo, s0
	v_add_co_u32 v0, vcc_lo, 0x100, v0
	s_wait_alu 0xfffd
	v_add_co_ci_u32_e64 v1, null, 0, v1, vcc_lo
	s_delay_alu instid0(VALU_DEP_1)
	v_cmp_le_i64_e32 vcc_lo, s[2:3], v[0:1]
	s_or_b32 s7, vcc_lo, s7
	s_wait_alu 0xfffe
	s_and_not1_b32 exec_lo, exec_lo, s7
	s_cbranch_execz .LBB10_34
.LBB10_28:                              ; =>This Loop Header: Depth=1
                                        ;     Child Loop BB10_30 Depth 2
	v_dual_mov_b32 v2, s16 :: v_dual_mov_b32 v3, s17
	v_dual_mov_b32 v4, s4 :: v_dual_mov_b32 v5, s5
	s_wait_alu 0xfffe
	s_and_not1_b32 vcc_lo, exec_lo, s1
	s_wait_alu 0xfffe
	s_cbranch_vccnz .LBB10_32
; %bb.29:                               ;   in Loop: Header=BB10_28 Depth=1
	v_dual_mov_b32 v2, s16 :: v_dual_mov_b32 v3, s17
	v_dual_mov_b32 v4, s4 :: v_dual_mov_b32 v5, s5
	s_mov_b32 s18, 0
.LBB10_30:                              ;   Parent Loop BB10_28 Depth=1
                                        ; =>  This Inner Loop Header: Depth=2
	s_delay_alu instid0(VALU_DEP_1) | instskip(SKIP_1) | instid1(VALU_DEP_2)
	v_add_co_u32 v6, vcc_lo, v4, v2
	s_wait_alu 0xfffd
	v_add_co_ci_u32_e64 v7, null, v5, v3, vcc_lo
	s_delay_alu instid0(VALU_DEP_1) | instskip(NEXT) | instid1(VALU_DEP_1)
	v_lshrrev_b32_e32 v8, 31, v7
	v_add_co_u32 v6, vcc_lo, v6, v8
	s_wait_alu 0xfffd
	v_add_co_ci_u32_e64 v7, null, 0, v7, vcc_lo
	s_delay_alu instid0(VALU_DEP_1) | instskip(NEXT) | instid1(VALU_DEP_1)
	v_ashrrev_i64 v[6:7], 1, v[6:7]
	v_lshlrev_b64_e32 v[8:9], 3, v[6:7]
	s_delay_alu instid0(VALU_DEP_1) | instskip(SKIP_1) | instid1(VALU_DEP_2)
	v_add_co_u32 v8, vcc_lo, s8, v8
	s_wait_alu 0xfffd
	v_add_co_ci_u32_e64 v9, null, s9, v9, vcc_lo
	global_load_b64 v[8:9], v[8:9], off
	s_wait_loadcnt 0x0
	v_sub_co_u32 v8, vcc_lo, v8, s6
	s_wait_alu 0xfffd
	v_subrev_co_ci_u32_e64 v9, null, 0, v9, vcc_lo
	s_delay_alu instid0(VALU_DEP_1) | instskip(SKIP_3) | instid1(VALU_DEP_2)
	v_cmp_lt_i64_e32 vcc_lo, v[0:1], v[8:9]
	s_wait_alu 0xfffd
	v_dual_cndmask_b32 v5, v5, v7 :: v_dual_cndmask_b32 v4, v4, v6
	v_dual_cndmask_b32 v3, v7, v3 :: v_dual_cndmask_b32 v2, v6, v2
	v_add_co_u32 v6, vcc_lo, v4, -1
	s_wait_alu 0xfffd
	s_delay_alu instid0(VALU_DEP_3) | instskip(NEXT) | instid1(VALU_DEP_3)
	v_add_co_ci_u32_e64 v7, null, -1, v5, vcc_lo
	v_cmp_ge_i64_e32 vcc_lo, v[2:3], v[4:5]
	s_delay_alu instid0(VALU_DEP_2)
	v_cmp_eq_u64_e64 s0, v[2:3], v[6:7]
	s_or_b32 s0, vcc_lo, s0
	s_wait_alu 0xfffe
	s_and_b32 s0, exec_lo, s0
	s_wait_alu 0xfffe
	s_or_b32 s18, s0, s18
	s_wait_alu 0xfffe
	s_and_not1_b32 exec_lo, exec_lo, s18
	s_cbranch_execnz .LBB10_30
; %bb.31:                               ;   in Loop: Header=BB10_28 Depth=1
	s_or_b32 exec_lo, exec_lo, s18
.LBB10_32:                              ;   in Loop: Header=BB10_28 Depth=1
	v_lshlrev_b64_e32 v[6:7], 3, v[4:5]
	v_lshlrev_b64_e32 v[8:9], 3, v[0:1]
	s_mov_b32 s0, exec_lo
	s_delay_alu instid0(VALU_DEP_2) | instskip(SKIP_1) | instid1(VALU_DEP_3)
	v_add_co_u32 v6, vcc_lo, s8, v6
	s_wait_alu 0xfffd
	v_add_co_ci_u32_e64 v7, null, s9, v7, vcc_lo
	s_delay_alu instid0(VALU_DEP_3)
	v_add_co_u32 v8, vcc_lo, s10, v8
	s_wait_alu 0xfffd
	v_add_co_ci_u32_e64 v9, null, s11, v9, vcc_lo
	global_load_b64 v[6:7], v[6:7], off
	global_load_b64 v[8:9], v[8:9], off
	s_wait_loadcnt 0x1
	v_sub_co_u32 v6, vcc_lo, v6, s6
	s_wait_alu 0xfffd
	v_subrev_co_ci_u32_e64 v7, null, 0, v7, vcc_lo
	s_delay_alu instid0(VALU_DEP_1)
	v_cmp_lt_i64_e32 vcc_lo, v[0:1], v[6:7]
	s_wait_alu 0xfffd
	v_dual_cndmask_b32 v5, v5, v3 :: v_dual_cndmask_b32 v4, v4, v2
	s_wait_loadcnt 0x0
	v_sub_co_u32 v2, vcc_lo, v8, s6
	s_wait_alu 0xfffd
	v_subrev_co_ci_u32_e64 v3, null, 0, v9, vcc_lo
	s_delay_alu instid0(VALU_DEP_1)
	v_cmpx_ne_u64_e64 v[2:3], v[4:5]
	s_cbranch_execz .LBB10_27
; %bb.33:                               ;   in Loop: Header=BB10_28 Depth=1
	v_lshlrev_b64_e32 v[6:7], 2, v[0:1]
	v_lshlrev_b64_e32 v[4:5], 2, v[4:5]
	;; [unrolled: 1-line block ×3, first 2 shown]
	s_delay_alu instid0(VALU_DEP_3) | instskip(SKIP_1) | instid1(VALU_DEP_4)
	v_add_co_u32 v6, vcc_lo, s12, v6
	s_wait_alu 0xfffd
	v_add_co_ci_u32_e64 v7, null, s13, v7, vcc_lo
	s_delay_alu instid0(VALU_DEP_4)
	v_add_co_u32 v4, vcc_lo, s14, v4
	s_wait_alu 0xfffd
	v_add_co_ci_u32_e64 v5, null, s15, v5, vcc_lo
	global_load_b32 v6, v[6:7], off
	v_add_co_u32 v2, vcc_lo, s22, v2
	global_load_b32 v4, v[4:5], off
	s_wait_alu 0xfffd
	v_add_co_ci_u32_e64 v3, null, s23, v3, vcc_lo
	s_wait_loadcnt 0x1
	v_mul_f32_e32 v5, s20, v6
	s_wait_loadcnt 0x0
	s_delay_alu instid0(VALU_DEP_1)
	v_mul_f32_e32 v4, v5, v4
	global_atomic_add_f32 v[2:3], v4, off scope:SCOPE_DEV
	s_branch .LBB10_27
.LBB10_34:
	s_endpgm
	.section	.rodata,"a",@progbits
	.p2align	6, 0x0
	.amdhsa_kernel _ZL33csrmvn_symm_large_adaptive_kernelIllffffEvbT_PKS0_N9rocsparse24const_host_device_scalarIT4_EES2_PKT0_PKT1_PKT2_S6_PT3_21rocsparse_index_base_b
		.amdhsa_group_segment_fixed_size 4096
		.amdhsa_private_segment_fixed_size 0
		.amdhsa_kernarg_size 88
		.amdhsa_user_sgpr_count 2
		.amdhsa_user_sgpr_dispatch_ptr 0
		.amdhsa_user_sgpr_queue_ptr 0
		.amdhsa_user_sgpr_kernarg_segment_ptr 1
		.amdhsa_user_sgpr_dispatch_id 0
		.amdhsa_user_sgpr_private_segment_size 0
		.amdhsa_wavefront_size32 1
		.amdhsa_uses_dynamic_stack 0
		.amdhsa_enable_private_segment 0
		.amdhsa_system_sgpr_workgroup_id_x 1
		.amdhsa_system_sgpr_workgroup_id_y 0
		.amdhsa_system_sgpr_workgroup_id_z 0
		.amdhsa_system_sgpr_workgroup_info 0
		.amdhsa_system_vgpr_workitem_id 0
		.amdhsa_next_free_vgpr 14
		.amdhsa_next_free_sgpr 32
		.amdhsa_reserve_vcc 1
		.amdhsa_float_round_mode_32 0
		.amdhsa_float_round_mode_16_64 0
		.amdhsa_float_denorm_mode_32 3
		.amdhsa_float_denorm_mode_16_64 3
		.amdhsa_fp16_overflow 0
		.amdhsa_workgroup_processor_mode 1
		.amdhsa_memory_ordered 1
		.amdhsa_forward_progress 1
		.amdhsa_inst_pref_size 17
		.amdhsa_round_robin_scheduling 0
		.amdhsa_exception_fp_ieee_invalid_op 0
		.amdhsa_exception_fp_denorm_src 0
		.amdhsa_exception_fp_ieee_div_zero 0
		.amdhsa_exception_fp_ieee_overflow 0
		.amdhsa_exception_fp_ieee_underflow 0
		.amdhsa_exception_fp_ieee_inexact 0
		.amdhsa_exception_int_div_zero 0
	.end_amdhsa_kernel
	.section	.text._ZL33csrmvn_symm_large_adaptive_kernelIllffffEvbT_PKS0_N9rocsparse24const_host_device_scalarIT4_EES2_PKT0_PKT1_PKT2_S6_PT3_21rocsparse_index_base_b,"axG",@progbits,_ZL33csrmvn_symm_large_adaptive_kernelIllffffEvbT_PKS0_N9rocsparse24const_host_device_scalarIT4_EES2_PKT0_PKT1_PKT2_S6_PT3_21rocsparse_index_base_b,comdat
.Lfunc_end10:
	.size	_ZL33csrmvn_symm_large_adaptive_kernelIllffffEvbT_PKS0_N9rocsparse24const_host_device_scalarIT4_EES2_PKT0_PKT1_PKT2_S6_PT3_21rocsparse_index_base_b, .Lfunc_end10-_ZL33csrmvn_symm_large_adaptive_kernelIllffffEvbT_PKS0_N9rocsparse24const_host_device_scalarIT4_EES2_PKT0_PKT1_PKT2_S6_PT3_21rocsparse_index_base_b
                                        ; -- End function
	.set _ZL33csrmvn_symm_large_adaptive_kernelIllffffEvbT_PKS0_N9rocsparse24const_host_device_scalarIT4_EES2_PKT0_PKT1_PKT2_S6_PT3_21rocsparse_index_base_b.num_vgpr, 14
	.set _ZL33csrmvn_symm_large_adaptive_kernelIllffffEvbT_PKS0_N9rocsparse24const_host_device_scalarIT4_EES2_PKT0_PKT1_PKT2_S6_PT3_21rocsparse_index_base_b.num_agpr, 0
	.set _ZL33csrmvn_symm_large_adaptive_kernelIllffffEvbT_PKS0_N9rocsparse24const_host_device_scalarIT4_EES2_PKT0_PKT1_PKT2_S6_PT3_21rocsparse_index_base_b.numbered_sgpr, 32
	.set _ZL33csrmvn_symm_large_adaptive_kernelIllffffEvbT_PKS0_N9rocsparse24const_host_device_scalarIT4_EES2_PKT0_PKT1_PKT2_S6_PT3_21rocsparse_index_base_b.num_named_barrier, 0
	.set _ZL33csrmvn_symm_large_adaptive_kernelIllffffEvbT_PKS0_N9rocsparse24const_host_device_scalarIT4_EES2_PKT0_PKT1_PKT2_S6_PT3_21rocsparse_index_base_b.private_seg_size, 0
	.set _ZL33csrmvn_symm_large_adaptive_kernelIllffffEvbT_PKS0_N9rocsparse24const_host_device_scalarIT4_EES2_PKT0_PKT1_PKT2_S6_PT3_21rocsparse_index_base_b.uses_vcc, 1
	.set _ZL33csrmvn_symm_large_adaptive_kernelIllffffEvbT_PKS0_N9rocsparse24const_host_device_scalarIT4_EES2_PKT0_PKT1_PKT2_S6_PT3_21rocsparse_index_base_b.uses_flat_scratch, 0
	.set _ZL33csrmvn_symm_large_adaptive_kernelIllffffEvbT_PKS0_N9rocsparse24const_host_device_scalarIT4_EES2_PKT0_PKT1_PKT2_S6_PT3_21rocsparse_index_base_b.has_dyn_sized_stack, 0
	.set _ZL33csrmvn_symm_large_adaptive_kernelIllffffEvbT_PKS0_N9rocsparse24const_host_device_scalarIT4_EES2_PKT0_PKT1_PKT2_S6_PT3_21rocsparse_index_base_b.has_recursion, 0
	.set _ZL33csrmvn_symm_large_adaptive_kernelIllffffEvbT_PKS0_N9rocsparse24const_host_device_scalarIT4_EES2_PKT0_PKT1_PKT2_S6_PT3_21rocsparse_index_base_b.has_indirect_call, 0
	.section	.AMDGPU.csdata,"",@progbits
; Kernel info:
; codeLenInByte = 2052
; TotalNumSgprs: 34
; NumVgprs: 14
; ScratchSize: 0
; MemoryBound: 0
; FloatMode: 240
; IeeeMode: 1
; LDSByteSize: 4096 bytes/workgroup (compile time only)
; SGPRBlocks: 0
; VGPRBlocks: 1
; NumSGPRsForWavesPerEU: 34
; NumVGPRsForWavesPerEU: 14
; Occupancy: 16
; WaveLimiterHint : 1
; COMPUTE_PGM_RSRC2:SCRATCH_EN: 0
; COMPUTE_PGM_RSRC2:USER_SGPR: 2
; COMPUTE_PGM_RSRC2:TRAP_HANDLER: 0
; COMPUTE_PGM_RSRC2:TGID_X_EN: 1
; COMPUTE_PGM_RSRC2:TGID_Y_EN: 0
; COMPUTE_PGM_RSRC2:TGID_Z_EN: 0
; COMPUTE_PGM_RSRC2:TIDIG_COMP_CNT: 0
	.section	.text._ZN9rocsparseL22csrmvn_adaptive_kernelIiiddddEEvbT_PKS1_PjPKT0_NS_24const_host_device_scalarIT4_EES3_S7_PKT1_PKT2_SA_PT3_21rocsparse_index_base_b,"axG",@progbits,_ZN9rocsparseL22csrmvn_adaptive_kernelIiiddddEEvbT_PKS1_PjPKT0_NS_24const_host_device_scalarIT4_EES3_S7_PKT1_PKT2_SA_PT3_21rocsparse_index_base_b,comdat
	.globl	_ZN9rocsparseL22csrmvn_adaptive_kernelIiiddddEEvbT_PKS1_PjPKT0_NS_24const_host_device_scalarIT4_EES3_S7_PKT1_PKT2_SA_PT3_21rocsparse_index_base_b ; -- Begin function _ZN9rocsparseL22csrmvn_adaptive_kernelIiiddddEEvbT_PKS1_PjPKT0_NS_24const_host_device_scalarIT4_EES3_S7_PKT1_PKT2_SA_PT3_21rocsparse_index_base_b
	.p2align	8
	.type	_ZN9rocsparseL22csrmvn_adaptive_kernelIiiddddEEvbT_PKS1_PjPKT0_NS_24const_host_device_scalarIT4_EES3_S7_PKT1_PKT2_SA_PT3_21rocsparse_index_base_b,@function
_ZN9rocsparseL22csrmvn_adaptive_kernelIiiddddEEvbT_PKS1_PjPKT0_NS_24const_host_device_scalarIT4_EES3_S7_PKT1_PKT2_SA_PT3_21rocsparse_index_base_b: ; @_ZN9rocsparseL22csrmvn_adaptive_kernelIiiddddEEvbT_PKS1_PjPKT0_NS_24const_host_device_scalarIT4_EES3_S7_PKT1_PKT2_SA_PT3_21rocsparse_index_base_b
; %bb.0:
	s_clause 0x2
	s_load_b64 s[26:27], s[0:1], 0x58
	s_load_b64 s[4:5], s[0:1], 0x20
	;; [unrolled: 1-line block ×3, first 2 shown]
	s_wait_kmcnt 0x0
	s_bitcmp1_b32 s27, 0
	v_dual_mov_b32 v8, s5 :: v_dual_mov_b32 v7, s4
	s_cselect_b32 s6, -1, 0
	s_delay_alu instid0(SALU_CYCLE_1)
	s_and_b32 vcc_lo, exec_lo, s6
	s_xor_b32 s6, s6, -1
	s_cbranch_vccnz .LBB11_2
; %bb.1:
	v_dual_mov_b32 v1, s4 :: v_dual_mov_b32 v2, s5
	flat_load_b64 v[7:8], v[1:2]
.LBB11_2:
	v_dual_mov_b32 v6, s3 :: v_dual_mov_b32 v5, s2
	s_and_not1_b32 vcc_lo, exec_lo, s6
	s_cbranch_vccnz .LBB11_4
; %bb.3:
	v_dual_mov_b32 v1, s2 :: v_dual_mov_b32 v2, s3
	flat_load_b64 v[5:6], v[1:2]
.LBB11_4:
	s_wait_loadcnt_dscnt 0x0
	v_cmp_neq_f64_e32 vcc_lo, 0, v[7:8]
	v_cmp_neq_f64_e64 s2, 1.0, v[5:6]
	s_or_b32 s2, vcc_lo, s2
	s_wait_alu 0xfffe
	s_and_saveexec_b32 s3, s2
	s_cbranch_execz .LBB11_115
; %bb.5:
	s_clause 0x2
	s_load_b64 s[2:3], s[0:1], 0x8
	s_load_b64 s[4:5], s[0:1], 0x18
	;; [unrolled: 1-line block ×3, first 2 shown]
	s_mov_b32 s30, ttmp9
	s_ashr_i32 s31, ttmp9, 31
	s_delay_alu instid0(SALU_CYCLE_1)
	s_lshl_b64 s[34:35], s[30:31], 2
	s_wait_kmcnt 0x0
	s_add_nc_u64 s[2:3], s[2:3], s[34:35]
	s_add_nc_u64 s[4:5], s[4:5], s[34:35]
	s_load_b64 s[22:23], s[2:3], 0x0
	s_load_b256 s[12:19], s[0:1], 0x28
	s_wait_kmcnt 0x0
	s_ashr_i32 s29, s22, 31
	s_mov_b32 s28, s22
	s_delay_alu instid0(SALU_CYCLE_1)
	s_lshl_b64 s[2:3], s[28:29], 2
	s_wait_alu 0xfffe
	s_add_nc_u64 s[24:25], s[12:13], s[2:3]
	s_load_b32 s27, s[4:5], 0x0
	s_load_b32 s31, s[24:25], 0x0
	s_sub_co_i32 s3, s23, s22
	s_mov_b32 s2, -1
	s_wait_alu 0xfffe
	s_cmp_lt_i32 s3, 2
	s_cbranch_scc0 .LBB11_71
; %bb.6:
	s_cmp_lg_u32 s3, 1
	v_cmp_gt_u32_e64 s2, 0x80, v0
	s_cselect_b32 s4, -1, 0
	s_wait_kmcnt 0x0
	s_cmp_lg_u32 s27, 0
	v_cmp_gt_u32_e64 s3, 64, v0
	s_cselect_b32 s5, -1, 0
	v_cmp_gt_u32_e64 s6, 8, v0
	s_wait_alu 0xfffe
	s_or_b32 s5, s4, s5
	v_cmp_gt_u32_e64 s4, 32, v0
	s_wait_alu 0xfffe
	s_and_b32 vcc_lo, exec_lo, s5
	v_cmp_gt_u32_e64 s5, 16, v0
	v_cmp_gt_u32_e64 s7, 4, v0
	;; [unrolled: 1-line block ×3, first 2 shown]
	v_cmp_eq_u32_e64 s9, 0, v0
	s_mov_b32 s10, -1
	s_cbranch_vccnz .LBB11_34
; %bb.7:
	v_subrev_nc_u32_e32 v13, s26, v0
	v_dual_mov_b32 v15, 0 :: v_dual_lshlrev_b32 v14, 3, v0
	s_mov_b32 s36, s22
	v_cmp_neq_f64_e32 vcc_lo, 0, v[5:6]
	s_branch .LBB11_10
.LBB11_8:                               ;   in Loop: Header=BB11_10 Depth=1
	s_wait_alu 0xfffe
	s_or_b32 exec_lo, exec_lo, s11
	s_lshl_b64 s[38:39], s[36:37], 3
	s_wait_alu 0xfffe
	s_add_nc_u64 s[38:39], s[20:21], s[38:39]
	s_wait_dscnt 0x0
	global_store_b64 v15, v[1:2], s[38:39]
.LBB11_9:                               ;   in Loop: Header=BB11_10 Depth=1
	s_wait_alu 0xfffe
	s_or_b32 exec_lo, exec_lo, s10
	s_add_co_i32 s36, s36, 1
	s_delay_alu instid0(SALU_CYCLE_1)
	s_cmp_ge_i32 s36, s23
	s_cbranch_scc1 .LBB11_33
.LBB11_10:                              ; =>This Loop Header: Depth=1
                                        ;     Child Loop BB11_12 Depth 2
	s_ashr_i32 s37, s36, 31
	v_mov_b32_e32 v3, 0
	s_lshl_b64 s[10:11], s[36:37], 2
	s_mov_b32 s33, exec_lo
	s_wait_alu 0xfffe
	s_add_nc_u64 s[10:11], s[12:13], s[10:11]
	v_mov_b32_e32 v4, 0
	s_load_b64 s[10:11], s[10:11], 0x0
	s_wait_kmcnt 0x0
	v_add_nc_u32_e32 v1, s10, v13
	s_sub_co_i32 s38, s11, s26
	s_wait_alu 0xfffe
	s_delay_alu instid0(VALU_DEP_1)
	v_cmpx_gt_i32_e64 s38, v1
	s_cbranch_execz .LBB11_14
; %bb.11:                               ;   in Loop: Header=BB11_10 Depth=1
	v_ashrrev_i32_e32 v2, 31, v1
	v_mov_b32_e32 v3, 0
	v_mov_b32_e32 v4, 0
	s_mov_b32 s39, 0
	s_delay_alu instid0(VALU_DEP_3) | instskip(SKIP_1) | instid1(VALU_DEP_2)
	v_lshlrev_b64_e32 v[9:10], 3, v[1:2]
	v_lshlrev_b64_e32 v[11:12], 2, v[1:2]
	v_add_co_u32 v9, s10, s16, v9
	s_wait_alu 0xf1ff
	s_delay_alu instid0(VALU_DEP_3) | instskip(NEXT) | instid1(VALU_DEP_3)
	v_add_co_ci_u32_e64 v10, null, s17, v10, s10
	v_add_co_u32 v11, s10, s14, v11
	s_wait_alu 0xf1ff
	v_add_co_ci_u32_e64 v12, null, s15, v12, s10
.LBB11_12:                              ;   Parent Loop BB11_10 Depth=1
                                        ; =>  This Inner Loop Header: Depth=2
	global_load_b32 v2, v[11:12], off
	global_load_b64 v[16:17], v[9:10], off
	v_add_nc_u32_e32 v1, 0x100, v1
	v_add_co_u32 v11, s11, 0x400, v11
	s_wait_alu 0xf1ff
	v_add_co_ci_u32_e64 v12, null, 0, v12, s11
	s_wait_loadcnt 0x1
	v_subrev_nc_u32_e32 v18, s26, v2
	s_wait_loadcnt 0x0
	v_mul_f64_e32 v[16:17], v[7:8], v[16:17]
	s_delay_alu instid0(VALU_DEP_2) | instskip(NEXT) | instid1(VALU_DEP_1)
	v_ashrrev_i32_e32 v19, 31, v18
	v_lshlrev_b64_e32 v[18:19], 3, v[18:19]
	s_delay_alu instid0(VALU_DEP_1) | instskip(SKIP_1) | instid1(VALU_DEP_2)
	v_add_co_u32 v18, s10, s18, v18
	s_wait_alu 0xf1ff
	v_add_co_ci_u32_e64 v19, null, s19, v19, s10
	v_add_co_u32 v9, s10, 0x800, v9
	s_wait_alu 0xf1ff
	v_add_co_ci_u32_e64 v10, null, 0, v10, s10
	global_load_b64 v[18:19], v[18:19], off
	v_cmp_le_i32_e64 s10, s38, v1
	s_wait_alu 0xfffe
	s_or_b32 s39, s10, s39
	s_wait_loadcnt 0x0
	v_fma_f64 v[3:4], v[16:17], v[18:19], v[3:4]
	s_wait_alu 0xfffe
	s_and_not1_b32 exec_lo, exec_lo, s39
	s_cbranch_execnz .LBB11_12
; %bb.13:                               ;   in Loop: Header=BB11_10 Depth=1
	s_or_b32 exec_lo, exec_lo, s39
.LBB11_14:                              ;   in Loop: Header=BB11_10 Depth=1
	s_delay_alu instid0(SALU_CYCLE_1)
	s_or_b32 exec_lo, exec_lo, s33
	ds_store_b64 v14, v[3:4]
	s_wait_dscnt 0x0
	s_barrier_signal -1
	s_barrier_wait -1
	global_inv scope:SCOPE_SE
	s_and_saveexec_b32 s10, s2
	s_cbranch_execz .LBB11_16
; %bb.15:                               ;   in Loop: Header=BB11_10 Depth=1
	ds_load_2addr_stride64_b64 v[1:4], v14 offset1:2
	s_wait_dscnt 0x0
	v_add_f64_e32 v[1:2], v[1:2], v[3:4]
	ds_store_b64 v14, v[1:2]
.LBB11_16:                              ;   in Loop: Header=BB11_10 Depth=1
	s_wait_alu 0xfffe
	s_or_b32 exec_lo, exec_lo, s10
	s_wait_loadcnt_dscnt 0x0
	s_barrier_signal -1
	s_barrier_wait -1
	global_inv scope:SCOPE_SE
	s_and_saveexec_b32 s10, s3
	s_cbranch_execz .LBB11_18
; %bb.17:                               ;   in Loop: Header=BB11_10 Depth=1
	ds_load_2addr_stride64_b64 v[1:4], v14 offset1:1
	s_wait_dscnt 0x0
	v_add_f64_e32 v[1:2], v[1:2], v[3:4]
	ds_store_b64 v14, v[1:2]
.LBB11_18:                              ;   in Loop: Header=BB11_10 Depth=1
	s_wait_alu 0xfffe
	s_or_b32 exec_lo, exec_lo, s10
	s_wait_loadcnt_dscnt 0x0
	s_barrier_signal -1
	s_barrier_wait -1
	global_inv scope:SCOPE_SE
	s_and_saveexec_b32 s10, s4
	s_cbranch_execz .LBB11_20
; %bb.19:                               ;   in Loop: Header=BB11_10 Depth=1
	ds_load_2addr_b64 v[1:4], v14 offset1:32
	s_wait_dscnt 0x0
	v_add_f64_e32 v[1:2], v[1:2], v[3:4]
	ds_store_b64 v14, v[1:2]
.LBB11_20:                              ;   in Loop: Header=BB11_10 Depth=1
	s_wait_alu 0xfffe
	s_or_b32 exec_lo, exec_lo, s10
	s_wait_loadcnt_dscnt 0x0
	s_barrier_signal -1
	s_barrier_wait -1
	global_inv scope:SCOPE_SE
	s_and_saveexec_b32 s10, s5
	s_cbranch_execz .LBB11_22
; %bb.21:                               ;   in Loop: Header=BB11_10 Depth=1
	ds_load_2addr_b64 v[1:4], v14 offset1:16
	s_wait_dscnt 0x0
	v_add_f64_e32 v[1:2], v[1:2], v[3:4]
	ds_store_b64 v14, v[1:2]
.LBB11_22:                              ;   in Loop: Header=BB11_10 Depth=1
	;; [unrolled: 14-line block ×5, first 2 shown]
	s_wait_alu 0xfffe
	s_or_b32 exec_lo, exec_lo, s10
	s_wait_loadcnt_dscnt 0x0
	s_barrier_signal -1
	s_barrier_wait -1
	global_inv scope:SCOPE_SE
	s_and_saveexec_b32 s10, s9
	s_cbranch_execz .LBB11_30
; %bb.29:                               ;   in Loop: Header=BB11_10 Depth=1
	ds_load_b128 v[1:4], v15
	s_wait_dscnt 0x0
	v_add_f64_e32 v[1:2], v[1:2], v[3:4]
	ds_store_b64 v15, v[1:2]
.LBB11_30:                              ;   in Loop: Header=BB11_10 Depth=1
	s_wait_alu 0xfffe
	s_or_b32 exec_lo, exec_lo, s10
	s_wait_loadcnt_dscnt 0x0
	s_barrier_signal -1
	s_barrier_wait -1
	global_inv scope:SCOPE_SE
	s_and_saveexec_b32 s10, s9
	s_cbranch_execz .LBB11_9
; %bb.31:                               ;   in Loop: Header=BB11_10 Depth=1
	ds_load_b64 v[1:2], v15
	s_and_saveexec_b32 s11, vcc_lo
	s_cbranch_execz .LBB11_8
; %bb.32:                               ;   in Loop: Header=BB11_10 Depth=1
	s_lshl_b64 s[38:39], s[36:37], 3
	s_wait_alu 0xfffe
	s_add_nc_u64 s[38:39], s[20:21], s[38:39]
	global_load_b64 v[3:4], v15, s[38:39]
	s_wait_loadcnt_dscnt 0x0
	v_fma_f64 v[1:2], v[5:6], v[3:4], v[1:2]
	s_branch .LBB11_8
.LBB11_33:
	s_mov_b32 s10, 0
.LBB11_34:
	s_wait_alu 0xfffe
	s_and_b32 vcc_lo, exec_lo, s10
	s_cbranch_vccz .LBB11_70
; %bb.35:
	s_load_b64 s[6:7], s[0:1], 0x10
	v_mov_b32_e32 v3, 0
	v_mov_b32_e32 v1, 0
	;; [unrolled: 1-line block ×3, first 2 shown]
	v_or_b32_e32 v4, s27, v0
	s_sub_co_i32 s8, s30, s27
	s_mov_b32 s2, exec_lo
	s_wait_kmcnt 0x0
	s_add_nc_u64 s[4:5], s[6:7], s[34:35]
	global_load_b32 v13, v3, s[4:5]
	v_cmpx_eq_u32_e32 0, v4
	s_cbranch_execz .LBB11_39
; %bb.36:
	s_lshl_b64 s[10:11], s[28:29], 3
	s_mov_b32 s3, exec_lo
	s_wait_alu 0xfffe
	s_add_nc_u64 s[10:11], s[20:21], s[10:11]
	v_mbcnt_lo_u32_b32 v9, s3, 0
	global_load_b64 v[1:2], v3, s[10:11]
	v_add_f64_e32 v[3:4], -1.0, v[5:6]
	s_mov_b32 s10, exec_lo
	s_wait_loadcnt 0x0
	s_wait_storecnt 0x0
	global_inv scope:SCOPE_DEV
	v_cmpx_eq_u32_e32 0, v9
	s_cbranch_execz .LBB11_38
; %bb.37:
	s_bcnt1_i32_b32 s3, s3
	s_ashr_i32 s9, s8, 31
	s_wait_alu 0xfffe
	s_and_b32 s3, s3, 1
	s_wait_alu 0xfffe
	v_dual_mov_b32 v9, 0 :: v_dual_mov_b32 v10, s3
	s_lshl_b64 s[34:35], s[8:9], 2
	s_delay_alu instid0(SALU_CYCLE_1)
	s_add_nc_u64 s[34:35], s[6:7], s[34:35]
	global_atomic_xor_b32 v9, v10, s[34:35] scope:SCOPE_DEV
.LBB11_38:
	s_wait_alu 0xfffe
	s_or_b32 exec_lo, exec_lo, s10
	v_mul_f64_e32 v[1:2], v[3:4], v[1:2]
.LBB11_39:
	s_wait_alu 0xfffe
	s_or_b32 exec_lo, exec_lo, s2
	s_load_b32 s2, s[24:25], 0x4
	s_mul_i32 s3, s27, 0xc00
	s_sub_co_i32 s9, s31, s26
	s_wait_alu 0xfffe
	s_add_co_i32 s9, s9, s3
	s_mov_b32 s3, exec_lo
	v_add_nc_u32_e32 v3, s9, v0
	s_wait_kmcnt 0x0
	s_sub_co_i32 s2, s2, s26
	s_wait_alu 0xfffe
	s_delay_alu instid0(VALU_DEP_1)
	v_cmpx_gt_i32_e64 s2, v3
	s_cbranch_execz .LBB11_43
; %bb.40:
	v_ashrrev_i32_e32 v4, 31, v3
	s_addk_co_i32 s9, 0xc00
	s_mov_b32 s10, 0
	s_wait_alu 0xfffe
	s_min_i32 s9, s9, s2
	v_lshlrev_b64_e32 v[9:10], 3, v[3:4]
	v_lshlrev_b64_e32 v[11:12], 2, v[3:4]
	s_delay_alu instid0(VALU_DEP_2) | instskip(NEXT) | instid1(VALU_DEP_1)
	v_add_co_u32 v9, vcc_lo, s16, v9
	v_add_co_ci_u32_e64 v10, null, s17, v10, vcc_lo
	s_delay_alu instid0(VALU_DEP_3) | instskip(SKIP_1) | instid1(VALU_DEP_4)
	v_add_co_u32 v11, vcc_lo, s14, v11
	s_wait_alu 0xfffd
	v_add_co_ci_u32_e64 v12, null, s15, v12, vcc_lo
.LBB11_41:                              ; =>This Inner Loop Header: Depth=1
	global_load_b32 v4, v[11:12], off
	global_load_b64 v[14:15], v[9:10], off
	v_add_nc_u32_e32 v3, 0x100, v3
	v_add_co_u32 v11, s2, 0x400, v11
	s_wait_alu 0xf1ff
	v_add_co_ci_u32_e64 v12, null, 0, v12, s2
	s_wait_loadcnt 0x1
	v_subrev_nc_u32_e32 v16, s26, v4
	s_wait_loadcnt 0x0
	v_mul_f64_e32 v[14:15], v[7:8], v[14:15]
	s_delay_alu instid0(VALU_DEP_2) | instskip(NEXT) | instid1(VALU_DEP_1)
	v_ashrrev_i32_e32 v17, 31, v16
	v_lshlrev_b64_e32 v[16:17], 3, v[16:17]
	s_delay_alu instid0(VALU_DEP_1) | instskip(SKIP_1) | instid1(VALU_DEP_2)
	v_add_co_u32 v16, vcc_lo, s18, v16
	s_wait_alu 0xfffd
	v_add_co_ci_u32_e64 v17, null, s19, v17, vcc_lo
	v_add_co_u32 v9, vcc_lo, 0x800, v9
	s_wait_alu 0xfffd
	v_add_co_ci_u32_e64 v10, null, 0, v10, vcc_lo
	global_load_b64 v[16:17], v[16:17], off
	s_wait_alu 0xfffe
	v_cmp_le_i32_e32 vcc_lo, s9, v3
	s_or_b32 s10, vcc_lo, s10
	s_wait_loadcnt 0x0
	v_fma_f64 v[1:2], v[14:15], v[16:17], v[1:2]
	s_wait_alu 0xfffe
	s_and_not1_b32 exec_lo, exec_lo, s10
	s_cbranch_execnz .LBB11_41
; %bb.42:
	s_or_b32 exec_lo, exec_lo, s10
.LBB11_43:
	s_delay_alu instid0(SALU_CYCLE_1)
	s_or_b32 exec_lo, exec_lo, s3
	v_lshlrev_b32_e32 v3, 3, v0
	s_mov_b32 s2, exec_lo
	ds_store_b64 v3, v[1:2]
	s_wait_storecnt 0x0
	s_wait_loadcnt_dscnt 0x0
	s_barrier_signal -1
	s_barrier_wait -1
	global_inv scope:SCOPE_SE
	v_cmpx_gt_u32_e32 0x80, v0
	s_cbranch_execz .LBB11_45
; %bb.44:
	ds_load_2addr_stride64_b64 v[9:12], v3 offset1:2
	s_wait_dscnt 0x0
	v_add_f64_e32 v[1:2], v[9:10], v[11:12]
	ds_store_b64 v3, v[1:2]
.LBB11_45:
	s_wait_alu 0xfffe
	s_or_b32 exec_lo, exec_lo, s2
	s_delay_alu instid0(SALU_CYCLE_1)
	s_mov_b32 s2, exec_lo
	s_wait_loadcnt_dscnt 0x0
	s_barrier_signal -1
	s_barrier_wait -1
	global_inv scope:SCOPE_SE
	v_cmpx_gt_u32_e32 64, v0
	s_cbranch_execz .LBB11_47
; %bb.46:
	ds_load_2addr_stride64_b64 v[9:12], v3 offset1:1
	s_wait_dscnt 0x0
	v_add_f64_e32 v[1:2], v[9:10], v[11:12]
	ds_store_b64 v3, v[1:2]
.LBB11_47:
	s_wait_alu 0xfffe
	s_or_b32 exec_lo, exec_lo, s2
	s_delay_alu instid0(SALU_CYCLE_1)
	s_mov_b32 s2, exec_lo
	s_wait_loadcnt_dscnt 0x0
	s_barrier_signal -1
	s_barrier_wait -1
	global_inv scope:SCOPE_SE
	v_cmpx_gt_u32_e32 32, v0
	s_cbranch_execz .LBB11_49
; %bb.48:
	ds_load_2addr_b64 v[9:12], v3 offset1:32
	s_wait_dscnt 0x0
	v_add_f64_e32 v[1:2], v[9:10], v[11:12]
	ds_store_b64 v3, v[1:2]
.LBB11_49:
	s_wait_alu 0xfffe
	s_or_b32 exec_lo, exec_lo, s2
	s_delay_alu instid0(SALU_CYCLE_1)
	s_mov_b32 s2, exec_lo
	s_wait_loadcnt_dscnt 0x0
	s_barrier_signal -1
	s_barrier_wait -1
	global_inv scope:SCOPE_SE
	v_cmpx_gt_u32_e32 16, v0
	s_cbranch_execz .LBB11_51
; %bb.50:
	ds_load_2addr_b64 v[9:12], v3 offset1:16
	s_wait_dscnt 0x0
	v_add_f64_e32 v[1:2], v[9:10], v[11:12]
	ds_store_b64 v3, v[1:2]
.LBB11_51:
	;; [unrolled: 16-line block ×5, first 2 shown]
	s_wait_alu 0xfffe
	s_or_b32 exec_lo, exec_lo, s2
	v_cmp_eq_u32_e32 vcc_lo, 0, v0
	s_wait_loadcnt_dscnt 0x0
	s_barrier_signal -1
	s_barrier_wait -1
	global_inv scope:SCOPE_SE
	s_and_saveexec_b32 s2, vcc_lo
	s_cbranch_execz .LBB11_59
; %bb.58:
	v_mov_b32_e32 v9, 0
	ds_load_b128 v[1:4], v9
	s_wait_dscnt 0x0
	v_add_f64_e32 v[1:2], v[1:2], v[3:4]
	ds_store_b64 v9, v[1:2]
.LBB11_59:
	s_wait_alu 0xfffe
	s_or_b32 exec_lo, exec_lo, s2
	s_wait_loadcnt_dscnt 0x0
	s_barrier_signal -1
	s_barrier_wait -1
	global_inv scope:SCOPE_SE
	s_and_saveexec_b32 s10, vcc_lo
	s_cbranch_execz .LBB11_69
; %bb.60:
	s_cmp_eq_u32 s27, 0
	s_cbranch_scc1 .LBB11_66
; %bb.61:
	s_ashr_i32 s9, s8, 31
	v_mov_b32_e32 v1, 0
	s_wait_alu 0xfffe
	s_lshl_b64 s[2:3], s[8:9], 2
	s_wait_alu 0xfffe
	s_add_nc_u64 s[2:3], s[6:7], s[2:3]
	s_branch .LBB11_63
.LBB11_62:                              ;   in Loop: Header=BB11_63 Depth=1
	s_wait_alu 0xfffe
	s_or_b32 exec_lo, exec_lo, s6
	s_wait_loadcnt 0x0
	v_readfirstlane_b32 s6, v2
	s_wait_alu 0xf1ff
	s_delay_alu instid0(VALU_DEP_1)
	v_cmp_eq_u32_e32 vcc_lo, s6, v13
	s_cbranch_vccz .LBB11_65
.LBB11_63:                              ; =>This Inner Loop Header: Depth=1
	v_mbcnt_lo_u32_b32 v2, exec_lo, 0
	s_delay_alu instid0(VALU_DEP_1)
	v_cmp_eq_u32_e32 vcc_lo, 0, v2
                                        ; implicit-def: $vgpr2
	s_and_saveexec_b32 s6, vcc_lo
	s_cbranch_execz .LBB11_62
; %bb.64:                               ;   in Loop: Header=BB11_63 Depth=1
	global_load_b32 v2, v1, s[2:3] scope:SCOPE_DEV
	s_branch .LBB11_62
.LBB11_65:
	v_mov_b32_e32 v1, 0
	global_load_u16 v2, v1, s[4:5]
	s_wait_loadcnt 0x0
	v_xor_b32_e32 v2, 1, v2
	global_store_b16 v1, v2, s[4:5]
.LBB11_66:
	s_mov_b32 s4, exec_lo
	s_wait_alu 0xfffe
	v_mbcnt_lo_u32_b32 v1, s4, 0
	s_delay_alu instid0(VALU_DEP_1)
	v_cmp_eq_u32_e32 vcc_lo, 0, v1
	s_and_b32 s2, exec_lo, vcc_lo
	s_wait_alu 0xfffe
	s_mov_b32 exec_lo, s2
	s_cbranch_execz .LBB11_69
; %bb.67:
	v_mov_b32_e32 v11, 0
	s_lshl_b64 s[2:3], s[28:29], 3
	s_bcnt1_i32_b32 s4, s4
	s_wait_alu 0xfffe
	s_add_nc_u64 s[2:3], s[20:21], s[2:3]
	v_cvt_f64_u32_e32 v[1:2], s4
	global_load_b64 v[3:4], v11, s[2:3]
	ds_load_b64 v[9:10], v11
	s_mov_b32 s4, 0
	s_wait_dscnt 0x0
	v_mul_f64_e32 v[9:10], v[9:10], v[1:2]
.LBB11_68:                              ; =>This Inner Loop Header: Depth=1
	s_wait_loadcnt 0x0
	s_delay_alu instid0(VALU_DEP_1)
	v_add_f64_e32 v[1:2], v[3:4], v[9:10]
	global_atomic_cmpswap_b64 v[1:2], v11, v[1:4], s[2:3] th:TH_ATOMIC_RETURN scope:SCOPE_DEV
	s_wait_loadcnt 0x0
	v_cmp_eq_u64_e32 vcc_lo, v[1:2], v[3:4]
	v_dual_mov_b32 v4, v2 :: v_dual_mov_b32 v3, v1
	s_wait_alu 0xfffe
	s_or_b32 s4, vcc_lo, s4
	s_wait_alu 0xfffe
	s_and_not1_b32 exec_lo, exec_lo, s4
	s_cbranch_execnz .LBB11_68
.LBB11_69:
	s_wait_alu 0xfffe
	s_or_b32 exec_lo, exec_lo, s10
.LBB11_70:
	s_mov_b32 s2, 0
.LBB11_71:
	s_wait_alu 0xfffe
	s_and_not1_b32 vcc_lo, exec_lo, s2
	s_wait_alu 0xfffe
	s_cbranch_vccnz .LBB11_115
; %bb.72:
	s_load_b32 s0, s[0:1], 0x4
	v_subrev_nc_u32_e32 v1, s26, v0
	s_wait_kmcnt 0x0
	s_delay_alu instid0(VALU_DEP_1) | instskip(NEXT) | instid1(VALU_DEP_1)
	v_add_nc_u32_e32 v1, s31, v1
	v_add_nc_u32_e32 v2, 0x300, v1
	s_delay_alu instid0(VALU_DEP_1)
	v_cmp_le_i32_e32 vcc_lo, s0, v2
	s_and_saveexec_b32 s0, vcc_lo
	s_wait_alu 0xfffe
	s_xor_b32 s0, exec_lo, s0
	s_cbranch_execz .LBB11_77
; %bb.73:
	s_ashr_i32 s3, s23, 31
	s_mov_b32 s2, s23
	s_wait_alu 0xfffe
	s_lshl_b64 s[2:3], s[2:3], 2
	s_wait_alu 0xfffe
	s_add_nc_u64 s[2:3], s[12:13], s[2:3]
	s_load_b32 s1, s[2:3], 0x0
	s_mov_b32 s2, exec_lo
	s_wait_kmcnt 0x0
	s_sub_co_i32 s1, s1, s26
	s_wait_alu 0xfffe
	v_cmpx_gt_i32_e64 s1, v1
	s_cbranch_execz .LBB11_76
; %bb.74:
	v_lshlrev_b32_e32 v3, 3, v0
	s_mov_b32 s3, 0
.LBB11_75:                              ; =>This Inner Loop Header: Depth=1
	v_ashrrev_i32_e32 v2, 31, v1
	s_delay_alu instid0(VALU_DEP_1) | instskip(NEXT) | instid1(VALU_DEP_1)
	v_lshlrev_b64_e32 v[9:10], 2, v[1:2]
	v_add_co_u32 v9, vcc_lo, s14, v9
	s_wait_alu 0xfffd
	s_delay_alu instid0(VALU_DEP_2) | instskip(SKIP_3) | instid1(VALU_DEP_2)
	v_add_co_ci_u32_e64 v10, null, s15, v10, vcc_lo
	global_load_b32 v4, v[9:10], off
	v_lshlrev_b64_e32 v[9:10], 3, v[1:2]
	v_add_nc_u32_e32 v1, 0x100, v1
	v_add_co_u32 v9, vcc_lo, s16, v9
	s_wait_alu 0xfffd
	s_delay_alu instid0(VALU_DEP_3) | instskip(SKIP_3) | instid1(VALU_DEP_1)
	v_add_co_ci_u32_e64 v10, null, s17, v10, vcc_lo
	global_load_b64 v[9:10], v[9:10], off
	s_wait_loadcnt 0x1
	v_subrev_nc_u32_e32 v11, s26, v4
	v_ashrrev_i32_e32 v12, 31, v11
	s_delay_alu instid0(VALU_DEP_1) | instskip(SKIP_2) | instid1(VALU_DEP_2)
	v_lshlrev_b64_e32 v[11:12], 3, v[11:12]
	s_wait_loadcnt 0x0
	v_mul_f64_e32 v[9:10], v[7:8], v[9:10]
	v_add_co_u32 v11, vcc_lo, s18, v11
	s_wait_alu 0xfffd
	s_delay_alu instid0(VALU_DEP_3)
	v_add_co_ci_u32_e64 v12, null, s19, v12, vcc_lo
	v_cmp_le_i32_e32 vcc_lo, s1, v1
	global_load_b64 v[11:12], v[11:12], off
	s_wait_alu 0xfffe
	s_or_b32 s3, vcc_lo, s3
	s_wait_loadcnt 0x0
	v_mul_f64_e32 v[9:10], v[9:10], v[11:12]
	ds_store_b64 v3, v[9:10]
	v_add_nc_u32_e32 v3, 0x800, v3
	s_wait_alu 0xfffe
	s_and_not1_b32 exec_lo, exec_lo, s3
	s_cbranch_execnz .LBB11_75
.LBB11_76:
	s_or_b32 exec_lo, exec_lo, s2
                                        ; implicit-def: $vgpr1
                                        ; implicit-def: $vgpr7_vgpr8
.LBB11_77:
	s_wait_alu 0xfffe
	s_or_saveexec_b32 s0, s0
	v_lshlrev_b32_e32 v9, 3, v0
	s_wait_alu 0xfffe
	s_xor_b32 exec_lo, exec_lo, s0
	s_cbranch_execz .LBB11_79
; %bb.78:
	v_ashrrev_i32_e32 v2, 31, v1
	s_delay_alu instid0(VALU_DEP_1) | instskip(SKIP_1) | instid1(VALU_DEP_2)
	v_lshlrev_b64_e32 v[3:4], 2, v[1:2]
	v_lshlrev_b64_e32 v[1:2], 3, v[1:2]
	v_add_co_u32 v3, vcc_lo, s14, v3
	s_wait_alu 0xfffd
	s_delay_alu instid0(VALU_DEP_3) | instskip(NEXT) | instid1(VALU_DEP_3)
	v_add_co_ci_u32_e64 v4, null, s15, v4, vcc_lo
	v_add_co_u32 v1, vcc_lo, s16, v1
	s_wait_alu 0xfffd
	v_add_co_ci_u32_e64 v2, null, s17, v2, vcc_lo
	s_clause 0x3
	global_load_b32 v14, v[3:4], off
	global_load_b32 v15, v[3:4], off offset:1024
	global_load_b32 v17, v[3:4], off offset:2048
	;; [unrolled: 1-line block ×3, first 2 shown]
	s_clause 0x3
	global_load_b64 v[3:4], v[1:2], off
	global_load_b64 v[10:11], v[1:2], off offset:2048
	global_load_b64 v[12:13], v[1:2], off offset:4096
	;; [unrolled: 1-line block ×3, first 2 shown]
	s_wait_loadcnt 0x7
	v_subrev_nc_u32_e32 v14, s26, v14
	s_wait_loadcnt 0x6
	v_subrev_nc_u32_e32 v16, s26, v15
	;; [unrolled: 2-line block ×4, first 2 shown]
	s_wait_loadcnt 0x3
	v_mul_f64_e32 v[3:4], v[7:8], v[3:4]
	v_ashrrev_i32_e32 v15, 31, v14
	v_ashrrev_i32_e32 v17, 31, v16
	;; [unrolled: 1-line block ×4, first 2 shown]
	s_wait_loadcnt 0x2
	v_mul_f64_e32 v[10:11], v[7:8], v[10:11]
	v_lshlrev_b64_e32 v[14:15], 3, v[14:15]
	v_lshlrev_b64_e32 v[16:17], 3, v[16:17]
	;; [unrolled: 1-line block ×4, first 2 shown]
	s_wait_loadcnt 0x1
	v_mul_f64_e32 v[12:13], v[7:8], v[12:13]
	s_wait_loadcnt 0x0
	v_mul_f64_e32 v[1:2], v[7:8], v[1:2]
	v_add_co_u32 v14, vcc_lo, s18, v14
	s_wait_alu 0xfffd
	v_add_co_ci_u32_e64 v15, null, s19, v15, vcc_lo
	v_add_co_u32 v16, vcc_lo, s18, v16
	s_wait_alu 0xfffd
	v_add_co_ci_u32_e64 v17, null, s19, v17, vcc_lo
	;; [unrolled: 3-line block ×4, first 2 shown]
	s_clause 0x3
	global_load_b64 v[14:15], v[14:15], off
	global_load_b64 v[16:17], v[16:17], off
	;; [unrolled: 1-line block ×4, first 2 shown]
	s_wait_loadcnt 0x3
	v_mul_f64_e32 v[3:4], v[3:4], v[14:15]
	s_wait_loadcnt 0x2
	v_mul_f64_e32 v[7:8], v[10:11], v[16:17]
	;; [unrolled: 2-line block ×4, first 2 shown]
	ds_store_2addr_stride64_b64 v9, v[3:4], v[7:8] offset1:4
	ds_store_2addr_stride64_b64 v9, v[10:11], v[1:2] offset0:8 offset1:12
.LBB11_79:
	s_or_b32 exec_lo, exec_lo, s0
	s_cmp_lt_i32 s27, 2
	s_mov_b32 s0, -1
	s_wait_storecnt 0x0
	s_wait_loadcnt_dscnt 0x0
	s_barrier_signal -1
	s_barrier_wait -1
	global_inv scope:SCOPE_SE
	s_cbranch_scc0 .LBB11_90
; %bb.80:
	v_add_nc_u32_e32 v1, s22, v0
	s_mov_b32 s2, exec_lo
	s_delay_alu instid0(VALU_DEP_1)
	v_cmpx_gt_i32_e64 s23, v1
	s_cbranch_execz .LBB11_89
; %bb.81:
	s_lshl_b32 s0, s31, 3
	s_mov_b32 s3, 0
	s_wait_alu 0xfffe
	s_sub_co_i32 s4, 0, s0
	v_cmp_neq_f64_e32 vcc_lo, 0, v[5:6]
	s_branch .LBB11_83
.LBB11_82:                              ;   in Loop: Header=BB11_83 Depth=1
	s_wait_alu 0xfffe
	s_or_b32 exec_lo, exec_lo, s1
	v_add_nc_u32_e32 v1, 0x100, v1
	v_add_co_u32 v7, s1, s20, v7
	s_wait_alu 0xf1ff
	v_add_co_ci_u32_e64 v8, null, s21, v8, s1
	s_delay_alu instid0(VALU_DEP_3)
	v_cmp_le_i32_e64 s0, s23, v1
	global_store_b64 v[7:8], v[3:4], off
	s_or_b32 s3, s0, s3
	s_wait_alu 0xfffe
	s_and_not1_b32 exec_lo, exec_lo, s3
	s_cbranch_execz .LBB11_89
.LBB11_83:                              ; =>This Loop Header: Depth=1
                                        ;     Child Loop BB11_85 Depth 2
	v_ashrrev_i32_e32 v2, 31, v1
	s_mov_b32 s1, exec_lo
	s_delay_alu instid0(VALU_DEP_1) | instskip(NEXT) | instid1(VALU_DEP_1)
	v_lshlrev_b64_e32 v[3:4], 2, v[1:2]
	v_add_co_u32 v3, s0, s12, v3
	s_wait_alu 0xf1ff
	s_delay_alu instid0(VALU_DEP_2)
	v_add_co_ci_u32_e64 v4, null, s13, v4, s0
	global_load_b64 v[7:8], v[3:4], off
	v_mov_b32_e32 v3, 0
	v_mov_b32_e32 v4, 0
	s_wait_loadcnt 0x0
	v_cmpx_lt_i32_e64 v7, v8
	s_cbranch_execz .LBB11_87
; %bb.84:                               ;   in Loop: Header=BB11_83 Depth=1
	v_mov_b32_e32 v3, 0
	v_subrev_nc_u32_e32 v8, s31, v8
	v_subrev_nc_u32_e32 v10, s31, v7
	v_mov_b32_e32 v4, 0
	s_wait_alu 0xfffe
	v_lshl_add_u32 v7, v7, 3, s4
	s_mov_b32 s5, 0
.LBB11_85:                              ;   Parent Loop BB11_83 Depth=1
                                        ; =>  This Inner Loop Header: Depth=2
	ds_load_b64 v[11:12], v7
	v_add_nc_u32_e32 v10, 1, v10
	v_add_nc_u32_e32 v7, 8, v7
	s_delay_alu instid0(VALU_DEP_2)
	v_cmp_ge_i32_e64 s0, v10, v8
	s_wait_alu 0xfffe
	s_or_b32 s5, s0, s5
	s_wait_dscnt 0x0
	v_add_f64_e32 v[3:4], v[3:4], v[11:12]
	s_wait_alu 0xfffe
	s_and_not1_b32 exec_lo, exec_lo, s5
	s_cbranch_execnz .LBB11_85
; %bb.86:                               ;   in Loop: Header=BB11_83 Depth=1
	s_or_b32 exec_lo, exec_lo, s5
.LBB11_87:                              ;   in Loop: Header=BB11_83 Depth=1
	s_wait_alu 0xfffe
	s_or_b32 exec_lo, exec_lo, s1
	v_lshlrev_b64_e32 v[7:8], 3, v[1:2]
	s_and_saveexec_b32 s1, vcc_lo
	s_cbranch_execz .LBB11_82
; %bb.88:                               ;   in Loop: Header=BB11_83 Depth=1
	s_delay_alu instid0(VALU_DEP_1) | instskip(SKIP_1) | instid1(VALU_DEP_2)
	v_add_co_u32 v10, s0, s20, v7
	s_wait_alu 0xf1ff
	v_add_co_ci_u32_e64 v11, null, s21, v8, s0
	global_load_b64 v[10:11], v[10:11], off
	s_wait_loadcnt 0x0
	v_fma_f64 v[3:4], v[5:6], v[10:11], v[3:4]
	s_branch .LBB11_82
.LBB11_89:
	s_wait_alu 0xfffe
	s_or_b32 exec_lo, exec_lo, s2
	s_mov_b32 s0, 0
.LBB11_90:
	s_wait_alu 0xfffe
	s_and_not1_b32 vcc_lo, exec_lo, s0
	s_wait_alu 0xfffe
	s_cbranch_vccnz .LBB11_115
; %bb.91:
	s_clz_i32_u32 s0, s27
	s_mov_b32 s1, exec_lo
	s_wait_alu 0xfffe
	s_xor_b32 s0, s0, 31
	v_mov_b32_e32 v2, 0
	s_wait_alu 0xfffe
	v_lshrrev_b32_e32 v4, s0, v0
	s_add_co_i32 s0, s27, -1
	s_wait_alu 0xfffe
	v_dual_mov_b32 v3, 0 :: v_dual_and_b32 v0, s0, v0
	s_delay_alu instid0(VALU_DEP_2) | instskip(NEXT) | instid1(VALU_DEP_1)
	v_add_nc_u32_e32 v1, s22, v4
	v_cmp_le_i32_e32 vcc_lo, s23, v1
	v_cmpx_gt_i32_e64 s23, v1
	s_cbranch_execz .LBB11_97
; %bb.92:
	v_lshlrev_b32_e32 v2, 2, v4
	v_subrev_nc_u32_e32 v7, s31, v0
	s_mov_b32 s2, exec_lo
	global_load_b64 v[2:3], v2, s[24:25]
	s_wait_loadcnt 0x0
	v_subrev_nc_u32_e32 v4, s31, v3
	v_dual_mov_b32 v2, 0 :: v_dual_add_nc_u32 v7, v2, v7
	v_mov_b32_e32 v3, 0
	s_delay_alu instid0(VALU_DEP_2)
	v_cmpx_lt_i32_e64 v7, v4
	s_cbranch_execz .LBB11_96
; %bb.93:
	v_mov_b32_e32 v2, 0
	v_dual_mov_b32 v3, 0 :: v_dual_lshlrev_b32 v8, 3, v7
	s_lshl_b32 s4, s27, 3
	s_mov_b32 s3, 0
.LBB11_94:                              ; =>This Inner Loop Header: Depth=1
	ds_load_b64 v[10:11], v8
	v_add_nc_u32_e32 v7, s27, v7
	s_wait_alu 0xfffe
	v_add_nc_u32_e32 v8, s4, v8
	s_delay_alu instid0(VALU_DEP_2)
	v_cmp_ge_i32_e64 s0, v7, v4
	s_or_b32 s3, s0, s3
	s_wait_dscnt 0x0
	v_add_f64_e32 v[2:3], v[2:3], v[10:11]
	s_wait_alu 0xfffe
	s_and_not1_b32 exec_lo, exec_lo, s3
	s_cbranch_execnz .LBB11_94
; %bb.95:
	s_or_b32 exec_lo, exec_lo, s3
.LBB11_96:
	s_wait_alu 0xfffe
	s_or_b32 exec_lo, exec_lo, s2
.LBB11_97:
	s_delay_alu instid0(SALU_CYCLE_1)
	s_or_b32 exec_lo, exec_lo, s1
	s_cmp_lt_u32 s27, 0x81
	s_wait_loadcnt 0x0
	s_wait_storecnt 0x0
	s_barrier_signal -1
	s_barrier_wait -1
	global_inv scope:SCOPE_SE
	ds_store_b64 v9, v[2:3]
	s_wait_loadcnt_dscnt 0x0
	s_barrier_signal -1
	s_barrier_wait -1
	global_inv scope:SCOPE_SE
	s_cbranch_scc1 .LBB11_99
; %bb.98:
	ds_load_b64 v[7:8], v9 offset:1024
	s_wait_loadcnt_dscnt 0x0
	s_barrier_signal -1
	s_barrier_wait -1
	global_inv scope:SCOPE_SE
	v_add_f64_e32 v[2:3], v[2:3], v[7:8]
	ds_store_b64 v9, v[2:3]
.LBB11_99:
	s_cmp_lt_u32 s27, 0x41
	s_wait_loadcnt_dscnt 0x0
	s_barrier_signal -1
	s_barrier_wait -1
	global_inv scope:SCOPE_SE
	s_cbranch_scc1 .LBB11_101
; %bb.100:
	ds_load_b64 v[7:8], v9 offset:512
	s_wait_loadcnt_dscnt 0x0
	s_barrier_signal -1
	s_barrier_wait -1
	global_inv scope:SCOPE_SE
	v_add_f64_e32 v[2:3], v[2:3], v[7:8]
	ds_store_b64 v9, v[2:3]
.LBB11_101:
	s_cmp_lt_u32 s27, 33
	;; [unrolled: 15-line block ×5, first 2 shown]
	s_wait_loadcnt_dscnt 0x0
	s_barrier_signal -1
	s_barrier_wait -1
	global_inv scope:SCOPE_SE
	s_cbranch_scc1 .LBB11_109
; %bb.108:
	ds_load_b64 v[7:8], v9 offset:32
	s_wait_loadcnt_dscnt 0x0
	s_barrier_signal -1
	s_barrier_wait -1
	global_inv scope:SCOPE_SE
	v_add_f64_e32 v[2:3], v[2:3], v[7:8]
	ds_store_b64 v9, v[2:3]
.LBB11_109:
	s_cmp_eq_u32 s27, 2
	s_wait_loadcnt_dscnt 0x0
	s_barrier_signal -1
	s_barrier_wait -1
	global_inv scope:SCOPE_SE
	s_cbranch_scc1 .LBB11_111
; %bb.110:
	ds_load_b64 v[7:8], v9 offset:16
	s_wait_loadcnt_dscnt 0x0
	s_barrier_signal -1
	s_barrier_wait -1
	global_inv scope:SCOPE_SE
	v_add_f64_e32 v[2:3], v[2:3], v[7:8]
	ds_store_b64 v9, v[2:3]
.LBB11_111:
	s_wait_loadcnt_dscnt 0x0
	s_barrier_signal -1
	s_barrier_wait -1
	global_inv scope:SCOPE_SE
	ds_load_b64 v[7:8], v9 offset:8
	v_cmp_eq_u32_e64 s0, 0, v0
	s_xor_b32 s1, vcc_lo, -1
	s_wait_loadcnt_dscnt 0x0
	s_barrier_signal -1
	s_barrier_wait -1
	s_wait_alu 0xfffe
	s_and_b32 s0, s0, s1
	global_inv scope:SCOPE_SE
	v_add_f64_e32 v[3:4], v[2:3], v[7:8]
	ds_store_b64 v9, v[3:4]
	s_wait_alu 0xfffe
	s_and_b32 exec_lo, exec_lo, s0
	s_cbranch_execz .LBB11_115
; %bb.112:
	v_ashrrev_i32_e32 v2, 31, v1
	s_mov_b32 s0, exec_lo
	s_delay_alu instid0(VALU_DEP_1)
	v_lshlrev_b64_e32 v[0:1], 3, v[1:2]
	v_cmpx_neq_f64_e32 0, v[5:6]
	s_cbranch_execz .LBB11_114
; %bb.113:
	s_delay_alu instid0(VALU_DEP_2) | instskip(SKIP_1) | instid1(VALU_DEP_3)
	v_add_co_u32 v7, vcc_lo, s20, v0
	s_wait_alu 0xfffd
	v_add_co_ci_u32_e64 v8, null, s21, v1, vcc_lo
	global_load_b64 v[7:8], v[7:8], off
	s_wait_loadcnt 0x0
	v_fma_f64 v[3:4], v[5:6], v[7:8], v[3:4]
.LBB11_114:
	s_wait_alu 0xfffe
	s_or_b32 exec_lo, exec_lo, s0
	s_delay_alu instid0(VALU_DEP_2)
	v_add_co_u32 v0, vcc_lo, s20, v0
	s_wait_alu 0xfffd
	v_add_co_ci_u32_e64 v1, null, s21, v1, vcc_lo
	global_store_b64 v[0:1], v[3:4], off
.LBB11_115:
	s_endpgm
	.section	.rodata,"a",@progbits
	.p2align	6, 0x0
	.amdhsa_kernel _ZN9rocsparseL22csrmvn_adaptive_kernelIiiddddEEvbT_PKS1_PjPKT0_NS_24const_host_device_scalarIT4_EES3_S7_PKT1_PKT2_SA_PT3_21rocsparse_index_base_b
		.amdhsa_group_segment_fixed_size 8192
		.amdhsa_private_segment_fixed_size 0
		.amdhsa_kernarg_size 96
		.amdhsa_user_sgpr_count 2
		.amdhsa_user_sgpr_dispatch_ptr 0
		.amdhsa_user_sgpr_queue_ptr 0
		.amdhsa_user_sgpr_kernarg_segment_ptr 1
		.amdhsa_user_sgpr_dispatch_id 0
		.amdhsa_user_sgpr_private_segment_size 0
		.amdhsa_wavefront_size32 1
		.amdhsa_uses_dynamic_stack 0
		.amdhsa_enable_private_segment 0
		.amdhsa_system_sgpr_workgroup_id_x 1
		.amdhsa_system_sgpr_workgroup_id_y 0
		.amdhsa_system_sgpr_workgroup_id_z 0
		.amdhsa_system_sgpr_workgroup_info 0
		.amdhsa_system_vgpr_workitem_id 0
		.amdhsa_next_free_vgpr 22
		.amdhsa_next_free_sgpr 40
		.amdhsa_reserve_vcc 1
		.amdhsa_float_round_mode_32 0
		.amdhsa_float_round_mode_16_64 0
		.amdhsa_float_denorm_mode_32 3
		.amdhsa_float_denorm_mode_16_64 3
		.amdhsa_fp16_overflow 0
		.amdhsa_workgroup_processor_mode 1
		.amdhsa_memory_ordered 1
		.amdhsa_forward_progress 1
		.amdhsa_inst_pref_size 41
		.amdhsa_round_robin_scheduling 0
		.amdhsa_exception_fp_ieee_invalid_op 0
		.amdhsa_exception_fp_denorm_src 0
		.amdhsa_exception_fp_ieee_div_zero 0
		.amdhsa_exception_fp_ieee_overflow 0
		.amdhsa_exception_fp_ieee_underflow 0
		.amdhsa_exception_fp_ieee_inexact 0
		.amdhsa_exception_int_div_zero 0
	.end_amdhsa_kernel
	.section	.text._ZN9rocsparseL22csrmvn_adaptive_kernelIiiddddEEvbT_PKS1_PjPKT0_NS_24const_host_device_scalarIT4_EES3_S7_PKT1_PKT2_SA_PT3_21rocsparse_index_base_b,"axG",@progbits,_ZN9rocsparseL22csrmvn_adaptive_kernelIiiddddEEvbT_PKS1_PjPKT0_NS_24const_host_device_scalarIT4_EES3_S7_PKT1_PKT2_SA_PT3_21rocsparse_index_base_b,comdat
.Lfunc_end11:
	.size	_ZN9rocsparseL22csrmvn_adaptive_kernelIiiddddEEvbT_PKS1_PjPKT0_NS_24const_host_device_scalarIT4_EES3_S7_PKT1_PKT2_SA_PT3_21rocsparse_index_base_b, .Lfunc_end11-_ZN9rocsparseL22csrmvn_adaptive_kernelIiiddddEEvbT_PKS1_PjPKT0_NS_24const_host_device_scalarIT4_EES3_S7_PKT1_PKT2_SA_PT3_21rocsparse_index_base_b
                                        ; -- End function
	.set _ZN9rocsparseL22csrmvn_adaptive_kernelIiiddddEEvbT_PKS1_PjPKT0_NS_24const_host_device_scalarIT4_EES3_S7_PKT1_PKT2_SA_PT3_21rocsparse_index_base_b.num_vgpr, 22
	.set _ZN9rocsparseL22csrmvn_adaptive_kernelIiiddddEEvbT_PKS1_PjPKT0_NS_24const_host_device_scalarIT4_EES3_S7_PKT1_PKT2_SA_PT3_21rocsparse_index_base_b.num_agpr, 0
	.set _ZN9rocsparseL22csrmvn_adaptive_kernelIiiddddEEvbT_PKS1_PjPKT0_NS_24const_host_device_scalarIT4_EES3_S7_PKT1_PKT2_SA_PT3_21rocsparse_index_base_b.numbered_sgpr, 40
	.set _ZN9rocsparseL22csrmvn_adaptive_kernelIiiddddEEvbT_PKS1_PjPKT0_NS_24const_host_device_scalarIT4_EES3_S7_PKT1_PKT2_SA_PT3_21rocsparse_index_base_b.num_named_barrier, 0
	.set _ZN9rocsparseL22csrmvn_adaptive_kernelIiiddddEEvbT_PKS1_PjPKT0_NS_24const_host_device_scalarIT4_EES3_S7_PKT1_PKT2_SA_PT3_21rocsparse_index_base_b.private_seg_size, 0
	.set _ZN9rocsparseL22csrmvn_adaptive_kernelIiiddddEEvbT_PKS1_PjPKT0_NS_24const_host_device_scalarIT4_EES3_S7_PKT1_PKT2_SA_PT3_21rocsparse_index_base_b.uses_vcc, 1
	.set _ZN9rocsparseL22csrmvn_adaptive_kernelIiiddddEEvbT_PKS1_PjPKT0_NS_24const_host_device_scalarIT4_EES3_S7_PKT1_PKT2_SA_PT3_21rocsparse_index_base_b.uses_flat_scratch, 0
	.set _ZN9rocsparseL22csrmvn_adaptive_kernelIiiddddEEvbT_PKS1_PjPKT0_NS_24const_host_device_scalarIT4_EES3_S7_PKT1_PKT2_SA_PT3_21rocsparse_index_base_b.has_dyn_sized_stack, 0
	.set _ZN9rocsparseL22csrmvn_adaptive_kernelIiiddddEEvbT_PKS1_PjPKT0_NS_24const_host_device_scalarIT4_EES3_S7_PKT1_PKT2_SA_PT3_21rocsparse_index_base_b.has_recursion, 0
	.set _ZN9rocsparseL22csrmvn_adaptive_kernelIiiddddEEvbT_PKS1_PjPKT0_NS_24const_host_device_scalarIT4_EES3_S7_PKT1_PKT2_SA_PT3_21rocsparse_index_base_b.has_indirect_call, 0
	.section	.AMDGPU.csdata,"",@progbits
; Kernel info:
; codeLenInByte = 5184
; TotalNumSgprs: 42
; NumVgprs: 22
; ScratchSize: 0
; MemoryBound: 0
; FloatMode: 240
; IeeeMode: 1
; LDSByteSize: 8192 bytes/workgroup (compile time only)
; SGPRBlocks: 0
; VGPRBlocks: 2
; NumSGPRsForWavesPerEU: 42
; NumVGPRsForWavesPerEU: 22
; Occupancy: 16
; WaveLimiterHint : 1
; COMPUTE_PGM_RSRC2:SCRATCH_EN: 0
; COMPUTE_PGM_RSRC2:USER_SGPR: 2
; COMPUTE_PGM_RSRC2:TRAP_HANDLER: 0
; COMPUTE_PGM_RSRC2:TGID_X_EN: 1
; COMPUTE_PGM_RSRC2:TGID_Y_EN: 0
; COMPUTE_PGM_RSRC2:TGID_Z_EN: 0
; COMPUTE_PGM_RSRC2:TIDIG_COMP_CNT: 0
	.section	.text._ZN9rocsparseL22partial_scale_y_kernelIiddEEvT_S1_S1_NS_24const_host_device_scalarIT1_EEPT0_b,"axG",@progbits,_ZN9rocsparseL22partial_scale_y_kernelIiddEEvT_S1_S1_NS_24const_host_device_scalarIT1_EEPT0_b,comdat
	.globl	_ZN9rocsparseL22partial_scale_y_kernelIiddEEvT_S1_S1_NS_24const_host_device_scalarIT1_EEPT0_b ; -- Begin function _ZN9rocsparseL22partial_scale_y_kernelIiddEEvT_S1_S1_NS_24const_host_device_scalarIT1_EEPT0_b
	.p2align	8
	.type	_ZN9rocsparseL22partial_scale_y_kernelIiddEEvT_S1_S1_NS_24const_host_device_scalarIT1_EEPT0_b,@function
_ZN9rocsparseL22partial_scale_y_kernelIiddEEvT_S1_S1_NS_24const_host_device_scalarIT1_EEPT0_b: ; @_ZN9rocsparseL22partial_scale_y_kernelIiddEEvT_S1_S1_NS_24const_host_device_scalarIT1_EEPT0_b
; %bb.0:
	s_clause 0x1
	s_load_b32 s4, s[0:1], 0x20
	s_load_b64 s[2:3], s[0:1], 0x10
	s_wait_kmcnt 0x0
	s_bitcmp1_b32 s4, 0
	v_dual_mov_b32 v1, s2 :: v_dual_mov_b32 v2, s3
	s_cselect_b32 s4, -1, 0
	s_delay_alu instid0(SALU_CYCLE_1)
	s_and_b32 vcc_lo, exec_lo, s4
	s_cbranch_vccnz .LBB12_2
; %bb.1:
	v_dual_mov_b32 v1, s2 :: v_dual_mov_b32 v2, s3
	flat_load_b64 v[1:2], v[1:2]
.LBB12_2:
	s_mov_b32 s2, exec_lo
	s_wait_loadcnt_dscnt 0x0
	v_cmpx_neq_f64_e32 1.0, v[1:2]
	s_cbranch_execz .LBB12_15
; %bb.3:
	s_load_b96 s[4:6], s[0:1], 0x0
	v_lshl_or_b32 v3, ttmp9, 8, v0
	s_wait_kmcnt 0x0
	s_add_co_i32 s2, s5, s4
	s_wait_alu 0xfffe
	s_sub_co_i32 s2, s2, s6
	s_wait_alu 0xfffe
	v_cmp_gt_i32_e32 vcc_lo, s2, v3
	s_and_b32 exec_lo, exec_lo, vcc_lo
	s_cbranch_execz .LBB12_15
; %bb.4:
	s_load_b64 s[2:3], s[0:1], 0x18
	s_mov_b32 s1, exec_lo
	v_cmp_neq_f64_e32 vcc_lo, 0, v[1:2]
	v_cmpx_le_i32_e64 s5, v3
	s_wait_alu 0xfffe
	s_xor_b32 s1, exec_lo, s1
	s_cbranch_execz .LBB12_10
; %bb.5:
	v_subrev_nc_u32_e32 v0, s5, v3
	s_delay_alu instid0(VALU_DEP_1) | instskip(NEXT) | instid1(VALU_DEP_1)
	v_add_nc_u32_e32 v3, s6, v0
	v_ashrrev_i32_e32 v4, 31, v3
	s_delay_alu instid0(VALU_DEP_1) | instskip(SKIP_1) | instid1(VALU_DEP_1)
	v_lshlrev_b64_e32 v[3:4], 3, v[3:4]
	s_wait_kmcnt 0x0
	v_add_co_u32 v3, s0, s2, v3
	s_wait_alu 0xf1ff
	s_delay_alu instid0(VALU_DEP_2)
	v_add_co_ci_u32_e64 v4, null, s3, v4, s0
	s_and_saveexec_b32 s0, vcc_lo
	s_wait_alu 0xfffe
	s_xor_b32 s0, exec_lo, s0
	s_cbranch_execz .LBB12_7
; %bb.6:
	global_load_b64 v[5:6], v[3:4], off
	s_wait_loadcnt 0x0
	v_mul_f64_e32 v[0:1], v[1:2], v[5:6]
	global_store_b64 v[3:4], v[0:1], off
                                        ; implicit-def: $vgpr3_vgpr4
.LBB12_7:
	s_wait_alu 0xfffe
	s_and_not1_saveexec_b32 s0, s0
	s_cbranch_execz .LBB12_9
; %bb.8:
	v_mov_b32_e32 v0, 0
	s_delay_alu instid0(VALU_DEP_1)
	v_mov_b32_e32 v1, v0
	global_store_b64 v[3:4], v[0:1], off
.LBB12_9:
	s_wait_alu 0xfffe
	s_or_b32 exec_lo, exec_lo, s0
                                        ; implicit-def: $vgpr3
                                        ; implicit-def: $vgpr1_vgpr2
.LBB12_10:
	s_wait_alu 0xfffe
	s_and_not1_saveexec_b32 s0, s1
	s_cbranch_execz .LBB12_15
; %bb.11:
	v_ashrrev_i32_e32 v4, 31, v3
	s_delay_alu instid0(VALU_DEP_1) | instskip(SKIP_1) | instid1(VALU_DEP_1)
	v_lshlrev_b64_e32 v[3:4], 3, v[3:4]
	s_wait_kmcnt 0x0
	v_add_co_u32 v3, s0, s2, v3
	s_wait_alu 0xf1fe
	s_delay_alu instid0(VALU_DEP_2)
	v_add_co_ci_u32_e64 v4, null, s3, v4, s0
	s_and_saveexec_b32 s0, vcc_lo
	s_wait_alu 0xfffe
	s_xor_b32 s0, exec_lo, s0
	s_cbranch_execz .LBB12_13
; %bb.12:
	global_load_b64 v[5:6], v[3:4], off
	s_wait_loadcnt 0x0
	v_mul_f64_e32 v[0:1], v[1:2], v[5:6]
	global_store_b64 v[3:4], v[0:1], off
                                        ; implicit-def: $vgpr3_vgpr4
.LBB12_13:
	s_wait_alu 0xfffe
	s_and_not1_saveexec_b32 s0, s0
	s_cbranch_execz .LBB12_15
; %bb.14:
	v_mov_b32_e32 v0, 0
	s_delay_alu instid0(VALU_DEP_1)
	v_mov_b32_e32 v1, v0
	global_store_b64 v[3:4], v[0:1], off
.LBB12_15:
	s_endpgm
	.section	.rodata,"a",@progbits
	.p2align	6, 0x0
	.amdhsa_kernel _ZN9rocsparseL22partial_scale_y_kernelIiddEEvT_S1_S1_NS_24const_host_device_scalarIT1_EEPT0_b
		.amdhsa_group_segment_fixed_size 0
		.amdhsa_private_segment_fixed_size 0
		.amdhsa_kernarg_size 36
		.amdhsa_user_sgpr_count 2
		.amdhsa_user_sgpr_dispatch_ptr 0
		.amdhsa_user_sgpr_queue_ptr 0
		.amdhsa_user_sgpr_kernarg_segment_ptr 1
		.amdhsa_user_sgpr_dispatch_id 0
		.amdhsa_user_sgpr_private_segment_size 0
		.amdhsa_wavefront_size32 1
		.amdhsa_uses_dynamic_stack 0
		.amdhsa_enable_private_segment 0
		.amdhsa_system_sgpr_workgroup_id_x 1
		.amdhsa_system_sgpr_workgroup_id_y 0
		.amdhsa_system_sgpr_workgroup_id_z 0
		.amdhsa_system_sgpr_workgroup_info 0
		.amdhsa_system_vgpr_workitem_id 0
		.amdhsa_next_free_vgpr 7
		.amdhsa_next_free_sgpr 7
		.amdhsa_reserve_vcc 1
		.amdhsa_float_round_mode_32 0
		.amdhsa_float_round_mode_16_64 0
		.amdhsa_float_denorm_mode_32 3
		.amdhsa_float_denorm_mode_16_64 3
		.amdhsa_fp16_overflow 0
		.amdhsa_workgroup_processor_mode 1
		.amdhsa_memory_ordered 1
		.amdhsa_forward_progress 1
		.amdhsa_inst_pref_size 4
		.amdhsa_round_robin_scheduling 0
		.amdhsa_exception_fp_ieee_invalid_op 0
		.amdhsa_exception_fp_denorm_src 0
		.amdhsa_exception_fp_ieee_div_zero 0
		.amdhsa_exception_fp_ieee_overflow 0
		.amdhsa_exception_fp_ieee_underflow 0
		.amdhsa_exception_fp_ieee_inexact 0
		.amdhsa_exception_int_div_zero 0
	.end_amdhsa_kernel
	.section	.text._ZN9rocsparseL22partial_scale_y_kernelIiddEEvT_S1_S1_NS_24const_host_device_scalarIT1_EEPT0_b,"axG",@progbits,_ZN9rocsparseL22partial_scale_y_kernelIiddEEvT_S1_S1_NS_24const_host_device_scalarIT1_EEPT0_b,comdat
.Lfunc_end12:
	.size	_ZN9rocsparseL22partial_scale_y_kernelIiddEEvT_S1_S1_NS_24const_host_device_scalarIT1_EEPT0_b, .Lfunc_end12-_ZN9rocsparseL22partial_scale_y_kernelIiddEEvT_S1_S1_NS_24const_host_device_scalarIT1_EEPT0_b
                                        ; -- End function
	.set _ZN9rocsparseL22partial_scale_y_kernelIiddEEvT_S1_S1_NS_24const_host_device_scalarIT1_EEPT0_b.num_vgpr, 7
	.set _ZN9rocsparseL22partial_scale_y_kernelIiddEEvT_S1_S1_NS_24const_host_device_scalarIT1_EEPT0_b.num_agpr, 0
	.set _ZN9rocsparseL22partial_scale_y_kernelIiddEEvT_S1_S1_NS_24const_host_device_scalarIT1_EEPT0_b.numbered_sgpr, 7
	.set _ZN9rocsparseL22partial_scale_y_kernelIiddEEvT_S1_S1_NS_24const_host_device_scalarIT1_EEPT0_b.num_named_barrier, 0
	.set _ZN9rocsparseL22partial_scale_y_kernelIiddEEvT_S1_S1_NS_24const_host_device_scalarIT1_EEPT0_b.private_seg_size, 0
	.set _ZN9rocsparseL22partial_scale_y_kernelIiddEEvT_S1_S1_NS_24const_host_device_scalarIT1_EEPT0_b.uses_vcc, 1
	.set _ZN9rocsparseL22partial_scale_y_kernelIiddEEvT_S1_S1_NS_24const_host_device_scalarIT1_EEPT0_b.uses_flat_scratch, 0
	.set _ZN9rocsparseL22partial_scale_y_kernelIiddEEvT_S1_S1_NS_24const_host_device_scalarIT1_EEPT0_b.has_dyn_sized_stack, 0
	.set _ZN9rocsparseL22partial_scale_y_kernelIiddEEvT_S1_S1_NS_24const_host_device_scalarIT1_EEPT0_b.has_recursion, 0
	.set _ZN9rocsparseL22partial_scale_y_kernelIiddEEvT_S1_S1_NS_24const_host_device_scalarIT1_EEPT0_b.has_indirect_call, 0
	.section	.AMDGPU.csdata,"",@progbits
; Kernel info:
; codeLenInByte = 456
; TotalNumSgprs: 9
; NumVgprs: 7
; ScratchSize: 0
; MemoryBound: 0
; FloatMode: 240
; IeeeMode: 1
; LDSByteSize: 0 bytes/workgroup (compile time only)
; SGPRBlocks: 0
; VGPRBlocks: 0
; NumSGPRsForWavesPerEU: 9
; NumVGPRsForWavesPerEU: 7
; Occupancy: 16
; WaveLimiterHint : 0
; COMPUTE_PGM_RSRC2:SCRATCH_EN: 0
; COMPUTE_PGM_RSRC2:USER_SGPR: 2
; COMPUTE_PGM_RSRC2:TRAP_HANDLER: 0
; COMPUTE_PGM_RSRC2:TGID_X_EN: 1
; COMPUTE_PGM_RSRC2:TGID_Y_EN: 0
; COMPUTE_PGM_RSRC2:TGID_Z_EN: 0
; COMPUTE_PGM_RSRC2:TIDIG_COMP_CNT: 0
	.section	.text._ZN9rocsparseL27csrmvn_symm_adaptive_kernelIiiddddEEvbT_S1_PKS1_NS_24const_host_device_scalarIT4_EES3_PKT0_PKT1_PKT2_S6_PT3_21rocsparse_index_base_b,"axG",@progbits,_ZN9rocsparseL27csrmvn_symm_adaptive_kernelIiiddddEEvbT_S1_PKS1_NS_24const_host_device_scalarIT4_EES3_PKT0_PKT1_PKT2_S6_PT3_21rocsparse_index_base_b,comdat
	.globl	_ZN9rocsparseL27csrmvn_symm_adaptive_kernelIiiddddEEvbT_S1_PKS1_NS_24const_host_device_scalarIT4_EES3_PKT0_PKT1_PKT2_S6_PT3_21rocsparse_index_base_b ; -- Begin function _ZN9rocsparseL27csrmvn_symm_adaptive_kernelIiiddddEEvbT_S1_PKS1_NS_24const_host_device_scalarIT4_EES3_PKT0_PKT1_PKT2_S6_PT3_21rocsparse_index_base_b
	.p2align	8
	.type	_ZN9rocsparseL27csrmvn_symm_adaptive_kernelIiiddddEEvbT_S1_PKS1_NS_24const_host_device_scalarIT4_EES3_PKT0_PKT1_PKT2_S6_PT3_21rocsparse_index_base_b,@function
_ZN9rocsparseL27csrmvn_symm_adaptive_kernelIiiddddEEvbT_S1_PKS1_NS_24const_host_device_scalarIT4_EES3_PKT0_PKT1_PKT2_S6_PT3_21rocsparse_index_base_b: ; @_ZN9rocsparseL27csrmvn_symm_adaptive_kernelIiiddddEEvbT_S1_PKS1_NS_24const_host_device_scalarIT4_EES3_PKT0_PKT1_PKT2_S6_PT3_21rocsparse_index_base_b
; %bb.0:
	s_clause 0x2
	s_load_b64 s[20:21], s[0:1], 0x50
	s_load_b64 s[4:5], s[0:1], 0x18
	;; [unrolled: 1-line block ×3, first 2 shown]
	s_wait_kmcnt 0x0
	s_bitcmp1_b32 s21, 0
	v_dual_mov_b32 v8, s5 :: v_dual_mov_b32 v7, s4
	s_cselect_b32 s6, -1, 0
	s_delay_alu instid0(SALU_CYCLE_1)
	s_and_b32 vcc_lo, exec_lo, s6
	s_xor_b32 s6, s6, -1
	s_cbranch_vccnz .LBB13_2
; %bb.1:
	v_dual_mov_b32 v1, s4 :: v_dual_mov_b32 v2, s5
	flat_load_b64 v[7:8], v[1:2]
.LBB13_2:
	v_dual_mov_b32 v1, s2 :: v_dual_mov_b32 v2, s3
	s_and_not1_b32 vcc_lo, exec_lo, s6
	s_cbranch_vccnz .LBB13_4
; %bb.3:
	v_dual_mov_b32 v1, s2 :: v_dual_mov_b32 v2, s3
	flat_load_b64 v[1:2], v[1:2]
.LBB13_4:
	s_wait_loadcnt_dscnt 0x0
	v_cmp_neq_f64_e32 vcc_lo, 0, v[7:8]
	v_cmp_neq_f64_e64 s2, 1.0, v[1:2]
	s_or_b32 s2, vcc_lo, s2
	s_wait_alu 0xfffe
	s_and_saveexec_b32 s3, s2
	s_cbranch_execz .LBB13_171
; %bb.5:
	s_load_b64 s[4:5], s[0:1], 0x10
	s_mov_b32 s6, 0
	s_mov_b32 s2, ttmp9
	s_mov_b32 s7, s6
	v_dual_mov_b32 v1, s6 :: v_dual_lshlrev_b32 v16, 3, v0
	s_ashr_i32 s3, ttmp9, 31
	v_mov_b32_e32 v2, s7
	s_wait_alu 0xfffe
	s_lshl_b64 s[2:3], s[2:3], 2
	ds_store_2addr_stride64_b64 v16, v[1:2], v[1:2] offset1:4
	ds_store_2addr_stride64_b64 v16, v[1:2], v[1:2] offset0:8 offset1:12
	s_wait_dscnt 0x0
	s_barrier_signal -1
	s_barrier_wait -1
	global_inv scope:SCOPE_SE
	v_subrev_nc_u32_e32 v13, s20, v0
	s_wait_kmcnt 0x0
	s_wait_alu 0xfffe
	s_add_nc_u64 s[2:3], s[4:5], s[2:3]
	s_load_b64 s[18:19], s[2:3], 0x0
	s_clause 0x1
	s_load_b256 s[8:15], s[0:1], 0x20
	s_load_b64 s[16:17], s[0:1], 0x48
	s_mov_b32 s2, -1
	s_wait_kmcnt 0x0
	s_sub_co_i32 s21, s19, s18
	s_wait_alu 0xfffe
	s_cmp_gt_i32 s21, 2
	s_cbranch_scc1 .LBB13_39
; %bb.6:
	s_cmp_le_i32 s19, s18
	s_cbranch_scc1 .LBB13_28
; %bb.7:
	v_cmp_gt_u32_e64 s2, 16, v0
	v_cmp_gt_u32_e64 s3, 4, v0
	v_cmp_eq_u32_e64 s4, 0, v0
	v_mov_b32_e32 v11, 0
	s_mov_b32 s22, s18
	v_cmp_gt_u32_e32 vcc_lo, 64, v0
	s_branch .LBB13_9
.LBB13_8:                               ;   in Loop: Header=BB13_9 Depth=1
	s_wait_alu 0xfffe
	s_or_b32 exec_lo, exec_lo, s24
	s_add_co_i32 s22, s22, 1
	s_delay_alu instid0(SALU_CYCLE_1)
	s_cmp_ge_i32 s22, s19
	s_cbranch_scc1 .LBB13_28
.LBB13_9:                               ; =>This Loop Header: Depth=1
                                        ;     Child Loop BB13_11 Depth 2
                                        ;     Child Loop BB13_23 Depth 2
	;; [unrolled: 1-line block ×3, first 2 shown]
	s_ashr_i32 s23, s22, 31
	v_mov_b32_e32 v3, 0
	s_lshl_b64 s[6:7], s[22:23], 2
	v_mov_b32_e32 v4, 0
	s_wait_alu 0xfffe
	s_add_nc_u64 s[6:7], s[8:9], s[6:7]
	s_load_b64 s[6:7], s[6:7], 0x0
	s_wait_kmcnt 0x0
	v_add_nc_u32_e32 v1, s6, v13
	s_sub_co_i32 s24, s7, s20
	s_mov_b32 s7, exec_lo
	s_wait_alu 0xfffe
	s_delay_alu instid0(VALU_DEP_1)
	v_cmpx_gt_i32_e64 s24, v1
	s_cbranch_execz .LBB13_13
; %bb.10:                               ;   in Loop: Header=BB13_9 Depth=1
	v_ashrrev_i32_e32 v2, 31, v1
	v_mov_b32_e32 v3, 0
	v_mov_b32_e32 v4, 0
	s_mov_b32 s25, 0
	s_delay_alu instid0(VALU_DEP_3) | instskip(SKIP_1) | instid1(VALU_DEP_2)
	v_lshlrev_b64_e32 v[5:6], 2, v[1:2]
	v_lshlrev_b64_e32 v[9:10], 3, v[1:2]
	v_add_co_u32 v5, s5, s10, v5
	s_wait_alu 0xf1ff
	s_delay_alu instid0(VALU_DEP_3) | instskip(NEXT) | instid1(VALU_DEP_3)
	v_add_co_ci_u32_e64 v6, null, s11, v6, s5
	v_add_co_u32 v9, s5, s12, v9
	s_wait_alu 0xf1ff
	v_add_co_ci_u32_e64 v10, null, s13, v10, s5
.LBB13_11:                              ;   Parent Loop BB13_9 Depth=1
                                        ; =>  This Inner Loop Header: Depth=2
	global_load_b32 v2, v[5:6], off
	v_add_nc_u32_e32 v1, 0x100, v1
	s_wait_loadcnt 0x0
	v_subrev_nc_u32_e32 v14, s20, v2
	s_delay_alu instid0(VALU_DEP_1) | instskip(NEXT) | instid1(VALU_DEP_1)
	v_ashrrev_i32_e32 v15, 31, v14
	v_lshlrev_b64_e32 v[14:15], 3, v[14:15]
	s_delay_alu instid0(VALU_DEP_1) | instskip(SKIP_1) | instid1(VALU_DEP_2)
	v_add_co_u32 v14, s5, s14, v14
	s_wait_alu 0xf1ff
	v_add_co_ci_u32_e64 v15, null, s15, v15, s5
	v_add_co_u32 v5, s5, 0x400, v5
	global_load_b64 v[17:18], v[9:10], off
	global_load_b64 v[14:15], v[14:15], off
	s_wait_alu 0xf1ff
	v_add_co_ci_u32_e64 v6, null, 0, v6, s5
	v_cmp_le_i32_e64 s5, s24, v1
	v_add_co_u32 v9, s6, 0x800, v9
	s_wait_alu 0xf1ff
	v_add_co_ci_u32_e64 v10, null, 0, v10, s6
	s_wait_alu 0xfffe
	s_or_b32 s25, s5, s25
	s_wait_loadcnt 0x0
	v_fma_f64 v[3:4], v[17:18], v[14:15], v[3:4]
	s_wait_alu 0xfffe
	s_and_not1_b32 exec_lo, exec_lo, s25
	s_cbranch_execnz .LBB13_11
; %bb.12:                               ;   in Loop: Header=BB13_9 Depth=1
	s_or_b32 exec_lo, exec_lo, s25
.LBB13_13:                              ;   in Loop: Header=BB13_9 Depth=1
	s_wait_alu 0xfffe
	s_or_b32 exec_lo, exec_lo, s7
	ds_store_b64 v16, v[3:4]
	s_wait_loadcnt_dscnt 0x0
	s_barrier_signal -1
	s_barrier_wait -1
	global_inv scope:SCOPE_SE
	ds_load_2addr_stride64_b64 v[1:4], v16 offset1:4
	ds_load_2addr_stride64_b64 v[17:20], v16 offset0:8 offset1:12
	s_wait_dscnt 0x0
	v_add_f64_e32 v[3:4], v[3:4], v[17:18]
	s_delay_alu instid0(VALU_DEP_1) | instskip(NEXT) | instid1(VALU_DEP_1)
	v_add_f64_e32 v[3:4], v[3:4], v[19:20]
	v_add_f64_e32 v[1:2], v[1:2], v[3:4]
	ds_store_b64 v16, v[1:2]
	s_wait_loadcnt_dscnt 0x0
	s_barrier_signal -1
	s_barrier_wait -1
	global_inv scope:SCOPE_SE
	s_and_saveexec_b32 s5, vcc_lo
	s_cbranch_execz .LBB13_15
; %bb.14:                               ;   in Loop: Header=BB13_9 Depth=1
	ds_load_2addr_stride64_b64 v[1:4], v16 offset1:1
	ds_load_2addr_stride64_b64 v[17:20], v16 offset0:2 offset1:3
	s_wait_dscnt 0x0
	v_add_f64_e32 v[3:4], v[3:4], v[17:18]
	s_delay_alu instid0(VALU_DEP_1) | instskip(NEXT) | instid1(VALU_DEP_1)
	v_add_f64_e32 v[3:4], v[3:4], v[19:20]
	v_add_f64_e32 v[1:2], v[1:2], v[3:4]
	ds_store_b64 v16, v[1:2]
.LBB13_15:                              ;   in Loop: Header=BB13_9 Depth=1
	s_wait_alu 0xfffe
	s_or_b32 exec_lo, exec_lo, s5
	s_wait_loadcnt_dscnt 0x0
	s_barrier_signal -1
	s_barrier_wait -1
	global_inv scope:SCOPE_SE
	s_and_saveexec_b32 s5, s2
	s_cbranch_execz .LBB13_17
; %bb.16:                               ;   in Loop: Header=BB13_9 Depth=1
	ds_load_2addr_b64 v[1:4], v16 offset1:16
	ds_load_2addr_b64 v[17:20], v16 offset0:32 offset1:48
	s_wait_dscnt 0x0
	v_add_f64_e32 v[3:4], v[3:4], v[17:18]
	s_delay_alu instid0(VALU_DEP_1) | instskip(NEXT) | instid1(VALU_DEP_1)
	v_add_f64_e32 v[3:4], v[3:4], v[19:20]
	v_add_f64_e32 v[1:2], v[1:2], v[3:4]
	ds_store_b64 v16, v[1:2]
.LBB13_17:                              ;   in Loop: Header=BB13_9 Depth=1
	s_wait_alu 0xfffe
	s_or_b32 exec_lo, exec_lo, s5
	s_wait_loadcnt_dscnt 0x0
	s_barrier_signal -1
	s_barrier_wait -1
	global_inv scope:SCOPE_SE
	s_and_saveexec_b32 s5, s3
	s_cbranch_execz .LBB13_19
; %bb.18:                               ;   in Loop: Header=BB13_9 Depth=1
	ds_load_2addr_b64 v[1:4], v16 offset1:4
	ds_load_2addr_b64 v[17:20], v16 offset0:8 offset1:12
	s_wait_dscnt 0x0
	v_add_f64_e32 v[3:4], v[3:4], v[17:18]
	s_delay_alu instid0(VALU_DEP_1) | instskip(NEXT) | instid1(VALU_DEP_1)
	v_add_f64_e32 v[3:4], v[3:4], v[19:20]
	v_add_f64_e32 v[1:2], v[1:2], v[3:4]
	ds_store_b64 v16, v[1:2]
.LBB13_19:                              ;   in Loop: Header=BB13_9 Depth=1
	s_wait_alu 0xfffe
	s_or_b32 exec_lo, exec_lo, s5
	s_wait_loadcnt_dscnt 0x0
	s_barrier_signal -1
	s_barrier_wait -1
	global_inv scope:SCOPE_SE
	s_and_saveexec_b32 s5, s4
	s_cbranch_execz .LBB13_21
; %bb.20:                               ;   in Loop: Header=BB13_9 Depth=1
	ds_load_2addr_b64 v[1:4], v11 offset0:1 offset1:2
	ds_load_b64 v[5:6], v16
	s_wait_dscnt 0x1
	v_add_f64_e32 v[1:2], v[1:2], v[3:4]
	ds_load_b64 v[3:4], v11 offset:24
	s_wait_dscnt 0x0
	v_add_f64_e32 v[1:2], v[1:2], v[3:4]
	s_delay_alu instid0(VALU_DEP_1)
	v_add_f64_e32 v[1:2], v[5:6], v[1:2]
	ds_store_b64 v16, v[1:2]
.LBB13_21:                              ;   in Loop: Header=BB13_9 Depth=1
	s_wait_alu 0xfffe
	s_or_b32 exec_lo, exec_lo, s5
	s_wait_loadcnt_dscnt 0x0
	s_barrier_signal -1
	s_barrier_wait -1
	global_inv scope:SCOPE_SE
	s_and_saveexec_b32 s24, s4
	s_cbranch_execz .LBB13_8
; %bb.22:                               ;   in Loop: Header=BB13_9 Depth=1
	ds_load_b64 v[1:2], v11
	v_mov_b32_e32 v5, 0
	v_bfrev_b32_e32 v6, 1
	s_mov_b32 s5, exec_lo
	s_wait_dscnt 0x0
	v_mul_f64_e32 v[1:2], v[7:8], v[1:2]
.LBB13_23:                              ;   Parent Loop BB13_9 Depth=1
                                        ; =>  This Inner Loop Header: Depth=2
	s_wait_alu 0xfffe
	s_ctz_i32_b32 s25, s5
	s_wait_alu 0xfffe
	s_delay_alu instid0(VALU_DEP_1) | instskip(NEXT) | instid1(VALU_DEP_2)
	v_readlane_b32 s7, v2, s25
	v_readlane_b32 s6, v1, s25
	s_wait_alu 0xf1ff
	s_delay_alu instid0(VALU_DEP_1)
	v_add_f64_e32 v[5:6], s[6:7], v[5:6]
	s_lshl_b32 s6, 1, s25
	s_wait_alu 0xfffe
	s_and_not1_b32 s5, s5, s6
	s_wait_alu 0xfffe
	s_cmp_lg_u32 s5, 0
	s_cbranch_scc1 .LBB13_23
; %bb.24:                               ;   in Loop: Header=BB13_9 Depth=1
	v_mbcnt_lo_u32_b32 v1, exec_lo, 0
	s_mov_b32 s6, exec_lo
	s_delay_alu instid0(VALU_DEP_1)
	v_cmpx_eq_u32_e32 0, v1
	s_wait_alu 0xfffe
	s_xor_b32 s6, exec_lo, s6
	s_cbranch_execz .LBB13_8
; %bb.25:                               ;   in Loop: Header=BB13_9 Depth=1
	s_lshl_b64 s[6:7], s[22:23], 3
	s_mov_b32 s23, 0
	s_wait_alu 0xfffe
	s_add_nc_u64 s[6:7], s[16:17], s[6:7]
	global_load_b64 v[3:4], v11, s[6:7]
.LBB13_26:                              ;   Parent Loop BB13_9 Depth=1
                                        ; =>  This Inner Loop Header: Depth=2
	s_wait_loadcnt 0x0
	v_add_f64_e32 v[1:2], v[3:4], v[5:6]
	global_atomic_cmpswap_b64 v[1:2], v11, v[1:4], s[6:7] th:TH_ATOMIC_RETURN scope:SCOPE_DEV
	s_wait_loadcnt 0x0
	v_cmp_eq_u64_e64 s5, v[1:2], v[3:4]
	v_dual_mov_b32 v4, v2 :: v_dual_mov_b32 v3, v1
	s_or_b32 s23, s5, s23
	s_delay_alu instid0(SALU_CYCLE_1)
	s_and_not1_b32 exec_lo, exec_lo, s23
	s_cbranch_execnz .LBB13_26
; %bb.27:                               ;   in Loop: Header=BB13_9 Depth=1
	s_or_b32 exec_lo, exec_lo, s23
	s_branch .LBB13_8
.LBB13_28:
	s_ashr_i32 s3, s18, 31
	s_mov_b32 s2, s18
	s_ashr_i32 s5, s19, 31
	s_wait_alu 0xfffe
	s_lshl_b64 s[2:3], s[2:3], 2
	s_mov_b32 s4, s19
	s_wait_alu 0xfffe
	s_add_nc_u64 s[2:3], s[8:9], s[2:3]
	s_lshl_b64 s[4:5], s[4:5], 2
	s_load_b32 s6, s[2:3], 0x0
	s_add_nc_u64 s[2:3], s[8:9], s[4:5]
	s_mov_b32 s4, exec_lo
	s_load_b32 s2, s[2:3], 0x0
	s_wait_kmcnt 0x0
	v_add_nc_u32_e32 v5, s6, v13
	s_sub_co_i32 s3, s2, s20
	s_wait_alu 0xfffe
	s_delay_alu instid0(VALU_DEP_1)
	v_cmpx_gt_i32_e64 s3, v5
	s_cbranch_execz .LBB13_38
; %bb.29:
	s_add_co_i32 s5, s19, -1
	s_mov_b32 s7, 0
	s_wait_alu 0xfffe
	s_cmp_lt_i32 s18, s5
	s_cselect_b32 s2, -1, 0
	s_add_co_i32 s6, s19, -2
	s_wait_alu 0xfffe
	s_cmp_lg_u32 s18, s6
	s_cselect_b32 s6, -1, 0
	s_wait_alu 0xfffe
	s_and_b32 s6, s2, s6
	s_branch .LBB13_31
.LBB13_30:                              ;   in Loop: Header=BB13_31 Depth=1
	s_wait_alu 0xfffe
	s_or_b32 exec_lo, exec_lo, s2
	v_add_nc_u32_e32 v5, 0x100, v5
	s_delay_alu instid0(VALU_DEP_1)
	v_cmp_le_i32_e32 vcc_lo, s3, v5
	s_or_b32 s7, vcc_lo, s7
	s_wait_alu 0xfffe
	s_and_not1_b32 exec_lo, exec_lo, s7
	s_cbranch_execz .LBB13_38
.LBB13_31:                              ; =>This Loop Header: Depth=1
                                        ;     Child Loop BB13_33 Depth 2
                                        ;     Child Loop BB13_37 Depth 2
	v_mov_b32_e32 v3, s18
	v_mov_b32_e32 v1, s5
	s_wait_alu 0xfffe
	s_and_not1_b32 vcc_lo, exec_lo, s6
	s_wait_alu 0xfffe
	s_cbranch_vccnz .LBB13_35
; %bb.32:                               ;   in Loop: Header=BB13_31 Depth=1
	v_mov_b32_e32 v3, s18
	v_mov_b32_e32 v1, s5
	s_mov_b32 s22, 0
.LBB13_33:                              ;   Parent Loop BB13_31 Depth=1
                                        ; =>  This Inner Loop Header: Depth=2
	s_delay_alu instid0(VALU_DEP_1) | instskip(NEXT) | instid1(VALU_DEP_1)
	v_add_nc_u32_e32 v2, v1, v3
	v_lshrrev_b32_e32 v4, 31, v2
	s_delay_alu instid0(VALU_DEP_1) | instskip(NEXT) | instid1(VALU_DEP_1)
	v_add_nc_u32_e32 v2, v2, v4
	v_ashrrev_i32_e32 v9, 1, v2
	s_delay_alu instid0(VALU_DEP_1) | instskip(NEXT) | instid1(VALU_DEP_1)
	v_ashrrev_i32_e32 v10, 31, v9
	v_lshlrev_b64_e32 v[10:11], 2, v[9:10]
	s_delay_alu instid0(VALU_DEP_1) | instskip(SKIP_1) | instid1(VALU_DEP_2)
	v_add_co_u32 v10, vcc_lo, s8, v10
	s_wait_alu 0xfffd
	v_add_co_ci_u32_e64 v11, null, s9, v11, vcc_lo
	global_load_b32 v2, v[10:11], off
	s_wait_loadcnt 0x0
	v_subrev_nc_u32_e32 v2, s20, v2
	s_delay_alu instid0(VALU_DEP_1) | instskip(SKIP_2) | instid1(VALU_DEP_1)
	v_cmp_lt_i32_e32 vcc_lo, v5, v2
	s_wait_alu 0xfffd
	v_cndmask_b32_e32 v1, v1, v9, vcc_lo
	v_dual_cndmask_b32 v3, v9, v3 :: v_dual_add_nc_u32 v2, -1, v1
	s_delay_alu instid0(VALU_DEP_1) | instskip(NEXT) | instid1(VALU_DEP_2)
	v_cmp_ge_i32_e32 vcc_lo, v3, v1
	v_cmp_eq_u32_e64 s2, v3, v2
	s_or_b32 s2, vcc_lo, s2
	s_wait_alu 0xfffe
	s_and_b32 s2, exec_lo, s2
	s_wait_alu 0xfffe
	s_or_b32 s22, s2, s22
	s_delay_alu instid0(SALU_CYCLE_1)
	s_and_not1_b32 exec_lo, exec_lo, s22
	s_cbranch_execnz .LBB13_33
; %bb.34:                               ;   in Loop: Header=BB13_31 Depth=1
	s_or_b32 exec_lo, exec_lo, s22
.LBB13_35:                              ;   in Loop: Header=BB13_31 Depth=1
	v_ashrrev_i32_e32 v2, 31, v1
	v_ashrrev_i32_e32 v6, 31, v5
	s_mov_b32 s2, exec_lo
	s_delay_alu instid0(VALU_DEP_2) | instskip(NEXT) | instid1(VALU_DEP_2)
	v_lshlrev_b64_e32 v[9:10], 2, v[1:2]
	v_lshlrev_b64_e32 v[11:12], 2, v[5:6]
	s_delay_alu instid0(VALU_DEP_2) | instskip(SKIP_1) | instid1(VALU_DEP_3)
	v_add_co_u32 v9, vcc_lo, s8, v9
	s_wait_alu 0xfffd
	v_add_co_ci_u32_e64 v10, null, s9, v10, vcc_lo
	global_load_b32 v2, v[9:10], off
	v_add_co_u32 v9, vcc_lo, s10, v11
	s_wait_alu 0xfffd
	v_add_co_ci_u32_e64 v10, null, s11, v12, vcc_lo
	global_load_b32 v4, v[9:10], off
	s_wait_loadcnt 0x1
	v_subrev_nc_u32_e32 v2, s20, v2
	s_delay_alu instid0(VALU_DEP_1) | instskip(SKIP_4) | instid1(VALU_DEP_1)
	v_cmp_lt_i32_e32 vcc_lo, v5, v2
	s_wait_alu 0xfffd
	v_cndmask_b32_e32 v2, v1, v3, vcc_lo
	s_wait_loadcnt 0x0
	v_subrev_nc_u32_e32 v1, s20, v4
	v_cmpx_ne_u32_e64 v1, v2
	s_cbranch_execz .LBB13_30
; %bb.36:                               ;   in Loop: Header=BB13_31 Depth=1
	v_lshlrev_b64_e32 v[3:4], 3, v[5:6]
	s_mov_b32 s22, 0
	s_delay_alu instid0(VALU_DEP_1) | instskip(SKIP_1) | instid1(VALU_DEP_2)
	v_add_co_u32 v3, vcc_lo, s12, v3
	s_wait_alu 0xfffd
	v_add_co_ci_u32_e64 v4, null, s13, v4, vcc_lo
	global_load_b64 v[11:12], v[3:4], off
	v_ashrrev_i32_e32 v3, 31, v2
	s_delay_alu instid0(VALU_DEP_1) | instskip(NEXT) | instid1(VALU_DEP_1)
	v_lshlrev_b64_e32 v[2:3], 3, v[2:3]
	v_add_co_u32 v2, vcc_lo, s14, v2
	s_wait_alu 0xfffd
	s_delay_alu instid0(VALU_DEP_2) | instskip(SKIP_2) | instid1(VALU_DEP_1)
	v_add_co_ci_u32_e64 v3, null, s15, v3, vcc_lo
	global_load_b64 v[14:15], v[2:3], off
	v_ashrrev_i32_e32 v2, 31, v1
	v_lshlrev_b64_e32 v[1:2], 3, v[1:2]
	s_delay_alu instid0(VALU_DEP_1) | instskip(SKIP_1) | instid1(VALU_DEP_2)
	v_add_co_u32 v9, vcc_lo, s16, v1
	s_wait_alu 0xfffd
	v_add_co_ci_u32_e64 v10, null, s17, v2, vcc_lo
	global_load_b64 v[3:4], v[9:10], off
	s_wait_loadcnt 0x2
	v_mul_f64_e32 v[1:2], v[7:8], v[11:12]
	s_wait_loadcnt 0x1
	s_delay_alu instid0(VALU_DEP_1)
	v_mul_f64_e32 v[11:12], v[1:2], v[14:15]
.LBB13_37:                              ;   Parent Loop BB13_31 Depth=1
                                        ; =>  This Inner Loop Header: Depth=2
	s_wait_loadcnt 0x0
	s_delay_alu instid0(VALU_DEP_1)
	v_add_f64_e32 v[1:2], v[3:4], v[11:12]
	global_atomic_cmpswap_b64 v[1:2], v[9:10], v[1:4], off th:TH_ATOMIC_RETURN scope:SCOPE_DEV
	s_wait_loadcnt 0x0
	v_cmp_eq_u64_e32 vcc_lo, v[1:2], v[3:4]
	v_dual_mov_b32 v4, v2 :: v_dual_mov_b32 v3, v1
	s_or_b32 s22, vcc_lo, s22
	s_delay_alu instid0(SALU_CYCLE_1)
	s_and_not1_b32 exec_lo, exec_lo, s22
	s_cbranch_execnz .LBB13_37
	s_branch .LBB13_30
.LBB13_38:
	s_or_b32 exec_lo, exec_lo, s4
	s_mov_b32 s2, 0
.LBB13_39:
	s_wait_alu 0xfffe
	s_and_b32 vcc_lo, exec_lo, s2
	s_wait_alu 0xfffe
	s_cbranch_vccz .LBB13_171
; %bb.40:
	s_ashr_i32 s3, s18, 31
	s_mov_b32 s2, s18
	s_cvt_f32_u32 s4, s21
	s_wait_alu 0xfffe
	s_lshl_b64 s[2:3], s[2:3], 2
	s_mov_b32 s5, 0
	s_wait_alu 0xfffe
	s_add_nc_u64 s[2:3], s[8:9], s[2:3]
	v_rcp_iflag_f32_e32 v1, s4
	s_load_b32 s24, s[2:3], 0x0
	s_clause 0x1
	s_load_b64 s[6:7], s[0:1], 0x4
	s_load_b32 s1, s[0:1], 0x64
	s_delay_alu instid0(TRANS32_DEP_1) | instskip(SKIP_1) | instid1(SALU_CYCLE_3)
	v_readfirstlane_b32 s0, v1
	s_mul_f32 s0, s0, 0x4f7ffffe
	s_cvt_u32_f32 s22, s0
	s_sub_co_i32 s0, 0, s21
	s_wait_kmcnt 0x0
	v_add_nc_u32_e32 v5, s24, v13
	s_mul_i32 s0, s0, s22
	s_delay_alu instid0(VALU_DEP_1) | instskip(NEXT) | instid1(VALU_DEP_1)
	v_add_nc_u32_e32 v17, 0x300, v5
	v_cmp_le_i32_e32 vcc_lo, s6, v17
	s_mul_hi_u32 s6, s22, s0
	s_and_saveexec_b32 s0, vcc_lo
	s_delay_alu instid0(SALU_CYCLE_1)
	s_xor_b32 s4, exec_lo, s0
	s_cbranch_execz .LBB13_45
; %bb.41:
	s_ashr_i32 s27, s19, 31
	s_mov_b32 s26, s19
	s_mov_b32 s25, exec_lo
	s_lshl_b64 s[26:27], s[26:27], 2
	s_delay_alu instid0(SALU_CYCLE_1) | instskip(SKIP_3) | instid1(SALU_CYCLE_1)
	s_add_nc_u64 s[26:27], s[8:9], s[26:27]
	s_load_b32 s0, s[26:27], 0x0
	s_wait_kmcnt 0x0
	s_sub_co_i32 s23, s0, s24
	v_cmpx_gt_i32_e64 s23, v0
	s_cbranch_execz .LBB13_44
; %bb.42:
	v_dual_mov_b32 v1, v16 :: v_dual_mov_b32 v2, v0
	s_sub_co_i32 s26, s24, s20
	s_mov_b32 s27, 0
.LBB13_43:                              ; =>This Inner Loop Header: Depth=1
	s_delay_alu instid0(VALU_DEP_1) | instskip(SKIP_1) | instid1(VALU_DEP_2)
	v_add_nc_u32_e32 v3, s26, v2
	v_add_nc_u32_e32 v2, 0x100, v2
	v_ashrrev_i32_e32 v4, 31, v3
	s_delay_alu instid0(VALU_DEP_1) | instskip(NEXT) | instid1(VALU_DEP_1)
	v_lshlrev_b64_e32 v[3:4], 3, v[3:4]
	v_add_co_u32 v3, s0, s12, v3
	s_wait_alu 0xf1ff
	s_delay_alu instid0(VALU_DEP_2)
	v_add_co_ci_u32_e64 v4, null, s13, v4, s0
	v_cmp_le_i32_e64 s0, s23, v2
	global_load_b64 v[3:4], v[3:4], off
	s_or_b32 s27, s0, s27
	s_wait_loadcnt 0x0
	v_mul_f64_e32 v[3:4], v[7:8], v[3:4]
	ds_store_b64 v1, v[3:4]
	v_add_nc_u32_e32 v1, 0x800, v1
	s_wait_alu 0xfffe
	s_and_not1_b32 exec_lo, exec_lo, s27
	s_cbranch_execnz .LBB13_43
.LBB13_44:
	s_or_b32 exec_lo, exec_lo, s25
                                        ; implicit-def: $vgpr7_vgpr8
.LBB13_45:
	s_wait_alu 0xfffe
	s_or_saveexec_b32 s23, s4
	v_ashrrev_i32_e32 v6, 31, v5
	s_and_b32 s4, s1, 0xffff
	s_add_co_i32 s22, s22, s6
	s_wait_alu 0xfffe
	s_xor_b32 exec_lo, exec_lo, s23
	s_cbranch_execz .LBB13_47
; %bb.46:
	v_lshlrev_b64_e32 v[1:2], 3, v[5:6]
	s_delay_alu instid0(VALU_DEP_1) | instskip(SKIP_1) | instid1(VALU_DEP_2)
	v_add_co_u32 v1, s0, s12, v1
	s_wait_alu 0xf1ff
	v_add_co_ci_u32_e64 v2, null, s13, v2, s0
	s_clause 0x3
	global_load_b64 v[3:4], v[1:2], off
	global_load_b64 v[9:10], v[1:2], off offset:2048
	global_load_b64 v[11:12], v[1:2], off offset:4096
	global_load_b64 v[1:2], v[1:2], off offset:6144
	s_wait_loadcnt 0x3
	v_mul_f64_e32 v[3:4], v[7:8], v[3:4]
	s_wait_loadcnt 0x2
	v_mul_f64_e32 v[9:10], v[7:8], v[9:10]
	;; [unrolled: 2-line block ×4, first 2 shown]
	ds_store_2addr_stride64_b64 v16, v[3:4], v[9:10] offset1:4
	ds_store_2addr_stride64_b64 v16, v[11:12], v[1:2] offset0:8 offset1:12
.LBB13_47:
	s_or_b32 exec_lo, exec_lo, s23
	s_mov_b32 s23, s5
	s_mov_b32 s1, exec_lo
	v_cmpx_gt_i32_e64 s7, v0
	s_cbranch_execz .LBB13_50
; %bb.48:
	v_dual_mov_b32 v1, 0 :: v_dual_mov_b32 v4, v0
	v_lshl_add_u32 v3, v0, 3, 0x2000
	s_mov_b32 s6, 0
	s_delay_alu instid0(VALU_DEP_2)
	v_mov_b32_e32 v2, v1
.LBB13_49:                              ; =>This Inner Loop Header: Depth=1
	s_delay_alu instid0(VALU_DEP_3)
	v_add_nc_u32_e32 v4, 0x100, v4
	ds_store_b64 v3, v[1:2]
	v_add_nc_u32_e32 v3, 0x800, v3
	v_cmp_le_i32_e64 s0, s7, v4
	s_wait_alu 0xfffe
	s_or_b32 s6, s0, s6
	s_wait_alu 0xfffe
	s_and_not1_b32 exec_lo, exec_lo, s6
	s_cbranch_execnz .LBB13_49
.LBB13_50:
	s_wait_alu 0xfffe
	s_or_b32 exec_lo, exec_lo, s1
	s_mul_u64 s[0:1], s[4:5], s[22:23]
	s_sub_co_i32 s0, s19, s7
	s_cmp_ge_i32 s19, s7
	s_wait_loadcnt_dscnt 0x0
	s_wait_alu 0xfffe
	s_cselect_b32 s5, s0, 0
	s_barrier_signal -1
	s_barrier_wait -1
	global_inv scope:SCOPE_SE
	s_and_saveexec_b32 s0, vcc_lo
	s_wait_alu 0xfffe
	s_xor_b32 s6, exec_lo, s0
	s_cbranch_execz .LBB13_71
; %bb.51:
	s_ashr_i32 s13, s19, 31
	s_mov_b32 s12, s19
	s_wait_alu 0xfffe
	s_lshl_b64 s[12:13], s[12:13], 2
	s_wait_alu 0xfffe
	s_add_nc_u64 s[12:13], s[8:9], s[12:13]
	s_load_b32 s0, s[12:13], 0x0
	s_mov_b32 s13, exec_lo
	s_wait_kmcnt 0x0
	s_sub_co_i32 s12, s0, s24
	s_wait_alu 0xfffe
	v_cmpx_gt_i32_e64 s12, v0
	s_cbranch_execz .LBB13_70
; %bb.52:
	s_add_co_i32 s23, s19, -2
	s_add_co_i32 s22, s19, -1
	s_wait_alu 0xfffe
	s_cmp_lg_u32 s18, s23
	s_mov_b32 s26, 0
	s_cselect_b32 s23, -1, 0
	s_sub_co_i32 s25, s0, s20
	s_mov_b32 s27, 0
	s_branch .LBB13_55
.LBB13_53:                              ;   in Loop: Header=BB13_55 Depth=1
	s_wait_alu 0xfffe
	s_or_b32 exec_lo, exec_lo, s0
.LBB13_54:                              ;   in Loop: Header=BB13_55 Depth=1
	s_delay_alu instid0(SALU_CYCLE_1) | instskip(SKIP_4) | instid1(VALU_DEP_2)
	s_or_b32 exec_lo, exec_lo, s28
	v_ashrrev_i32_e32 v7, 31, v6
	s_addk_co_i32 s27, 0x100
	s_wait_alu 0xfffe
	v_add_nc_u32_e32 v3, s27, v0
	v_lshlrev_b64_e32 v[1:2], 3, v[6:7]
	s_delay_alu instid0(VALU_DEP_1) | instskip(SKIP_1) | instid1(VALU_DEP_2)
	v_add_co_u32 v1, vcc_lo, s14, v1
	s_wait_alu 0xfffd
	v_add_co_ci_u32_e64 v2, null, s15, v2, vcc_lo
	v_cmp_le_i32_e32 vcc_lo, s12, v3
	global_load_b64 v[1:2], v[1:2], off
	s_or_b32 s26, vcc_lo, s26
	s_wait_loadcnt_dscnt 0x0
	v_mul_f64_e32 v[1:2], v[1:2], v[8:9]
	ds_store_b64 v14, v[1:2]
	s_wait_alu 0xfffe
	s_and_not1_b32 exec_lo, exec_lo, s26
	s_cbranch_execz .LBB13_70
.LBB13_55:                              ; =>This Loop Header: Depth=1
                                        ;     Child Loop BB13_57 Depth 2
                                        ;     Child Loop BB13_64 Depth 2
	;; [unrolled: 1-line block ×3, first 2 shown]
	s_wait_alu 0xfffe
	v_add_nc_u32_e32 v1, s27, v5
	v_mov_b32_e32 v7, s18
	v_mov_b32_e32 v3, s22
	s_and_not1_b32 vcc_lo, exec_lo, s23
	s_wait_alu 0xfffe
	s_cbranch_vccnz .LBB13_59
; %bb.56:                               ;   in Loop: Header=BB13_55 Depth=1
	v_mov_b32_e32 v7, s18
	v_mov_b32_e32 v3, s22
	s_mov_b32 s28, 0
.LBB13_57:                              ;   Parent Loop BB13_55 Depth=1
                                        ; =>  This Inner Loop Header: Depth=2
	s_delay_alu instid0(VALU_DEP_1) | instskip(NEXT) | instid1(VALU_DEP_1)
	v_add_nc_u32_e32 v2, v3, v7
	v_lshrrev_b32_e32 v4, 31, v2
	s_delay_alu instid0(VALU_DEP_1) | instskip(NEXT) | instid1(VALU_DEP_1)
	v_add_nc_u32_e32 v2, v2, v4
	v_ashrrev_i32_e32 v8, 1, v2
	s_delay_alu instid0(VALU_DEP_1) | instskip(NEXT) | instid1(VALU_DEP_1)
	v_ashrrev_i32_e32 v9, 31, v8
	v_lshlrev_b64_e32 v[9:10], 2, v[8:9]
	s_delay_alu instid0(VALU_DEP_1) | instskip(SKIP_1) | instid1(VALU_DEP_2)
	v_add_co_u32 v9, vcc_lo, s8, v9
	s_wait_alu 0xfffd
	v_add_co_ci_u32_e64 v10, null, s9, v10, vcc_lo
	global_load_b32 v2, v[9:10], off
	s_wait_loadcnt 0x0
	v_subrev_nc_u32_e32 v2, s20, v2
	s_delay_alu instid0(VALU_DEP_1) | instskip(SKIP_3) | instid1(VALU_DEP_2)
	v_cmp_lt_i32_e32 vcc_lo, v1, v2
	s_wait_alu 0xfffd
	v_cndmask_b32_e32 v3, v3, v8, vcc_lo
	v_cndmask_b32_e32 v7, v8, v7, vcc_lo
	v_add_nc_u32_e32 v2, -1, v3
	s_delay_alu instid0(VALU_DEP_2) | instskip(NEXT) | instid1(VALU_DEP_2)
	v_cmp_ge_i32_e32 vcc_lo, v7, v3
	v_cmp_eq_u32_e64 s0, v7, v2
	s_or_b32 s0, vcc_lo, s0
	s_wait_alu 0xfffe
	s_and_b32 s0, exec_lo, s0
	s_wait_alu 0xfffe
	s_or_b32 s28, s0, s28
	s_delay_alu instid0(SALU_CYCLE_1)
	s_and_not1_b32 exec_lo, exec_lo, s28
	s_cbranch_execnz .LBB13_57
; %bb.58:                               ;   in Loop: Header=BB13_55 Depth=1
	s_or_b32 exec_lo, exec_lo, s28
.LBB13_59:                              ;   in Loop: Header=BB13_55 Depth=1
	s_delay_alu instid0(VALU_DEP_1) | instskip(SKIP_3) | instid1(VALU_DEP_4)
	v_ashrrev_i32_e32 v4, 31, v3
	v_ashrrev_i32_e32 v2, 31, v1
	v_cmp_le_i32_e64 s0, s25, v1
	v_lshl_add_u32 v14, s27, 3, v16
	v_lshlrev_b64_e32 v[8:9], 2, v[3:4]
	s_delay_alu instid0(VALU_DEP_4) | instskip(NEXT) | instid1(VALU_DEP_2)
	v_lshlrev_b64_e32 v[10:11], 2, v[1:2]
	v_add_co_u32 v8, vcc_lo, s8, v8
	s_wait_alu 0xfffd
	s_delay_alu instid0(VALU_DEP_3) | instskip(NEXT) | instid1(VALU_DEP_3)
	v_add_co_ci_u32_e64 v9, null, s9, v9, vcc_lo
	v_add_co_u32 v10, vcc_lo, s10, v10
	s_wait_alu 0xfffd
	v_add_co_ci_u32_e64 v11, null, s11, v11, vcc_lo
	global_load_b32 v2, v[8:9], off
	global_load_b32 v4, v[10:11], off
                                        ; implicit-def: $vgpr8_vgpr9
	s_wait_loadcnt 0x1
	v_subrev_nc_u32_e32 v2, s20, v2
	s_wait_loadcnt 0x0
	v_subrev_nc_u32_e32 v6, s20, v4
	s_delay_alu instid0(VALU_DEP_2) | instskip(SKIP_2) | instid1(VALU_DEP_1)
	v_cmp_lt_i32_e32 vcc_lo, v1, v2
	s_wait_alu 0xfffd
	v_cndmask_b32_e32 v2, v3, v7, vcc_lo
	v_cmp_eq_u32_e32 vcc_lo, v6, v2
	s_or_b32 s0, vcc_lo, s0
	s_wait_alu 0xfffe
	s_and_saveexec_b32 s28, s0
	s_delay_alu instid0(SALU_CYCLE_1)
	s_xor_b32 s0, exec_lo, s28
; %bb.60:                               ;   in Loop: Header=BB13_55 Depth=1
	ds_load_b64 v[8:9], v14
                                        ; implicit-def: $vgpr2
; %bb.61:                               ;   in Loop: Header=BB13_55 Depth=1
	s_wait_alu 0xfffe
	s_and_not1_saveexec_b32 s28, s0
	s_cbranch_execz .LBB13_54
; %bb.62:                               ;   in Loop: Header=BB13_55 Depth=1
	v_ashrrev_i32_e32 v3, 31, v2
	s_wait_dscnt 0x0
	ds_load_b64 v[8:9], v14
	v_cmp_le_i32_e64 s0, s19, v6
	v_lshlrev_b64_e32 v[1:2], 3, v[2:3]
	s_delay_alu instid0(VALU_DEP_1) | instskip(SKIP_1) | instid1(VALU_DEP_2)
	v_add_co_u32 v1, vcc_lo, s14, v1
	s_wait_alu 0xfffd
	v_add_co_ci_u32_e64 v2, null, s15, v2, vcc_lo
	v_cmp_gt_i32_e32 vcc_lo, s5, v6
	global_load_b64 v[1:2], v[1:2], off
	s_or_b32 s0, vcc_lo, s0
	s_wait_loadcnt_dscnt 0x0
	v_mul_f64_e32 v[10:11], v[8:9], v[1:2]
	s_wait_alu 0xfffe
	s_and_saveexec_b32 s29, s0
	s_delay_alu instid0(SALU_CYCLE_1)
	s_xor_b32 s0, exec_lo, s29
	s_cbranch_execz .LBB13_66
; %bb.63:                               ;   in Loop: Header=BB13_55 Depth=1
	v_ashrrev_i32_e32 v7, 31, v6
	s_mov_b32 s29, 0
	s_delay_alu instid0(VALU_DEP_1) | instskip(NEXT) | instid1(VALU_DEP_1)
	v_lshlrev_b64_e32 v[1:2], 3, v[6:7]
	v_add_co_u32 v12, vcc_lo, s16, v1
	s_wait_alu 0xfffd
	s_delay_alu instid0(VALU_DEP_2)
	v_add_co_ci_u32_e64 v13, null, s17, v2, vcc_lo
	global_load_b64 v[3:4], v[12:13], off
.LBB13_64:                              ;   Parent Loop BB13_55 Depth=1
                                        ; =>  This Inner Loop Header: Depth=2
	s_wait_loadcnt 0x0
	v_add_f64_e32 v[1:2], v[3:4], v[10:11]
	global_atomic_cmpswap_b64 v[1:2], v[12:13], v[1:4], off th:TH_ATOMIC_RETURN scope:SCOPE_DEV
	s_wait_loadcnt 0x0
	v_cmp_eq_u64_e32 vcc_lo, v[1:2], v[3:4]
	v_dual_mov_b32 v4, v2 :: v_dual_mov_b32 v3, v1
	s_or_b32 s29, vcc_lo, s29
	s_delay_alu instid0(SALU_CYCLE_1)
	s_and_not1_b32 exec_lo, exec_lo, s29
	s_cbranch_execnz .LBB13_64
; %bb.65:                               ;   in Loop: Header=BB13_55 Depth=1
	s_or_b32 exec_lo, exec_lo, s29
                                        ; implicit-def: $vgpr10_vgpr11
.LBB13_66:                              ;   in Loop: Header=BB13_55 Depth=1
	s_wait_alu 0xfffe
	s_and_not1_saveexec_b32 s0, s0
	s_cbranch_execz .LBB13_53
; %bb.67:                               ;   in Loop: Header=BB13_55 Depth=1
	v_subrev_nc_u32_e32 v1, s5, v6
	s_mov_b32 s29, 0
	s_delay_alu instid0(VALU_DEP_1)
	v_lshl_add_u32 v3, v1, 3, 0x2000
	ds_load_b64 v[1:2], v3
.LBB13_68:                              ;   Parent Loop BB13_55 Depth=1
                                        ; =>  This Inner Loop Header: Depth=2
	s_wait_dscnt 0x0
	v_add_f64_e32 v[12:13], v[1:2], v[10:11]
	ds_cmpstore_rtn_b64 v[12:13], v3, v[12:13], v[1:2]
	s_wait_dscnt 0x0
	v_cmp_eq_u64_e32 vcc_lo, v[12:13], v[1:2]
	v_dual_mov_b32 v1, v12 :: v_dual_mov_b32 v2, v13
	s_or_b32 s29, vcc_lo, s29
	s_delay_alu instid0(SALU_CYCLE_1)
	s_and_not1_b32 exec_lo, exec_lo, s29
	s_cbranch_execnz .LBB13_68
; %bb.69:                               ;   in Loop: Header=BB13_55 Depth=1
	s_or_b32 exec_lo, exec_lo, s29
	s_branch .LBB13_53
.LBB13_70:
	s_or_b32 exec_lo, exec_lo, s13
                                        ; implicit-def: $vgpr17
                                        ; implicit-def: $vgpr5
.LBB13_71:
	s_wait_alu 0xfffe
	s_and_not1_saveexec_b32 s6, s6
	s_cbranch_execz .LBB13_141
; %bb.72:
	s_add_co_i32 s12, s19, -1
	s_add_co_i32 s0, s19, -2
	v_mov_b32_e32 v3, s18
	s_wait_alu 0xfffe
	v_mov_b32_e32 v1, s12
	s_cmp_lg_u32 s18, s0
	s_cselect_b32 s13, -1, 0
	s_cmp_eq_u32 s18, s0
	s_cbranch_scc1 .LBB13_76
; %bb.73:
	v_mov_b32_e32 v3, s18
	v_mov_b32_e32 v1, s12
	s_mov_b32 s22, 0
.LBB13_74:                              ; =>This Inner Loop Header: Depth=1
	s_delay_alu instid0(VALU_DEP_1) | instskip(NEXT) | instid1(VALU_DEP_1)
	v_add_nc_u32_e32 v2, v1, v3
	v_lshrrev_b32_e32 v4, 31, v2
	s_delay_alu instid0(VALU_DEP_1) | instskip(NEXT) | instid1(VALU_DEP_1)
	v_add_nc_u32_e32 v2, v2, v4
	v_ashrrev_i32_e32 v7, 1, v2
	s_delay_alu instid0(VALU_DEP_1) | instskip(NEXT) | instid1(VALU_DEP_1)
	v_ashrrev_i32_e32 v8, 31, v7
	v_lshlrev_b64_e32 v[8:9], 2, v[7:8]
	s_delay_alu instid0(VALU_DEP_1) | instskip(SKIP_1) | instid1(VALU_DEP_2)
	v_add_co_u32 v8, vcc_lo, s8, v8
	s_wait_alu 0xfffd
	v_add_co_ci_u32_e64 v9, null, s9, v9, vcc_lo
	global_load_b32 v2, v[8:9], off
	s_wait_loadcnt 0x0
	v_subrev_nc_u32_e32 v2, s20, v2
	s_delay_alu instid0(VALU_DEP_1) | instskip(SKIP_2) | instid1(VALU_DEP_1)
	v_cmp_lt_i32_e32 vcc_lo, v5, v2
	s_wait_alu 0xfffd
	v_cndmask_b32_e32 v1, v1, v7, vcc_lo
	v_dual_cndmask_b32 v3, v7, v3 :: v_dual_add_nc_u32 v2, -1, v1
	s_delay_alu instid0(VALU_DEP_1) | instskip(NEXT) | instid1(VALU_DEP_2)
	v_cmp_ge_i32_e32 vcc_lo, v3, v1
	v_cmp_eq_u32_e64 s0, v3, v2
	s_or_b32 s0, vcc_lo, s0
	s_wait_alu 0xfffe
	s_and_b32 s0, exec_lo, s0
	s_wait_alu 0xfffe
	s_or_b32 s22, s0, s22
	s_wait_alu 0xfffe
	s_and_not1_b32 exec_lo, exec_lo, s22
	s_cbranch_execnz .LBB13_74
; %bb.75:
	s_or_b32 exec_lo, exec_lo, s22
.LBB13_76:
	v_ashrrev_i32_e32 v2, 31, v1
	v_lshlrev_b64_e32 v[9:10], 2, v[5:6]
	s_mov_b32 s0, exec_lo
	s_delay_alu instid0(VALU_DEP_2) | instskip(NEXT) | instid1(VALU_DEP_1)
	v_lshlrev_b64_e32 v[7:8], 2, v[1:2]
	v_add_co_u32 v7, vcc_lo, s8, v7
	s_wait_alu 0xfffd
	s_delay_alu instid0(VALU_DEP_2)
	v_add_co_ci_u32_e64 v8, null, s9, v8, vcc_lo
	v_add_co_u32 v6, vcc_lo, s10, v9
	s_mov_b32 s10, s19
	global_load_b32 v2, v[7:8], off
	s_wait_alu 0xfffd
	v_add_co_ci_u32_e64 v7, null, s11, v10, vcc_lo
	s_ashr_i32 s11, s19, 31
                                        ; implicit-def: $vgpr10_vgpr11
	s_wait_alu 0xfffe
	s_lshl_b64 s[10:11], s[10:11], 2
	global_load_b32 v4, v[6:7], off
	s_wait_alu 0xfffe
	s_add_nc_u64 s[10:11], s[8:9], s[10:11]
	s_wait_loadcnt 0x1
	v_subrev_nc_u32_e32 v2, s20, v2
	s_delay_alu instid0(VALU_DEP_1) | instskip(SKIP_4) | instid1(VALU_DEP_1)
	v_cmp_lt_i32_e32 vcc_lo, v5, v2
	s_wait_loadcnt 0x0
	v_subrev_nc_u32_e32 v8, s20, v4
	s_wait_alu 0xfffd
	v_cndmask_b32_e32 v1, v1, v3, vcc_lo
	v_cmpx_ne_u32_e64 v8, v1
	s_xor_b32 s22, exec_lo, s0
	s_cbranch_execz .LBB13_87
; %bb.77:
	s_load_b32 s0, s[10:11], 0x0
	ds_load_b64 v[10:11], v16
	s_mov_b32 s23, exec_lo
	s_wait_kmcnt 0x0
	s_sub_co_i32 s0, s0, s20
	s_wait_alu 0xfffe
	v_cmpx_gt_i32_e64 s0, v5
	s_cbranch_execz .LBB13_86
; %bb.78:
	v_ashrrev_i32_e32 v2, 31, v1
	v_cmp_le_i32_e64 s0, s19, v8
	s_delay_alu instid0(VALU_DEP_2) | instskip(NEXT) | instid1(VALU_DEP_1)
	v_lshlrev_b64_e32 v[1:2], 3, v[1:2]
	v_add_co_u32 v1, vcc_lo, s14, v1
	s_wait_alu 0xfffd
	s_delay_alu instid0(VALU_DEP_2)
	v_add_co_ci_u32_e64 v2, null, s15, v2, vcc_lo
	v_cmp_gt_i32_e32 vcc_lo, s5, v8
	global_load_b64 v[1:2], v[1:2], off
	s_or_b32 s0, vcc_lo, s0
	s_wait_loadcnt_dscnt 0x0
	v_mul_f64_e32 v[12:13], v[10:11], v[1:2]
	s_wait_alu 0xfffe
	s_and_saveexec_b32 s25, s0
	s_wait_alu 0xfffe
	s_xor_b32 s0, exec_lo, s25
	s_cbranch_execz .LBB13_82
; %bb.79:
	v_ashrrev_i32_e32 v9, 31, v8
	s_mov_b32 s25, 0
	s_delay_alu instid0(VALU_DEP_1) | instskip(NEXT) | instid1(VALU_DEP_1)
	v_lshlrev_b64_e32 v[1:2], 3, v[8:9]
	v_add_co_u32 v14, vcc_lo, s16, v1
	s_wait_alu 0xfffd
	s_delay_alu instid0(VALU_DEP_2)
	v_add_co_ci_u32_e64 v15, null, s17, v2, vcc_lo
	global_load_b64 v[3:4], v[14:15], off
.LBB13_80:                              ; =>This Inner Loop Header: Depth=1
	s_wait_loadcnt 0x0
	v_add_f64_e32 v[1:2], v[3:4], v[12:13]
	global_atomic_cmpswap_b64 v[1:2], v[14:15], v[1:4], off th:TH_ATOMIC_RETURN scope:SCOPE_DEV
	s_wait_loadcnt 0x0
	v_cmp_eq_u64_e32 vcc_lo, v[1:2], v[3:4]
	v_dual_mov_b32 v4, v2 :: v_dual_mov_b32 v3, v1
	s_wait_alu 0xfffe
	s_or_b32 s25, vcc_lo, s25
	s_wait_alu 0xfffe
	s_and_not1_b32 exec_lo, exec_lo, s25
	s_cbranch_execnz .LBB13_80
; %bb.81:
	s_or_b32 exec_lo, exec_lo, s25
                                        ; implicit-def: $vgpr12_vgpr13
.LBB13_82:
	s_wait_alu 0xfffe
	s_and_not1_saveexec_b32 s0, s0
	s_cbranch_execz .LBB13_86
; %bb.83:
	v_subrev_nc_u32_e32 v1, s5, v8
	s_mov_b32 s0, 0
	s_delay_alu instid0(VALU_DEP_1)
	v_lshl_add_u32 v3, v1, 3, 0x2000
	ds_load_b64 v[1:2], v3
.LBB13_84:                              ; =>This Inner Loop Header: Depth=1
	s_wait_dscnt 0x0
	v_add_f64_e32 v[14:15], v[1:2], v[12:13]
	ds_cmpstore_rtn_b64 v[14:15], v3, v[14:15], v[1:2]
	s_wait_dscnt 0x0
	v_cmp_eq_u64_e32 vcc_lo, v[14:15], v[1:2]
	v_dual_mov_b32 v1, v14 :: v_dual_mov_b32 v2, v15
	s_wait_alu 0xfffe
	s_or_b32 s0, vcc_lo, s0
	s_wait_alu 0xfffe
	s_and_not1_b32 exec_lo, exec_lo, s0
	s_cbranch_execnz .LBB13_84
; %bb.85:
	s_or_b32 exec_lo, exec_lo, s0
.LBB13_86:
	s_delay_alu instid0(SALU_CYCLE_1)
	s_or_b32 exec_lo, exec_lo, s23
.LBB13_87:
	s_wait_alu 0xfffe
	s_and_not1_saveexec_b32 s0, s22
	s_cbranch_execz .LBB13_89
; %bb.88:
	s_wait_dscnt 0x0
	ds_load_b64 v[10:11], v16
.LBB13_89:
	s_wait_alu 0xfffe
	s_or_b32 exec_lo, exec_lo, s0
	v_ashrrev_i32_e32 v9, 31, v8
	v_cndmask_b32_e64 v18, 0, 1, s13
	v_dual_mov_b32 v4, s18 :: v_dual_add_nc_u32 v3, 0x100, v5
	s_delay_alu instid0(VALU_DEP_3) | instskip(NEXT) | instid1(VALU_DEP_1)
	v_lshlrev_b64_e32 v[1:2], 3, v[8:9]
	v_add_co_u32 v1, vcc_lo, s14, v1
	s_wait_alu 0xfffd
	s_delay_alu instid0(VALU_DEP_2)
	v_add_co_ci_u32_e64 v2, null, s15, v2, vcc_lo
	s_and_not1_b32 vcc_lo, exec_lo, s13
	global_load_b64 v[1:2], v[1:2], off
	s_wait_loadcnt_dscnt 0x0
	v_mul_f64_e32 v[8:9], v[1:2], v[10:11]
	v_mov_b32_e32 v1, s12
	ds_store_b64 v16, v[8:9]
	s_wait_alu 0xfffe
	s_cbranch_vccnz .LBB13_93
; %bb.90:
	v_dual_mov_b32 v4, s18 :: v_dual_mov_b32 v1, s12
	s_mov_b32 s13, 0
.LBB13_91:                              ; =>This Inner Loop Header: Depth=1
	s_delay_alu instid0(VALU_DEP_1) | instskip(NEXT) | instid1(VALU_DEP_1)
	v_add_nc_u32_e32 v2, v1, v4
	v_lshrrev_b32_e32 v8, 31, v2
	s_delay_alu instid0(VALU_DEP_1) | instskip(NEXT) | instid1(VALU_DEP_1)
	v_add_nc_u32_e32 v2, v2, v8
	v_ashrrev_i32_e32 v8, 1, v2
	s_delay_alu instid0(VALU_DEP_1) | instskip(NEXT) | instid1(VALU_DEP_1)
	v_ashrrev_i32_e32 v9, 31, v8
	v_lshlrev_b64_e32 v[9:10], 2, v[8:9]
	s_delay_alu instid0(VALU_DEP_1) | instskip(SKIP_1) | instid1(VALU_DEP_2)
	v_add_co_u32 v9, vcc_lo, s8, v9
	s_wait_alu 0xfffd
	v_add_co_ci_u32_e64 v10, null, s9, v10, vcc_lo
	global_load_b32 v2, v[9:10], off
	s_wait_loadcnt 0x0
	v_subrev_nc_u32_e32 v2, s20, v2
	s_delay_alu instid0(VALU_DEP_1) | instskip(SKIP_3) | instid1(VALU_DEP_2)
	v_cmp_lt_i32_e32 vcc_lo, v3, v2
	s_wait_alu 0xfffd
	v_cndmask_b32_e32 v1, v1, v8, vcc_lo
	v_cndmask_b32_e32 v4, v8, v4, vcc_lo
	v_add_nc_u32_e32 v2, -1, v1
	s_delay_alu instid0(VALU_DEP_2) | instskip(NEXT) | instid1(VALU_DEP_2)
	v_cmp_ge_i32_e32 vcc_lo, v4, v1
	v_cmp_eq_u32_e64 s0, v4, v2
	s_or_b32 s0, vcc_lo, s0
	s_wait_alu 0xfffe
	s_and_b32 s0, exec_lo, s0
	s_wait_alu 0xfffe
	s_or_b32 s13, s0, s13
	s_wait_alu 0xfffe
	s_and_not1_b32 exec_lo, exec_lo, s13
	s_cbranch_execnz .LBB13_91
; %bb.92:
	s_or_b32 exec_lo, exec_lo, s13
.LBB13_93:
	v_ashrrev_i32_e32 v2, 31, v1
                                        ; implicit-def: $vgpr10_vgpr11
	s_mov_b32 s0, exec_lo
	s_delay_alu instid0(VALU_DEP_1) | instskip(NEXT) | instid1(VALU_DEP_1)
	v_lshlrev_b64_e32 v[8:9], 2, v[1:2]
	v_add_co_u32 v8, vcc_lo, s8, v8
	s_wait_alu 0xfffd
	s_delay_alu instid0(VALU_DEP_2)
	v_add_co_ci_u32_e64 v9, null, s9, v9, vcc_lo
	global_load_b32 v2, v[8:9], off
	global_load_b32 v8, v[6:7], off offset:1024
	s_wait_loadcnt 0x1
	v_subrev_nc_u32_e32 v2, s20, v2
	s_wait_loadcnt 0x0
	v_subrev_nc_u32_e32 v8, s20, v8
	s_delay_alu instid0(VALU_DEP_2) | instskip(SKIP_2) | instid1(VALU_DEP_1)
	v_cmp_lt_i32_e32 vcc_lo, v3, v2
	s_wait_alu 0xfffd
	v_cndmask_b32_e32 v1, v1, v4, vcc_lo
	v_cmpx_ne_u32_e64 v8, v1
	s_wait_alu 0xfffe
	s_xor_b32 s13, exec_lo, s0
	s_cbranch_execz .LBB13_104
; %bb.94:
	s_load_b32 s0, s[10:11], 0x0
	ds_load_b64 v[10:11], v16 offset:2048
	s_mov_b32 s22, exec_lo
	s_wait_kmcnt 0x0
	s_sub_co_i32 s0, s0, s20
	s_wait_alu 0xfffe
	v_cmpx_gt_i32_e64 s0, v3
	s_cbranch_execz .LBB13_103
; %bb.95:
	v_ashrrev_i32_e32 v2, 31, v1
	v_cmp_le_i32_e64 s0, s19, v8
	s_delay_alu instid0(VALU_DEP_2) | instskip(NEXT) | instid1(VALU_DEP_1)
	v_lshlrev_b64_e32 v[1:2], 3, v[1:2]
	v_add_co_u32 v1, vcc_lo, s14, v1
	s_wait_alu 0xfffd
	s_delay_alu instid0(VALU_DEP_2)
	v_add_co_ci_u32_e64 v2, null, s15, v2, vcc_lo
	v_cmp_gt_i32_e32 vcc_lo, s5, v8
	global_load_b64 v[1:2], v[1:2], off
	s_or_b32 s0, vcc_lo, s0
	s_wait_loadcnt_dscnt 0x0
	v_mul_f64_e32 v[12:13], v[10:11], v[1:2]
	s_wait_alu 0xfffe
	s_and_saveexec_b32 s23, s0
	s_wait_alu 0xfffe
	s_xor_b32 s0, exec_lo, s23
	s_cbranch_execz .LBB13_99
; %bb.96:
	v_ashrrev_i32_e32 v9, 31, v8
	s_mov_b32 s23, 0
	s_delay_alu instid0(VALU_DEP_1) | instskip(NEXT) | instid1(VALU_DEP_1)
	v_lshlrev_b64_e32 v[1:2], 3, v[8:9]
	v_add_co_u32 v14, vcc_lo, s16, v1
	s_wait_alu 0xfffd
	s_delay_alu instid0(VALU_DEP_2)
	v_add_co_ci_u32_e64 v15, null, s17, v2, vcc_lo
	global_load_b64 v[3:4], v[14:15], off
.LBB13_97:                              ; =>This Inner Loop Header: Depth=1
	s_wait_loadcnt 0x0
	v_add_f64_e32 v[1:2], v[3:4], v[12:13]
	global_atomic_cmpswap_b64 v[1:2], v[14:15], v[1:4], off th:TH_ATOMIC_RETURN scope:SCOPE_DEV
	s_wait_loadcnt 0x0
	v_cmp_eq_u64_e32 vcc_lo, v[1:2], v[3:4]
	v_dual_mov_b32 v4, v2 :: v_dual_mov_b32 v3, v1
	s_wait_alu 0xfffe
	s_or_b32 s23, vcc_lo, s23
	s_wait_alu 0xfffe
	s_and_not1_b32 exec_lo, exec_lo, s23
	s_cbranch_execnz .LBB13_97
; %bb.98:
	s_or_b32 exec_lo, exec_lo, s23
                                        ; implicit-def: $vgpr12_vgpr13
.LBB13_99:
	s_wait_alu 0xfffe
	s_and_not1_saveexec_b32 s0, s0
	s_cbranch_execz .LBB13_103
; %bb.100:
	v_subrev_nc_u32_e32 v1, s5, v8
	s_mov_b32 s0, 0
	s_delay_alu instid0(VALU_DEP_1)
	v_lshl_add_u32 v3, v1, 3, 0x2000
	ds_load_b64 v[1:2], v3
.LBB13_101:                             ; =>This Inner Loop Header: Depth=1
	s_wait_dscnt 0x0
	v_add_f64_e32 v[14:15], v[1:2], v[12:13]
	ds_cmpstore_rtn_b64 v[14:15], v3, v[14:15], v[1:2]
	s_wait_dscnt 0x0
	v_cmp_eq_u64_e32 vcc_lo, v[14:15], v[1:2]
	v_dual_mov_b32 v1, v14 :: v_dual_mov_b32 v2, v15
	s_wait_alu 0xfffe
	s_or_b32 s0, vcc_lo, s0
	s_wait_alu 0xfffe
	s_and_not1_b32 exec_lo, exec_lo, s0
	s_cbranch_execnz .LBB13_101
; %bb.102:
	s_or_b32 exec_lo, exec_lo, s0
.LBB13_103:
	s_delay_alu instid0(SALU_CYCLE_1)
	s_or_b32 exec_lo, exec_lo, s22
.LBB13_104:
	s_wait_alu 0xfffe
	s_and_not1_saveexec_b32 s0, s13
	s_cbranch_execz .LBB13_106
; %bb.105:
	s_wait_dscnt 0x0
	ds_load_b64 v[10:11], v16 offset:2048
.LBB13_106:
	s_wait_alu 0xfffe
	s_or_b32 exec_lo, exec_lo, s0
	v_ashrrev_i32_e32 v9, 31, v8
	v_dual_mov_b32 v4, s18 :: v_dual_add_nc_u32 v3, 0x200, v5
	s_delay_alu instid0(VALU_DEP_2) | instskip(NEXT) | instid1(VALU_DEP_1)
	v_lshlrev_b64_e32 v[1:2], 3, v[8:9]
	v_add_co_u32 v1, vcc_lo, s14, v1
	s_wait_alu 0xfffd
	s_delay_alu instid0(VALU_DEP_2)
	v_add_co_ci_u32_e64 v2, null, s15, v2, vcc_lo
	v_cmp_ne_u32_e32 vcc_lo, 1, v18
	global_load_b64 v[1:2], v[1:2], off
	s_and_b32 vcc_lo, exec_lo, vcc_lo
	s_wait_loadcnt_dscnt 0x0
	v_mul_f64_e32 v[8:9], v[1:2], v[10:11]
	v_mov_b32_e32 v1, s12
	ds_store_b64 v16, v[8:9] offset:2048
	s_wait_alu 0xfffe
	s_cbranch_vccnz .LBB13_110
; %bb.107:
	v_dual_mov_b32 v4, s18 :: v_dual_mov_b32 v1, s12
	s_mov_b32 s13, 0
.LBB13_108:                             ; =>This Inner Loop Header: Depth=1
	s_delay_alu instid0(VALU_DEP_1) | instskip(NEXT) | instid1(VALU_DEP_1)
	v_add_nc_u32_e32 v2, v1, v4
	v_lshrrev_b32_e32 v5, 31, v2
	s_delay_alu instid0(VALU_DEP_1) | instskip(NEXT) | instid1(VALU_DEP_1)
	v_add_nc_u32_e32 v2, v2, v5
	v_ashrrev_i32_e32 v8, 1, v2
	s_delay_alu instid0(VALU_DEP_1) | instskip(NEXT) | instid1(VALU_DEP_1)
	v_ashrrev_i32_e32 v9, 31, v8
	v_lshlrev_b64_e32 v[9:10], 2, v[8:9]
	s_delay_alu instid0(VALU_DEP_1) | instskip(SKIP_1) | instid1(VALU_DEP_2)
	v_add_co_u32 v9, vcc_lo, s8, v9
	s_wait_alu 0xfffd
	v_add_co_ci_u32_e64 v10, null, s9, v10, vcc_lo
	global_load_b32 v2, v[9:10], off
	s_wait_loadcnt 0x0
	v_subrev_nc_u32_e32 v2, s20, v2
	s_delay_alu instid0(VALU_DEP_1) | instskip(SKIP_3) | instid1(VALU_DEP_2)
	v_cmp_lt_i32_e32 vcc_lo, v3, v2
	s_wait_alu 0xfffd
	v_cndmask_b32_e32 v1, v1, v8, vcc_lo
	v_cndmask_b32_e32 v4, v8, v4, vcc_lo
	v_add_nc_u32_e32 v2, -1, v1
	s_delay_alu instid0(VALU_DEP_2) | instskip(NEXT) | instid1(VALU_DEP_2)
	v_cmp_ge_i32_e32 vcc_lo, v4, v1
	v_cmp_eq_u32_e64 s0, v4, v2
	s_or_b32 s0, vcc_lo, s0
	s_wait_alu 0xfffe
	s_and_b32 s0, exec_lo, s0
	s_wait_alu 0xfffe
	s_or_b32 s13, s0, s13
	s_wait_alu 0xfffe
	s_and_not1_b32 exec_lo, exec_lo, s13
	s_cbranch_execnz .LBB13_108
; %bb.109:
	s_or_b32 exec_lo, exec_lo, s13
.LBB13_110:
	v_ashrrev_i32_e32 v2, 31, v1
                                        ; implicit-def: $vgpr10_vgpr11
	s_mov_b32 s0, exec_lo
	s_delay_alu instid0(VALU_DEP_1) | instskip(NEXT) | instid1(VALU_DEP_1)
	v_lshlrev_b64_e32 v[8:9], 2, v[1:2]
	v_add_co_u32 v8, vcc_lo, s8, v8
	s_wait_alu 0xfffd
	s_delay_alu instid0(VALU_DEP_2)
	v_add_co_ci_u32_e64 v9, null, s9, v9, vcc_lo
	global_load_b32 v2, v[8:9], off
	global_load_b32 v5, v[6:7], off offset:2048
	s_wait_loadcnt 0x1
	v_subrev_nc_u32_e32 v2, s20, v2
	s_wait_loadcnt 0x0
	v_subrev_nc_u32_e32 v8, s20, v5
	s_delay_alu instid0(VALU_DEP_2) | instskip(SKIP_2) | instid1(VALU_DEP_1)
	v_cmp_lt_i32_e32 vcc_lo, v3, v2
	s_wait_alu 0xfffd
	v_cndmask_b32_e32 v1, v1, v4, vcc_lo
	v_cmpx_ne_u32_e64 v8, v1
	s_wait_alu 0xfffe
	s_xor_b32 s13, exec_lo, s0
	s_cbranch_execz .LBB13_121
; %bb.111:
	s_load_b32 s0, s[10:11], 0x0
	ds_load_b64 v[10:11], v16 offset:4096
	s_mov_b32 s22, exec_lo
	s_wait_kmcnt 0x0
	s_sub_co_i32 s0, s0, s20
	s_wait_alu 0xfffe
	v_cmpx_gt_i32_e64 s0, v3
	s_cbranch_execz .LBB13_120
; %bb.112:
	v_ashrrev_i32_e32 v2, 31, v1
	v_cmp_le_i32_e64 s0, s19, v8
	s_delay_alu instid0(VALU_DEP_2) | instskip(NEXT) | instid1(VALU_DEP_1)
	v_lshlrev_b64_e32 v[1:2], 3, v[1:2]
	v_add_co_u32 v1, vcc_lo, s14, v1
	s_wait_alu 0xfffd
	s_delay_alu instid0(VALU_DEP_2)
	v_add_co_ci_u32_e64 v2, null, s15, v2, vcc_lo
	v_cmp_gt_i32_e32 vcc_lo, s5, v8
	global_load_b64 v[1:2], v[1:2], off
	s_or_b32 s0, vcc_lo, s0
	s_wait_loadcnt_dscnt 0x0
	v_mul_f64_e32 v[12:13], v[10:11], v[1:2]
	s_wait_alu 0xfffe
	s_and_saveexec_b32 s23, s0
	s_wait_alu 0xfffe
	s_xor_b32 s0, exec_lo, s23
	s_cbranch_execz .LBB13_116
; %bb.113:
	v_ashrrev_i32_e32 v9, 31, v8
	s_mov_b32 s23, 0
	s_delay_alu instid0(VALU_DEP_1) | instskip(NEXT) | instid1(VALU_DEP_1)
	v_lshlrev_b64_e32 v[1:2], 3, v[8:9]
	v_add_co_u32 v14, vcc_lo, s16, v1
	s_wait_alu 0xfffd
	s_delay_alu instid0(VALU_DEP_2)
	v_add_co_ci_u32_e64 v15, null, s17, v2, vcc_lo
	global_load_b64 v[3:4], v[14:15], off
.LBB13_114:                             ; =>This Inner Loop Header: Depth=1
	s_wait_loadcnt 0x0
	v_add_f64_e32 v[1:2], v[3:4], v[12:13]
	global_atomic_cmpswap_b64 v[1:2], v[14:15], v[1:4], off th:TH_ATOMIC_RETURN scope:SCOPE_DEV
	s_wait_loadcnt 0x0
	v_cmp_eq_u64_e32 vcc_lo, v[1:2], v[3:4]
	v_dual_mov_b32 v4, v2 :: v_dual_mov_b32 v3, v1
	s_wait_alu 0xfffe
	s_or_b32 s23, vcc_lo, s23
	s_wait_alu 0xfffe
	s_and_not1_b32 exec_lo, exec_lo, s23
	s_cbranch_execnz .LBB13_114
; %bb.115:
	s_or_b32 exec_lo, exec_lo, s23
                                        ; implicit-def: $vgpr12_vgpr13
.LBB13_116:
	s_wait_alu 0xfffe
	s_and_not1_saveexec_b32 s0, s0
	s_cbranch_execz .LBB13_120
; %bb.117:
	v_subrev_nc_u32_e32 v1, s5, v8
	s_mov_b32 s0, 0
	s_delay_alu instid0(VALU_DEP_1)
	v_lshl_add_u32 v3, v1, 3, 0x2000
	ds_load_b64 v[1:2], v3
.LBB13_118:                             ; =>This Inner Loop Header: Depth=1
	s_wait_dscnt 0x0
	v_add_f64_e32 v[4:5], v[1:2], v[12:13]
	ds_cmpstore_rtn_b64 v[4:5], v3, v[4:5], v[1:2]
	s_wait_dscnt 0x0
	v_cmp_eq_u64_e32 vcc_lo, v[4:5], v[1:2]
	v_dual_mov_b32 v1, v4 :: v_dual_mov_b32 v2, v5
	s_wait_alu 0xfffe
	s_or_b32 s0, vcc_lo, s0
	s_wait_alu 0xfffe
	s_and_not1_b32 exec_lo, exec_lo, s0
	s_cbranch_execnz .LBB13_118
; %bb.119:
	s_or_b32 exec_lo, exec_lo, s0
.LBB13_120:
	s_delay_alu instid0(SALU_CYCLE_1)
	s_or_b32 exec_lo, exec_lo, s22
.LBB13_121:
	s_wait_alu 0xfffe
	s_and_not1_saveexec_b32 s0, s13
	s_cbranch_execz .LBB13_123
; %bb.122:
	s_wait_dscnt 0x0
	ds_load_b64 v[10:11], v16 offset:4096
.LBB13_123:
	s_wait_alu 0xfffe
	s_or_b32 exec_lo, exec_lo, s0
	v_ashrrev_i32_e32 v9, 31, v8
	v_mov_b32_e32 v3, s18
	s_delay_alu instid0(VALU_DEP_2) | instskip(NEXT) | instid1(VALU_DEP_1)
	v_lshlrev_b64_e32 v[1:2], 3, v[8:9]
	v_add_co_u32 v1, vcc_lo, s14, v1
	s_wait_alu 0xfffd
	s_delay_alu instid0(VALU_DEP_2)
	v_add_co_ci_u32_e64 v2, null, s15, v2, vcc_lo
	v_cmp_ne_u32_e32 vcc_lo, 1, v18
	global_load_b64 v[1:2], v[1:2], off
	s_and_b32 vcc_lo, exec_lo, vcc_lo
	s_wait_loadcnt_dscnt 0x0
	v_mul_f64_e32 v[4:5], v[1:2], v[10:11]
	v_mov_b32_e32 v1, s12
	ds_store_b64 v16, v[4:5] offset:4096
	s_wait_alu 0xfffe
	s_cbranch_vccnz .LBB13_127
; %bb.124:
	v_mov_b32_e32 v3, s18
	v_mov_b32_e32 v1, s12
	s_mov_b32 s12, 0
.LBB13_125:                             ; =>This Inner Loop Header: Depth=1
	s_delay_alu instid0(VALU_DEP_1) | instskip(NEXT) | instid1(VALU_DEP_1)
	v_add_nc_u32_e32 v2, v1, v3
	v_lshrrev_b32_e32 v4, 31, v2
	s_delay_alu instid0(VALU_DEP_1) | instskip(NEXT) | instid1(VALU_DEP_1)
	v_add_nc_u32_e32 v2, v2, v4
	v_ashrrev_i32_e32 v4, 1, v2
	s_delay_alu instid0(VALU_DEP_1) | instskip(NEXT) | instid1(VALU_DEP_1)
	v_ashrrev_i32_e32 v5, 31, v4
	v_lshlrev_b64_e32 v[8:9], 2, v[4:5]
	s_delay_alu instid0(VALU_DEP_1) | instskip(SKIP_1) | instid1(VALU_DEP_2)
	v_add_co_u32 v8, vcc_lo, s8, v8
	s_wait_alu 0xfffd
	v_add_co_ci_u32_e64 v9, null, s9, v9, vcc_lo
	global_load_b32 v2, v[8:9], off
	s_wait_loadcnt 0x0
	v_subrev_nc_u32_e32 v2, s20, v2
	s_delay_alu instid0(VALU_DEP_1) | instskip(SKIP_2) | instid1(VALU_DEP_1)
	v_cmp_lt_i32_e32 vcc_lo, v17, v2
	s_wait_alu 0xfffd
	v_cndmask_b32_e32 v1, v1, v4, vcc_lo
	v_dual_cndmask_b32 v3, v4, v3 :: v_dual_add_nc_u32 v2, -1, v1
	s_delay_alu instid0(VALU_DEP_1) | instskip(NEXT) | instid1(VALU_DEP_2)
	v_cmp_ge_i32_e32 vcc_lo, v3, v1
	v_cmp_eq_u32_e64 s0, v3, v2
	s_or_b32 s0, vcc_lo, s0
	s_wait_alu 0xfffe
	s_and_b32 s0, exec_lo, s0
	s_wait_alu 0xfffe
	s_or_b32 s12, s0, s12
	s_wait_alu 0xfffe
	s_and_not1_b32 exec_lo, exec_lo, s12
	s_cbranch_execnz .LBB13_125
; %bb.126:
	s_or_b32 exec_lo, exec_lo, s12
.LBB13_127:
	v_ashrrev_i32_e32 v2, 31, v1
	s_mov_b32 s0, exec_lo
	s_delay_alu instid0(VALU_DEP_1) | instskip(NEXT) | instid1(VALU_DEP_1)
	v_lshlrev_b64_e32 v[4:5], 2, v[1:2]
	v_add_co_u32 v4, vcc_lo, s8, v4
	s_wait_alu 0xfffd
	s_delay_alu instid0(VALU_DEP_2)
	v_add_co_ci_u32_e64 v5, null, s9, v5, vcc_lo
	global_load_b32 v2, v[4:5], off
	global_load_b32 v4, v[6:7], off offset:3072
                                        ; implicit-def: $vgpr7_vgpr8
	s_wait_loadcnt 0x1
	v_subrev_nc_u32_e32 v2, s20, v2
	s_wait_loadcnt 0x0
	v_subrev_nc_u32_e32 v5, s20, v4
	s_delay_alu instid0(VALU_DEP_2) | instskip(SKIP_2) | instid1(VALU_DEP_1)
	v_cmp_lt_i32_e32 vcc_lo, v17, v2
	s_wait_alu 0xfffd
	v_cndmask_b32_e32 v1, v1, v3, vcc_lo
	v_cmpx_ne_u32_e64 v5, v1
	s_wait_alu 0xfffe
	s_xor_b32 s12, exec_lo, s0
	s_cbranch_execz .LBB13_138
; %bb.128:
	s_load_b32 s0, s[10:11], 0x0
	ds_load_b64 v[7:8], v16 offset:6144
	s_mov_b32 s10, exec_lo
	s_wait_kmcnt 0x0
	s_sub_co_i32 s0, s0, s20
	s_wait_alu 0xfffe
	v_cmpx_gt_i32_e64 s0, v17
	s_cbranch_execz .LBB13_137
; %bb.129:
	v_ashrrev_i32_e32 v2, 31, v1
	v_cmp_le_i32_e64 s0, s19, v5
	s_delay_alu instid0(VALU_DEP_2) | instskip(NEXT) | instid1(VALU_DEP_1)
	v_lshlrev_b64_e32 v[1:2], 3, v[1:2]
	v_add_co_u32 v1, vcc_lo, s14, v1
	s_wait_alu 0xfffd
	s_delay_alu instid0(VALU_DEP_2)
	v_add_co_ci_u32_e64 v2, null, s15, v2, vcc_lo
	v_cmp_gt_i32_e32 vcc_lo, s5, v5
	global_load_b64 v[1:2], v[1:2], off
	s_or_b32 s0, vcc_lo, s0
	s_wait_loadcnt_dscnt 0x0
	v_mul_f64_e32 v[9:10], v[7:8], v[1:2]
	s_wait_alu 0xfffe
	s_and_saveexec_b32 s11, s0
	s_wait_alu 0xfffe
	s_xor_b32 s0, exec_lo, s11
	s_cbranch_execz .LBB13_133
; %bb.130:
	v_ashrrev_i32_e32 v6, 31, v5
	s_mov_b32 s11, 0
	s_delay_alu instid0(VALU_DEP_1) | instskip(NEXT) | instid1(VALU_DEP_1)
	v_lshlrev_b64_e32 v[1:2], 3, v[5:6]
	v_add_co_u32 v11, vcc_lo, s16, v1
	s_wait_alu 0xfffd
	s_delay_alu instid0(VALU_DEP_2)
	v_add_co_ci_u32_e64 v12, null, s17, v2, vcc_lo
	global_load_b64 v[3:4], v[11:12], off
.LBB13_131:                             ; =>This Inner Loop Header: Depth=1
	s_wait_loadcnt 0x0
	v_add_f64_e32 v[1:2], v[3:4], v[9:10]
	global_atomic_cmpswap_b64 v[1:2], v[11:12], v[1:4], off th:TH_ATOMIC_RETURN scope:SCOPE_DEV
	s_wait_loadcnt 0x0
	v_cmp_eq_u64_e32 vcc_lo, v[1:2], v[3:4]
	v_dual_mov_b32 v4, v2 :: v_dual_mov_b32 v3, v1
	s_wait_alu 0xfffe
	s_or_b32 s11, vcc_lo, s11
	s_wait_alu 0xfffe
	s_and_not1_b32 exec_lo, exec_lo, s11
	s_cbranch_execnz .LBB13_131
; %bb.132:
	s_or_b32 exec_lo, exec_lo, s11
                                        ; implicit-def: $vgpr9_vgpr10
.LBB13_133:
	s_wait_alu 0xfffe
	s_and_not1_saveexec_b32 s0, s0
	s_cbranch_execz .LBB13_137
; %bb.134:
	v_subrev_nc_u32_e32 v1, s5, v5
	s_mov_b32 s0, 0
	s_delay_alu instid0(VALU_DEP_1)
	v_lshl_add_u32 v3, v1, 3, 0x2000
	ds_load_b64 v[1:2], v3
.LBB13_135:                             ; =>This Inner Loop Header: Depth=1
	s_wait_dscnt 0x0
	v_add_f64_e32 v[11:12], v[1:2], v[9:10]
	ds_cmpstore_rtn_b64 v[11:12], v3, v[11:12], v[1:2]
	s_wait_dscnt 0x0
	v_cmp_eq_u64_e32 vcc_lo, v[11:12], v[1:2]
	v_dual_mov_b32 v1, v11 :: v_dual_mov_b32 v2, v12
	s_wait_alu 0xfffe
	s_or_b32 s0, vcc_lo, s0
	s_wait_alu 0xfffe
	s_and_not1_b32 exec_lo, exec_lo, s0
	s_cbranch_execnz .LBB13_135
; %bb.136:
	s_or_b32 exec_lo, exec_lo, s0
.LBB13_137:
	s_delay_alu instid0(SALU_CYCLE_1)
	s_or_b32 exec_lo, exec_lo, s10
.LBB13_138:
	s_wait_alu 0xfffe
	s_and_not1_saveexec_b32 s0, s12
	s_cbranch_execz .LBB13_140
; %bb.139:
	s_wait_dscnt 0x0
	ds_load_b64 v[7:8], v16 offset:6144
.LBB13_140:
	s_wait_alu 0xfffe
	s_or_b32 exec_lo, exec_lo, s0
	v_ashrrev_i32_e32 v6, 31, v5
	s_delay_alu instid0(VALU_DEP_1) | instskip(NEXT) | instid1(VALU_DEP_1)
	v_lshlrev_b64_e32 v[1:2], 3, v[5:6]
	v_add_co_u32 v1, vcc_lo, s14, v1
	s_wait_alu 0xfffd
	s_delay_alu instid0(VALU_DEP_2)
	v_add_co_ci_u32_e64 v2, null, s15, v2, vcc_lo
	global_load_b64 v[1:2], v[1:2], off
	s_wait_loadcnt_dscnt 0x0
	v_mul_f64_e32 v[1:2], v[1:2], v[7:8]
	ds_store_b64 v16, v[1:2] offset:6144
.LBB13_141:
	s_wait_alu 0xfffe
	s_or_b32 exec_lo, exec_lo, s6
	s_min_i32 s6, s19, s7
	s_mov_b32 s7, exec_lo
	s_wait_alu 0xfffe
	s_sub_co_i32 s0, s6, s21
	s_wait_loadcnt_dscnt 0x0
	s_barrier_signal -1
	s_barrier_wait -1
	global_inv scope:SCOPE_SE
	s_wait_alu 0xfffe
	v_cmpx_gt_i32_e64 s0, v0
	s_cbranch_execz .LBB13_146
; %bb.142:
	v_mov_b32_e32 v9, v0
	s_mov_b32 s10, 0
.LBB13_143:                             ; =>This Loop Header: Depth=1
                                        ;     Child Loop BB13_144 Depth 2
	s_delay_alu instid0(VALU_DEP_1) | instskip(SKIP_1) | instid1(VALU_DEP_1)
	v_add_nc_u32_e32 v1, s5, v9
	s_mov_b32 s11, 0
	v_ashrrev_i32_e32 v2, 31, v1
	s_delay_alu instid0(VALU_DEP_1) | instskip(NEXT) | instid1(VALU_DEP_1)
	v_lshlrev_b64_e32 v[1:2], 3, v[1:2]
	v_add_co_u32 v5, vcc_lo, s16, v1
	s_wait_alu 0xfffd
	s_delay_alu instid0(VALU_DEP_2)
	v_add_co_ci_u32_e64 v6, null, s17, v2, vcc_lo
	v_lshl_add_u32 v1, v9, 3, 0x2000
	global_load_b64 v[3:4], v[5:6], off
	ds_load_b64 v[7:8], v1
.LBB13_144:                             ;   Parent Loop BB13_143 Depth=1
                                        ; =>  This Inner Loop Header: Depth=2
	s_wait_loadcnt_dscnt 0x0
	v_add_f64_e32 v[1:2], v[3:4], v[7:8]
	global_atomic_cmpswap_b64 v[1:2], v[5:6], v[1:4], off th:TH_ATOMIC_RETURN scope:SCOPE_DEV
	s_wait_loadcnt 0x0
	v_cmp_eq_u64_e32 vcc_lo, v[1:2], v[3:4]
	v_dual_mov_b32 v4, v2 :: v_dual_mov_b32 v3, v1
	s_wait_alu 0xfffe
	s_or_b32 s11, vcc_lo, s11
	s_wait_alu 0xfffe
	s_and_not1_b32 exec_lo, exec_lo, s11
	s_cbranch_execnz .LBB13_144
; %bb.145:                              ;   in Loop: Header=BB13_143 Depth=1
	s_or_b32 exec_lo, exec_lo, s11
	v_add_nc_u32_e32 v9, 0x100, v9
	s_delay_alu instid0(VALU_DEP_1)
	v_cmp_le_i32_e32 vcc_lo, s0, v9
	s_or_b32 s10, vcc_lo, s10
	s_wait_alu 0xfffe
	s_and_not1_b32 exec_lo, exec_lo, s10
	s_cbranch_execnz .LBB13_143
.LBB13_146:
	s_or_b32 exec_lo, exec_lo, s7
	s_mul_i32 s5, s1, s21
	s_add_co_i32 s7, s1, 1
	s_wait_alu 0xfffe
	s_sub_co_i32 s5, s4, s5
	v_add_nc_u32_e32 v5, s18, v0
	s_wait_alu 0xfffe
	s_sub_co_i32 s10, s5, s21
	s_cmp_ge_u32 s5, s21
	s_wait_loadcnt 0x0
	s_cselect_b32 s1, s7, s1
	s_wait_alu 0xfffe
	s_cselect_b32 s5, s10, s5
	s_add_co_i32 s7, s1, 1
	s_wait_alu 0xfffe
	s_cmp_ge_u32 s5, s21
	s_barrier_signal -1
	s_cselect_b32 s1, s7, s1
	s_barrier_wait -1
	s_wait_alu 0xfffe
	s_add_co_i32 s1, s1, -1
	global_inv scope:SCOPE_SE
	s_wait_alu 0xfffe
	s_ashr_i32 s5, s1, 1
	s_wait_alu 0xfffe
	s_or_b32 s1, s5, s1
	s_wait_alu 0xfffe
	s_ashr_i32 s5, s1, 2
	s_wait_alu 0xfffe
	s_or_b32 s1, s5, s1
	s_wait_alu 0xfffe
	s_ashr_i32 s5, s1, 4
	s_wait_alu 0xfffe
	s_or_b32 s1, s5, s1
	s_wait_alu 0xfffe
	s_ashr_i32 s5, s1, 8
	s_wait_alu 0xfffe
	s_or_b32 s1, s5, s1
	s_wait_alu 0xfffe
	s_ashr_i32 s5, s1, 16
	s_wait_alu 0xfffe
	s_or_b32 s1, s5, s1
	s_mov_b32 s5, -1
	s_wait_alu 0xfffe
	s_add_co_i32 s1, s1, 1
	s_wait_alu 0xfffe
	s_ashr_i32 s1, s1, 1
	s_wait_alu 0xfffe
	s_cmp_gt_i32 s1, 1
	s_cbranch_scc1 .LBB13_157
; %bb.147:
	s_mov_b32 s5, exec_lo
	v_cmpx_gt_i32_e64 s19, v5
	s_cbranch_execz .LBB13_156
; %bb.148:
	s_sub_co_i32 s6, s6, s19
	v_mov_b32_e32 v6, v5
	s_lshl_b32 s10, s24, 3
	s_wait_alu 0xfffe
	s_lshl_b32 s6, s6, 3
	s_mov_b32 s7, 0
	s_wait_alu 0xfffe
	s_addk_co_i32 s6, 0x2000
	s_sub_co_i32 s10, 0, s10
.LBB13_149:                             ; =>This Loop Header: Depth=1
                                        ;     Child Loop BB13_151 Depth 2
                                        ;     Child Loop BB13_154 Depth 2
	v_ashrrev_i32_e32 v7, 31, v6
	s_mov_b32 s11, exec_lo
	s_delay_alu instid0(VALU_DEP_1) | instskip(NEXT) | instid1(VALU_DEP_1)
	v_lshlrev_b64_e32 v[1:2], 2, v[6:7]
	v_add_co_u32 v1, vcc_lo, s8, v1
	s_wait_alu 0xfffd
	s_delay_alu instid0(VALU_DEP_2)
	v_add_co_ci_u32_e64 v2, null, s9, v2, vcc_lo
	global_load_b64 v[3:4], v[1:2], off
	v_mov_b32_e32 v1, 0
	v_mov_b32_e32 v2, 0
	s_wait_loadcnt 0x0
	v_cmpx_lt_i32_e64 v3, v4
	s_cbranch_execz .LBB13_153
; %bb.150:                              ;   in Loop: Header=BB13_149 Depth=1
	v_mov_b32_e32 v1, 0
	v_subrev_nc_u32_e32 v4, s24, v4
	v_subrev_nc_u32_e32 v8, s24, v3
	v_mov_b32_e32 v2, 0
	s_wait_alu 0xfffe
	v_lshl_add_u32 v3, v3, 3, s10
	s_mov_b32 s12, 0
.LBB13_151:                             ;   Parent Loop BB13_149 Depth=1
                                        ; =>  This Inner Loop Header: Depth=2
	ds_load_b64 v[9:10], v3
	v_add_nc_u32_e32 v8, 1, v8
	v_add_nc_u32_e32 v3, 8, v3
	s_delay_alu instid0(VALU_DEP_2)
	v_cmp_ge_i32_e32 vcc_lo, v8, v4
	s_wait_alu 0xfffe
	s_or_b32 s12, vcc_lo, s12
	s_wait_dscnt 0x0
	v_add_f64_e32 v[1:2], v[1:2], v[9:10]
	s_wait_alu 0xfffe
	s_and_not1_b32 exec_lo, exec_lo, s12
	s_cbranch_execnz .LBB13_151
; %bb.152:                              ;   in Loop: Header=BB13_149 Depth=1
	s_or_b32 exec_lo, exec_lo, s12
.LBB13_153:                             ;   in Loop: Header=BB13_149 Depth=1
	s_wait_alu 0xfffe
	s_or_b32 exec_lo, exec_lo, s11
	v_lshlrev_b64_e32 v[3:4], 3, v[6:7]
	v_lshl_add_u32 v9, v6, 3, s6
	s_mov_b32 s11, 0
	ds_load_b64 v[9:10], v9
	v_add_co_u32 v7, vcc_lo, s16, v3
	s_wait_alu 0xfffd
	v_add_co_ci_u32_e64 v8, null, s17, v4, vcc_lo
	global_load_b64 v[3:4], v[7:8], off
	s_wait_dscnt 0x0
	v_add_f64_e32 v[9:10], v[1:2], v[9:10]
.LBB13_154:                             ;   Parent Loop BB13_149 Depth=1
                                        ; =>  This Inner Loop Header: Depth=2
	s_wait_loadcnt 0x0
	s_delay_alu instid0(VALU_DEP_1)
	v_add_f64_e32 v[1:2], v[3:4], v[9:10]
	global_atomic_cmpswap_b64 v[1:2], v[7:8], v[1:4], off th:TH_ATOMIC_RETURN scope:SCOPE_DEV
	s_wait_loadcnt 0x0
	v_cmp_eq_u64_e32 vcc_lo, v[1:2], v[3:4]
	v_dual_mov_b32 v4, v2 :: v_dual_mov_b32 v3, v1
	s_wait_alu 0xfffe
	s_or_b32 s11, vcc_lo, s11
	s_wait_alu 0xfffe
	s_and_not1_b32 exec_lo, exec_lo, s11
	s_cbranch_execnz .LBB13_154
; %bb.155:                              ;   in Loop: Header=BB13_149 Depth=1
	s_or_b32 exec_lo, exec_lo, s11
	v_add_nc_u32_e32 v6, s4, v6
	s_delay_alu instid0(VALU_DEP_1)
	v_cmp_le_i32_e32 vcc_lo, s19, v6
	s_or_b32 s7, vcc_lo, s7
	s_wait_alu 0xfffe
	s_and_not1_b32 exec_lo, exec_lo, s7
	s_cbranch_execnz .LBB13_149
.LBB13_156:
	s_wait_alu 0xfffe
	s_or_b32 exec_lo, exec_lo, s5
	s_mov_b32 s5, 0
.LBB13_157:
	s_wait_alu 0xfffe
	s_and_not1_b32 vcc_lo, exec_lo, s5
	s_wait_alu 0xfffe
	s_cbranch_vccnz .LBB13_171
; %bb.158:
	s_cvt_f32_u32 s4, s1
	s_sub_co_i32 s5, 0, s1
	s_wait_alu 0xfffe
	s_delay_alu instid0(SALU_CYCLE_1) | instskip(NEXT) | instid1(TRANS32_DEP_1)
	v_rcp_iflag_f32_e32 v1, s4
	v_readfirstlane_b32 s4, v1
	s_mul_f32 s4, s4, 0x4f7ffffe
	s_wait_alu 0xfffe
	s_delay_alu instid0(SALU_CYCLE_2) | instskip(SKIP_1) | instid1(SALU_CYCLE_2)
	s_cvt_u32_f32 s4, s4
	s_wait_alu 0xfffe
	s_mul_i32 s5, s5, s4
	s_wait_alu 0xfffe
	s_mul_hi_u32 s5, s4, s5
	s_wait_alu 0xfffe
	s_add_co_i32 s4, s4, s5
	s_wait_alu 0xfffe
	v_mul_hi_u32 v1, v0, s4
	s_delay_alu instid0(VALU_DEP_1) | instskip(NEXT) | instid1(VALU_DEP_1)
	v_mul_lo_u32 v2, v1, s1
	v_sub_nc_u32_e32 v2, v0, v2
	s_delay_alu instid0(VALU_DEP_1) | instskip(SKIP_2) | instid1(VALU_DEP_2)
	v_subrev_nc_u32_e32 v4, s1, v2
	v_cmp_le_u32_e32 vcc_lo, s1, v2
	s_wait_alu 0xfffd
	v_dual_cndmask_b32 v2, v2, v4 :: v_dual_add_nc_u32 v3, 1, v1
	s_delay_alu instid0(VALU_DEP_1) | instskip(NEXT) | instid1(VALU_DEP_2)
	v_cndmask_b32_e32 v1, v1, v3, vcc_lo
	v_cmp_le_u32_e32 vcc_lo, s1, v2
	s_delay_alu instid0(VALU_DEP_2) | instskip(SKIP_1) | instid1(VALU_DEP_1)
	v_add_nc_u32_e32 v3, 1, v1
	s_wait_alu 0xfffd
	v_cndmask_b32_e32 v1, v1, v3, vcc_lo
	s_delay_alu instid0(VALU_DEP_1)
	v_lshlrev_b32_e32 v2, 2, v1
	global_load_b64 v[6:7], v2, s[2:3]
	s_abs_i32 s3, s1
	s_wait_alu 0xfffe
	s_cvt_f32_u32 s2, s3
	s_wait_alu 0xfffe
	s_delay_alu instid0(SALU_CYCLE_2) | instskip(SKIP_1) | instid1(TRANS32_DEP_1)
	v_rcp_iflag_f32_e32 v2, s2
	s_mov_b32 s2, exec_lo
	v_readfirstlane_b32 s4, v2
	v_mov_b32_e32 v2, 0
	v_mov_b32_e32 v3, 0
	v_cmpx_gt_i32_e64 s21, v1
	s_cbranch_execz .LBB13_166
; %bb.159:
	s_wait_loadcnt 0x0
	v_subrev_nc_u32_e32 v1, s24, v6
	v_subrev_nc_u32_e32 v4, s24, v7
	s_mul_f32 s4, s4, 0x4f7ffffe
	s_sub_co_i32 s5, 0, s3
	s_wait_alu 0xfffe
	s_delay_alu instid0(SALU_CYCLE_1) | instskip(SKIP_2) | instid1(SALU_CYCLE_1)
	s_cvt_u32_f32 s4, s4
	v_sub_nc_u32_e32 v6, v4, v1
	s_wait_alu 0xfffe
	s_mul_i32 s5, s5, s4
	s_delay_alu instid0(VALU_DEP_1)
	v_sub_nc_u32_e32 v2, 0, v6
	s_wait_alu 0xfffe
	s_mul_hi_u32 s5, s4, s5
	s_wait_alu 0xfffe
	s_add_co_i32 s4, s4, s5
	v_max_i32_e32 v7, v6, v2
	v_ashrrev_i32_e32 v6, 31, v6
	s_wait_alu 0xfffe
	s_delay_alu instid0(VALU_DEP_2) | instskip(SKIP_4) | instid1(VALU_DEP_1)
	v_mad_co_u64_u32 v[2:3], null, v7, s4, 0
	s_ashr_i32 s4, s1, 31
	s_wait_alu 0xfffe
	v_xor_b32_e32 v6, s4, v6
	v_mul_lo_u32 v2, v3, s3
	v_sub_nc_u32_e32 v2, v7, v2
	s_delay_alu instid0(VALU_DEP_1) | instskip(SKIP_2) | instid1(VALU_DEP_2)
	v_subrev_nc_u32_e32 v8, s3, v2
	v_cmp_le_u32_e32 vcc_lo, s3, v2
	s_wait_alu 0xfffd
	v_dual_cndmask_b32 v2, v2, v8 :: v_dual_add_nc_u32 v7, 1, v3
	s_delay_alu instid0(VALU_DEP_1) | instskip(NEXT) | instid1(VALU_DEP_2)
	v_cndmask_b32_e32 v3, v3, v7, vcc_lo
	v_cmp_le_u32_e32 vcc_lo, s3, v2
	s_add_co_i32 s3, s1, -1
	s_wait_alu 0xfffe
	v_and_b32_e32 v9, s3, v0
	s_mov_b32 s3, exec_lo
	s_delay_alu instid0(VALU_DEP_1) | instskip(SKIP_2) | instid1(VALU_DEP_1)
	v_lshlrev_b32_e32 v8, 3, v9
	v_add_nc_u32_e32 v7, 1, v3
	s_wait_alu 0xfffd
	v_cndmask_b32_e32 v2, v3, v7, vcc_lo
	s_delay_alu instid0(VALU_DEP_1) | instskip(NEXT) | instid1(VALU_DEP_1)
	v_xor_b32_e32 v2, v2, v6
	v_sub_nc_u32_e32 v6, v2, v6
	v_mov_b32_e32 v2, 0
	v_mov_b32_e32 v3, 0
	s_delay_alu instid0(VALU_DEP_3)
	v_cmpx_lt_i32_e32 0, v6
	s_cbranch_execz .LBB13_163
; %bb.160:
	v_mov_b32_e32 v2, 0
	v_lshl_add_u32 v7, v1, 3, v8
	v_dual_mov_b32 v3, 0 :: v_dual_mov_b32 v10, v6
	s_lshl_b32 s5, s1, 3
	s_mov_b32 s4, 0
.LBB13_161:                             ; =>This Inner Loop Header: Depth=1
	ds_load_b64 v[11:12], v7
	v_add_nc_u32_e32 v10, -1, v10
	s_wait_alu 0xfffe
	v_add_nc_u32_e32 v7, s5, v7
	s_delay_alu instid0(VALU_DEP_2)
	v_cmp_eq_u32_e32 vcc_lo, 0, v10
	s_or_b32 s4, vcc_lo, s4
	s_wait_dscnt 0x0
	v_add_f64_e32 v[2:3], v[2:3], v[11:12]
	s_wait_alu 0xfffe
	s_and_not1_b32 exec_lo, exec_lo, s4
	s_cbranch_execnz .LBB13_161
; %bb.162:
	s_or_b32 exec_lo, exec_lo, s4
.LBB13_163:
	s_wait_alu 0xfffe
	s_or_b32 exec_lo, exec_lo, s3
	s_delay_alu instid0(VALU_DEP_1) | instskip(SKIP_2) | instid1(VALU_DEP_1)
	v_mad_co_u64_u32 v[6:7], null, v6, s1, v[1:2]
	s_mov_b32 s3, exec_lo
	v_sub_nc_u32_e32 v1, v4, v6
	v_cmpx_lt_i32_e64 v9, v1
	s_cbranch_execz .LBB13_165
; %bb.164:
	v_lshl_add_u32 v1, v6, 3, v8
	ds_load_b64 v[6:7], v1
	s_wait_dscnt 0x0
	v_add_f64_e32 v[2:3], v[2:3], v[6:7]
.LBB13_165:
	s_wait_alu 0xfffe
	s_or_b32 exec_lo, exec_lo, s3
.LBB13_166:
	s_wait_alu 0xfffe
	s_or_b32 exec_lo, exec_lo, s2
	v_cmp_gt_i32_e32 vcc_lo, s21, v0
	s_wait_loadcnt 0x0
	s_barrier_signal -1
	s_barrier_wait -1
	global_inv scope:SCOPE_SE
	ds_store_b64 v16, v[2:3]
	s_wait_loadcnt_dscnt 0x0
	s_barrier_signal -1
	s_barrier_wait -1
	global_inv scope:SCOPE_SE
	s_and_b32 exec_lo, exec_lo, vcc_lo
	s_cbranch_execz .LBB13_171
; %bb.167:
	v_mul_lo_u32 v1, s1, v0
	v_mov_b32_e32 v7, 0
	s_delay_alu instid0(VALU_DEP_2)
	v_dual_mov_b32 v8, 0 :: v_dual_lshlrev_b32 v1, 3, v1
.LBB13_168:                             ; =>This Inner Loop Header: Depth=1
	ds_load_b64 v[2:3], v1
	v_add_nc_u32_e32 v1, 8, v1
	s_add_co_i32 s1, s1, -1
	s_wait_alu 0xfffe
	s_cmp_eq_u32 s1, 0
	s_wait_dscnt 0x0
	v_add_f64_e32 v[7:8], v[7:8], v[2:3]
	s_cbranch_scc0 .LBB13_168
; %bb.169:
	v_ashrrev_i32_e32 v6, 31, v5
	v_lshlrev_b32_e32 v0, 3, v0
	s_lshl_b32 s0, s0, 3
	s_delay_alu instid0(VALU_DEP_2) | instskip(SKIP_1) | instid1(VALU_DEP_2)
	v_lshlrev_b64_e32 v[1:2], 3, v[5:6]
	s_wait_alu 0xfffe
	v_add3_u32 v0, 0x2000, s0, v0
	s_mov_b32 s0, 0
	s_delay_alu instid0(VALU_DEP_2)
	v_add_co_u32 v4, vcc_lo, s16, v1
	s_wait_alu 0xfffd
	v_add_co_ci_u32_e64 v5, null, s17, v2, vcc_lo
	ds_load_b64 v[0:1], v0
	global_load_b64 v[2:3], v[4:5], off
	s_wait_dscnt 0x0
	v_add_f64_e32 v[6:7], v[7:8], v[0:1]
.LBB13_170:                             ; =>This Inner Loop Header: Depth=1
	s_wait_loadcnt 0x0
	s_delay_alu instid0(VALU_DEP_1)
	v_add_f64_e32 v[0:1], v[2:3], v[6:7]
	global_atomic_cmpswap_b64 v[0:1], v[4:5], v[0:3], off th:TH_ATOMIC_RETURN scope:SCOPE_DEV
	s_wait_loadcnt 0x0
	v_cmp_eq_u64_e32 vcc_lo, v[0:1], v[2:3]
	v_dual_mov_b32 v3, v1 :: v_dual_mov_b32 v2, v0
	s_wait_alu 0xfffe
	s_or_b32 s0, vcc_lo, s0
	s_wait_alu 0xfffe
	s_and_not1_b32 exec_lo, exec_lo, s0
	s_cbranch_execnz .LBB13_170
.LBB13_171:
	s_endpgm
	.section	.rodata,"a",@progbits
	.p2align	6, 0x0
	.amdhsa_kernel _ZN9rocsparseL27csrmvn_symm_adaptive_kernelIiiddddEEvbT_S1_PKS1_NS_24const_host_device_scalarIT4_EES3_PKT0_PKT1_PKT2_S6_PT3_21rocsparse_index_base_b
		.amdhsa_group_segment_fixed_size 8192
		.amdhsa_private_segment_fixed_size 0
		.amdhsa_kernarg_size 344
		.amdhsa_user_sgpr_count 2
		.amdhsa_user_sgpr_dispatch_ptr 0
		.amdhsa_user_sgpr_queue_ptr 0
		.amdhsa_user_sgpr_kernarg_segment_ptr 1
		.amdhsa_user_sgpr_dispatch_id 0
		.amdhsa_user_sgpr_private_segment_size 0
		.amdhsa_wavefront_size32 1
		.amdhsa_uses_dynamic_stack 0
		.amdhsa_enable_private_segment 0
		.amdhsa_system_sgpr_workgroup_id_x 1
		.amdhsa_system_sgpr_workgroup_id_y 0
		.amdhsa_system_sgpr_workgroup_id_z 0
		.amdhsa_system_sgpr_workgroup_info 0
		.amdhsa_system_vgpr_workitem_id 0
		.amdhsa_next_free_vgpr 21
		.amdhsa_next_free_sgpr 30
		.amdhsa_reserve_vcc 1
		.amdhsa_float_round_mode_32 0
		.amdhsa_float_round_mode_16_64 0
		.amdhsa_float_denorm_mode_32 3
		.amdhsa_float_denorm_mode_16_64 3
		.amdhsa_fp16_overflow 0
		.amdhsa_workgroup_processor_mode 1
		.amdhsa_memory_ordered 1
		.amdhsa_forward_progress 1
		.amdhsa_inst_pref_size 67
		.amdhsa_round_robin_scheduling 0
		.amdhsa_exception_fp_ieee_invalid_op 0
		.amdhsa_exception_fp_denorm_src 0
		.amdhsa_exception_fp_ieee_div_zero 0
		.amdhsa_exception_fp_ieee_overflow 0
		.amdhsa_exception_fp_ieee_underflow 0
		.amdhsa_exception_fp_ieee_inexact 0
		.amdhsa_exception_int_div_zero 0
	.end_amdhsa_kernel
	.section	.text._ZN9rocsparseL27csrmvn_symm_adaptive_kernelIiiddddEEvbT_S1_PKS1_NS_24const_host_device_scalarIT4_EES3_PKT0_PKT1_PKT2_S6_PT3_21rocsparse_index_base_b,"axG",@progbits,_ZN9rocsparseL27csrmvn_symm_adaptive_kernelIiiddddEEvbT_S1_PKS1_NS_24const_host_device_scalarIT4_EES3_PKT0_PKT1_PKT2_S6_PT3_21rocsparse_index_base_b,comdat
.Lfunc_end13:
	.size	_ZN9rocsparseL27csrmvn_symm_adaptive_kernelIiiddddEEvbT_S1_PKS1_NS_24const_host_device_scalarIT4_EES3_PKT0_PKT1_PKT2_S6_PT3_21rocsparse_index_base_b, .Lfunc_end13-_ZN9rocsparseL27csrmvn_symm_adaptive_kernelIiiddddEEvbT_S1_PKS1_NS_24const_host_device_scalarIT4_EES3_PKT0_PKT1_PKT2_S6_PT3_21rocsparse_index_base_b
                                        ; -- End function
	.set _ZN9rocsparseL27csrmvn_symm_adaptive_kernelIiiddddEEvbT_S1_PKS1_NS_24const_host_device_scalarIT4_EES3_PKT0_PKT1_PKT2_S6_PT3_21rocsparse_index_base_b.num_vgpr, 21
	.set _ZN9rocsparseL27csrmvn_symm_adaptive_kernelIiiddddEEvbT_S1_PKS1_NS_24const_host_device_scalarIT4_EES3_PKT0_PKT1_PKT2_S6_PT3_21rocsparse_index_base_b.num_agpr, 0
	.set _ZN9rocsparseL27csrmvn_symm_adaptive_kernelIiiddddEEvbT_S1_PKS1_NS_24const_host_device_scalarIT4_EES3_PKT0_PKT1_PKT2_S6_PT3_21rocsparse_index_base_b.numbered_sgpr, 30
	.set _ZN9rocsparseL27csrmvn_symm_adaptive_kernelIiiddddEEvbT_S1_PKS1_NS_24const_host_device_scalarIT4_EES3_PKT0_PKT1_PKT2_S6_PT3_21rocsparse_index_base_b.num_named_barrier, 0
	.set _ZN9rocsparseL27csrmvn_symm_adaptive_kernelIiiddddEEvbT_S1_PKS1_NS_24const_host_device_scalarIT4_EES3_PKT0_PKT1_PKT2_S6_PT3_21rocsparse_index_base_b.private_seg_size, 0
	.set _ZN9rocsparseL27csrmvn_symm_adaptive_kernelIiiddddEEvbT_S1_PKS1_NS_24const_host_device_scalarIT4_EES3_PKT0_PKT1_PKT2_S6_PT3_21rocsparse_index_base_b.uses_vcc, 1
	.set _ZN9rocsparseL27csrmvn_symm_adaptive_kernelIiiddddEEvbT_S1_PKS1_NS_24const_host_device_scalarIT4_EES3_PKT0_PKT1_PKT2_S6_PT3_21rocsparse_index_base_b.uses_flat_scratch, 0
	.set _ZN9rocsparseL27csrmvn_symm_adaptive_kernelIiiddddEEvbT_S1_PKS1_NS_24const_host_device_scalarIT4_EES3_PKT0_PKT1_PKT2_S6_PT3_21rocsparse_index_base_b.has_dyn_sized_stack, 0
	.set _ZN9rocsparseL27csrmvn_symm_adaptive_kernelIiiddddEEvbT_S1_PKS1_NS_24const_host_device_scalarIT4_EES3_PKT0_PKT1_PKT2_S6_PT3_21rocsparse_index_base_b.has_recursion, 0
	.set _ZN9rocsparseL27csrmvn_symm_adaptive_kernelIiiddddEEvbT_S1_PKS1_NS_24const_host_device_scalarIT4_EES3_PKT0_PKT1_PKT2_S6_PT3_21rocsparse_index_base_b.has_indirect_call, 0
	.section	.AMDGPU.csdata,"",@progbits
; Kernel info:
; codeLenInByte = 8568
; TotalNumSgprs: 32
; NumVgprs: 21
; ScratchSize: 0
; MemoryBound: 0
; FloatMode: 240
; IeeeMode: 1
; LDSByteSize: 8192 bytes/workgroup (compile time only)
; SGPRBlocks: 0
; VGPRBlocks: 2
; NumSGPRsForWavesPerEU: 32
; NumVGPRsForWavesPerEU: 21
; Occupancy: 16
; WaveLimiterHint : 1
; COMPUTE_PGM_RSRC2:SCRATCH_EN: 0
; COMPUTE_PGM_RSRC2:USER_SGPR: 2
; COMPUTE_PGM_RSRC2:TRAP_HANDLER: 0
; COMPUTE_PGM_RSRC2:TGID_X_EN: 1
; COMPUTE_PGM_RSRC2:TGID_Y_EN: 0
; COMPUTE_PGM_RSRC2:TGID_Z_EN: 0
; COMPUTE_PGM_RSRC2:TIDIG_COMP_CNT: 0
	.section	.text._ZL33csrmvn_symm_large_adaptive_kernelIiiddddEvbT_PKS0_N9rocsparse24const_host_device_scalarIT4_EES2_PKT0_PKT1_PKT2_S6_PT3_21rocsparse_index_base_b,"axG",@progbits,_ZL33csrmvn_symm_large_adaptive_kernelIiiddddEvbT_PKS0_N9rocsparse24const_host_device_scalarIT4_EES2_PKT0_PKT1_PKT2_S6_PT3_21rocsparse_index_base_b,comdat
	.globl	_ZL33csrmvn_symm_large_adaptive_kernelIiiddddEvbT_PKS0_N9rocsparse24const_host_device_scalarIT4_EES2_PKT0_PKT1_PKT2_S6_PT3_21rocsparse_index_base_b ; -- Begin function _ZL33csrmvn_symm_large_adaptive_kernelIiiddddEvbT_PKS0_N9rocsparse24const_host_device_scalarIT4_EES2_PKT0_PKT1_PKT2_S6_PT3_21rocsparse_index_base_b
	.p2align	8
	.type	_ZL33csrmvn_symm_large_adaptive_kernelIiiddddEvbT_PKS0_N9rocsparse24const_host_device_scalarIT4_EES2_PKT0_PKT1_PKT2_S6_PT3_21rocsparse_index_base_b,@function
_ZL33csrmvn_symm_large_adaptive_kernelIiiddddEvbT_PKS0_N9rocsparse24const_host_device_scalarIT4_EES2_PKT0_PKT1_PKT2_S6_PT3_21rocsparse_index_base_b: ; @_ZL33csrmvn_symm_large_adaptive_kernelIiiddddEvbT_PKS0_N9rocsparse24const_host_device_scalarIT4_EES2_PKT0_PKT1_PKT2_S6_PT3_21rocsparse_index_base_b
; %bb.0:
	s_clause 0x2
	s_load_b64 s[6:7], s[0:1], 0x48
	s_load_b64 s[4:5], s[0:1], 0x10
	;; [unrolled: 1-line block ×3, first 2 shown]
	s_wait_kmcnt 0x0
	s_bitcmp1_b32 s7, 0
	v_dual_mov_b32 v4, s4 :: v_dual_mov_b32 v5, s5
	s_cselect_b32 s7, -1, 0
	s_delay_alu instid0(SALU_CYCLE_1)
	s_and_b32 vcc_lo, exec_lo, s7
	s_xor_b32 s7, s7, -1
	s_cbranch_vccnz .LBB14_2
; %bb.1:
	v_dual_mov_b32 v1, s4 :: v_dual_mov_b32 v2, s5
	flat_load_b64 v[4:5], v[1:2]
.LBB14_2:
	v_dual_mov_b32 v1, s2 :: v_dual_mov_b32 v2, s3
	s_and_not1_b32 vcc_lo, exec_lo, s7
	s_cbranch_vccnz .LBB14_4
; %bb.3:
	v_dual_mov_b32 v1, s2 :: v_dual_mov_b32 v2, s3
	flat_load_b64 v[1:2], v[1:2]
.LBB14_4:
	s_wait_loadcnt_dscnt 0x0
	v_cmp_neq_f64_e32 vcc_lo, 0, v[4:5]
	v_cmp_neq_f64_e64 s2, 1.0, v[1:2]
	s_or_b32 s2, vcc_lo, s2
	s_wait_alu 0xfffe
	s_and_saveexec_b32 s3, s2
	s_cbranch_execz .LBB14_37
; %bb.5:
	s_load_b64 s[4:5], s[0:1], 0x8
	s_mov_b32 s8, 0
	s_mov_b32 s2, ttmp9
	s_mov_b32 s9, s8
	v_dual_mov_b32 v1, s8 :: v_dual_lshlrev_b32 v10, 3, v0
	s_ashr_i32 s3, ttmp9, 31
	v_mov_b32_e32 v2, s9
	s_wait_alu 0xfffe
	s_lshl_b64 s[2:3], s[2:3], 2
	ds_store_2addr_stride64_b64 v10, v[1:2], v[1:2] offset1:4
	ds_store_2addr_stride64_b64 v10, v[1:2], v[1:2] offset0:8 offset1:12
	s_wait_dscnt 0x0
	s_barrier_signal -1
	s_barrier_wait -1
	global_inv scope:SCOPE_SE
	v_subrev_nc_u32_e32 v11, s6, v0
	s_wait_kmcnt 0x0
	s_wait_alu 0xfffe
	s_add_nc_u64 s[2:3], s[4:5], s[2:3]
	s_load_b64 s[16:17], s[2:3], 0x0
	s_clause 0x1
	s_load_b256 s[8:15], s[0:1], 0x18
	s_load_b64 s[18:19], s[0:1], 0x40
	s_wait_kmcnt 0x0
	s_cmp_ge_i32 s16, s17
	s_cbranch_scc1 .LBB14_27
; %bb.6:
	v_cmp_gt_u32_e64 s0, 16, v0
	v_cmp_gt_u32_e64 s1, 4, v0
	v_cmp_eq_u32_e64 s2, 0, v0
	v_mov_b32_e32 v12, 0
	s_mov_b32 s20, s16
	v_cmp_gt_u32_e32 vcc_lo, 64, v0
	s_branch .LBB14_8
.LBB14_7:                               ;   in Loop: Header=BB14_8 Depth=1
	s_wait_alu 0xfffe
	s_or_b32 exec_lo, exec_lo, s7
	s_add_co_i32 s20, s20, 1
	s_delay_alu instid0(SALU_CYCLE_1)
	s_cmp_ge_i32 s20, s17
	s_cbranch_scc1 .LBB14_27
.LBB14_8:                               ; =>This Loop Header: Depth=1
                                        ;     Child Loop BB14_10 Depth 2
                                        ;     Child Loop BB14_22 Depth 2
	;; [unrolled: 1-line block ×3, first 2 shown]
	s_ashr_i32 s21, s20, 31
	v_mov_b32_e32 v2, 0
	s_lshl_b64 s[4:5], s[20:21], 2
	v_mov_b32_e32 v3, 0
	s_wait_alu 0xfffe
	s_add_nc_u64 s[4:5], s[8:9], s[4:5]
	s_load_b64 s[4:5], s[4:5], 0x0
	s_wait_kmcnt 0x0
	v_add_nc_u32_e32 v0, s4, v11
	s_sub_co_i32 s7, s5, s6
	s_mov_b32 s5, exec_lo
	s_wait_alu 0xfffe
	s_delay_alu instid0(VALU_DEP_1)
	v_cmpx_gt_i32_e64 s7, v0
	s_cbranch_execz .LBB14_12
; %bb.9:                                ;   in Loop: Header=BB14_8 Depth=1
	v_ashrrev_i32_e32 v1, 31, v0
	v_mov_b32_e32 v2, 0
	v_mov_b32_e32 v3, 0
	s_mov_b32 s22, 0
	s_delay_alu instid0(VALU_DEP_3) | instskip(SKIP_1) | instid1(VALU_DEP_2)
	v_lshlrev_b64_e32 v[6:7], 2, v[0:1]
	v_lshlrev_b64_e32 v[8:9], 3, v[0:1]
	v_add_co_u32 v6, s3, s10, v6
	s_wait_alu 0xf1ff
	s_delay_alu instid0(VALU_DEP_3) | instskip(NEXT) | instid1(VALU_DEP_3)
	v_add_co_ci_u32_e64 v7, null, s11, v7, s3
	v_add_co_u32 v8, s3, s12, v8
	s_wait_alu 0xf1ff
	v_add_co_ci_u32_e64 v9, null, s13, v9, s3
.LBB14_10:                              ;   Parent Loop BB14_8 Depth=1
                                        ; =>  This Inner Loop Header: Depth=2
	global_load_b32 v1, v[6:7], off
	v_add_nc_u32_e32 v0, 0x100, v0
	s_wait_loadcnt 0x0
	v_subrev_nc_u32_e32 v13, s6, v1
	s_delay_alu instid0(VALU_DEP_1) | instskip(NEXT) | instid1(VALU_DEP_1)
	v_ashrrev_i32_e32 v14, 31, v13
	v_lshlrev_b64_e32 v[13:14], 3, v[13:14]
	s_delay_alu instid0(VALU_DEP_1) | instskip(SKIP_1) | instid1(VALU_DEP_2)
	v_add_co_u32 v13, s3, s14, v13
	s_wait_alu 0xf1ff
	v_add_co_ci_u32_e64 v14, null, s15, v14, s3
	v_add_co_u32 v6, s3, 0x400, v6
	global_load_b64 v[15:16], v[8:9], off
	global_load_b64 v[13:14], v[13:14], off
	s_wait_alu 0xf1ff
	v_add_co_ci_u32_e64 v7, null, 0, v7, s3
	v_cmp_le_i32_e64 s3, s7, v0
	v_add_co_u32 v8, s4, 0x800, v8
	s_wait_alu 0xf1ff
	v_add_co_ci_u32_e64 v9, null, 0, v9, s4
	s_wait_alu 0xfffe
	s_or_b32 s22, s3, s22
	s_wait_loadcnt 0x0
	v_fma_f64 v[2:3], v[15:16], v[13:14], v[2:3]
	s_wait_alu 0xfffe
	s_and_not1_b32 exec_lo, exec_lo, s22
	s_cbranch_execnz .LBB14_10
; %bb.11:                               ;   in Loop: Header=BB14_8 Depth=1
	s_or_b32 exec_lo, exec_lo, s22
.LBB14_12:                              ;   in Loop: Header=BB14_8 Depth=1
	s_delay_alu instid0(SALU_CYCLE_1)
	s_or_b32 exec_lo, exec_lo, s5
	ds_store_b64 v10, v[2:3]
	s_wait_loadcnt_dscnt 0x0
	s_barrier_signal -1
	s_barrier_wait -1
	global_inv scope:SCOPE_SE
	ds_load_2addr_stride64_b64 v[0:3], v10 offset1:4
	ds_load_2addr_stride64_b64 v[6:9], v10 offset0:8 offset1:12
	s_wait_dscnt 0x0
	v_add_f64_e32 v[2:3], v[2:3], v[6:7]
	s_delay_alu instid0(VALU_DEP_1) | instskip(NEXT) | instid1(VALU_DEP_1)
	v_add_f64_e32 v[2:3], v[2:3], v[8:9]
	v_add_f64_e32 v[0:1], v[0:1], v[2:3]
	ds_store_b64 v10, v[0:1]
	s_wait_loadcnt_dscnt 0x0
	s_barrier_signal -1
	s_barrier_wait -1
	global_inv scope:SCOPE_SE
	s_and_saveexec_b32 s3, vcc_lo
	s_cbranch_execz .LBB14_14
; %bb.13:                               ;   in Loop: Header=BB14_8 Depth=1
	ds_load_2addr_stride64_b64 v[0:3], v10 offset1:1
	ds_load_2addr_stride64_b64 v[6:9], v10 offset0:2 offset1:3
	s_wait_dscnt 0x0
	v_add_f64_e32 v[2:3], v[2:3], v[6:7]
	s_delay_alu instid0(VALU_DEP_1) | instskip(NEXT) | instid1(VALU_DEP_1)
	v_add_f64_e32 v[2:3], v[2:3], v[8:9]
	v_add_f64_e32 v[0:1], v[0:1], v[2:3]
	ds_store_b64 v10, v[0:1]
.LBB14_14:                              ;   in Loop: Header=BB14_8 Depth=1
	s_wait_alu 0xfffe
	s_or_b32 exec_lo, exec_lo, s3
	s_wait_loadcnt_dscnt 0x0
	s_barrier_signal -1
	s_barrier_wait -1
	global_inv scope:SCOPE_SE
	s_and_saveexec_b32 s3, s0
	s_cbranch_execz .LBB14_16
; %bb.15:                               ;   in Loop: Header=BB14_8 Depth=1
	ds_load_2addr_b64 v[0:3], v10 offset1:16
	ds_load_2addr_b64 v[6:9], v10 offset0:32 offset1:48
	s_wait_dscnt 0x0
	v_add_f64_e32 v[2:3], v[2:3], v[6:7]
	s_delay_alu instid0(VALU_DEP_1) | instskip(NEXT) | instid1(VALU_DEP_1)
	v_add_f64_e32 v[2:3], v[2:3], v[8:9]
	v_add_f64_e32 v[0:1], v[0:1], v[2:3]
	ds_store_b64 v10, v[0:1]
.LBB14_16:                              ;   in Loop: Header=BB14_8 Depth=1
	s_wait_alu 0xfffe
	s_or_b32 exec_lo, exec_lo, s3
	s_wait_loadcnt_dscnt 0x0
	s_barrier_signal -1
	s_barrier_wait -1
	global_inv scope:SCOPE_SE
	s_and_saveexec_b32 s3, s1
	s_cbranch_execz .LBB14_18
; %bb.17:                               ;   in Loop: Header=BB14_8 Depth=1
	ds_load_2addr_b64 v[0:3], v10 offset1:4
	ds_load_2addr_b64 v[6:9], v10 offset0:8 offset1:12
	s_wait_dscnt 0x0
	v_add_f64_e32 v[2:3], v[2:3], v[6:7]
	s_delay_alu instid0(VALU_DEP_1) | instskip(NEXT) | instid1(VALU_DEP_1)
	v_add_f64_e32 v[2:3], v[2:3], v[8:9]
	v_add_f64_e32 v[0:1], v[0:1], v[2:3]
	ds_store_b64 v10, v[0:1]
.LBB14_18:                              ;   in Loop: Header=BB14_8 Depth=1
	s_wait_alu 0xfffe
	s_or_b32 exec_lo, exec_lo, s3
	s_wait_loadcnt_dscnt 0x0
	s_barrier_signal -1
	s_barrier_wait -1
	global_inv scope:SCOPE_SE
	s_and_saveexec_b32 s3, s2
	s_cbranch_execz .LBB14_20
; %bb.19:                               ;   in Loop: Header=BB14_8 Depth=1
	ds_load_2addr_b64 v[0:3], v12 offset0:1 offset1:2
	ds_load_b64 v[6:7], v10
	s_wait_dscnt 0x1
	v_add_f64_e32 v[0:1], v[0:1], v[2:3]
	ds_load_b64 v[2:3], v12 offset:24
	s_wait_dscnt 0x0
	v_add_f64_e32 v[0:1], v[0:1], v[2:3]
	s_delay_alu instid0(VALU_DEP_1)
	v_add_f64_e32 v[0:1], v[6:7], v[0:1]
	ds_store_b64 v10, v[0:1]
.LBB14_20:                              ;   in Loop: Header=BB14_8 Depth=1
	s_wait_alu 0xfffe
	s_or_b32 exec_lo, exec_lo, s3
	s_wait_loadcnt_dscnt 0x0
	s_barrier_signal -1
	s_barrier_wait -1
	global_inv scope:SCOPE_SE
	s_and_saveexec_b32 s7, s2
	s_cbranch_execz .LBB14_7
; %bb.21:                               ;   in Loop: Header=BB14_8 Depth=1
	ds_load_b64 v[0:1], v12
	v_mov_b32_e32 v6, 0
	v_bfrev_b32_e32 v7, 1
	s_mov_b32 s3, exec_lo
	s_wait_dscnt 0x0
	v_mul_f64_e32 v[0:1], v[4:5], v[0:1]
.LBB14_22:                              ;   Parent Loop BB14_8 Depth=1
                                        ; =>  This Inner Loop Header: Depth=2
	s_wait_alu 0xfffe
	s_ctz_i32_b32 s22, s3
	s_wait_alu 0xfffe
	s_delay_alu instid0(VALU_DEP_1) | instskip(NEXT) | instid1(VALU_DEP_2)
	v_readlane_b32 s5, v1, s22
	v_readlane_b32 s4, v0, s22
	s_wait_alu 0xf1ff
	s_delay_alu instid0(VALU_DEP_1)
	v_add_f64_e32 v[6:7], s[4:5], v[6:7]
	s_lshl_b32 s4, 1, s22
	s_wait_alu 0xfffe
	s_and_not1_b32 s3, s3, s4
	s_wait_alu 0xfffe
	s_cmp_lg_u32 s3, 0
	s_cbranch_scc1 .LBB14_22
; %bb.23:                               ;   in Loop: Header=BB14_8 Depth=1
	v_mbcnt_lo_u32_b32 v0, exec_lo, 0
	s_mov_b32 s4, exec_lo
	s_delay_alu instid0(VALU_DEP_1)
	v_cmpx_eq_u32_e32 0, v0
	s_wait_alu 0xfffe
	s_xor_b32 s4, exec_lo, s4
	s_cbranch_execz .LBB14_7
; %bb.24:                               ;   in Loop: Header=BB14_8 Depth=1
	s_lshl_b64 s[4:5], s[20:21], 3
	s_mov_b32 s21, 0
	s_wait_alu 0xfffe
	s_add_nc_u64 s[4:5], s[18:19], s[4:5]
	global_load_b64 v[2:3], v12, s[4:5]
.LBB14_25:                              ;   Parent Loop BB14_8 Depth=1
                                        ; =>  This Inner Loop Header: Depth=2
	s_wait_loadcnt 0x0
	v_add_f64_e32 v[0:1], v[2:3], v[6:7]
	global_atomic_cmpswap_b64 v[0:1], v12, v[0:3], s[4:5] th:TH_ATOMIC_RETURN scope:SCOPE_DEV
	s_wait_loadcnt 0x0
	v_cmp_eq_u64_e64 s3, v[0:1], v[2:3]
	v_dual_mov_b32 v3, v1 :: v_dual_mov_b32 v2, v0
	s_or_b32 s21, s3, s21
	s_delay_alu instid0(SALU_CYCLE_1)
	s_and_not1_b32 exec_lo, exec_lo, s21
	s_cbranch_execnz .LBB14_25
; %bb.26:                               ;   in Loop: Header=BB14_8 Depth=1
	s_or_b32 exec_lo, exec_lo, s21
	s_branch .LBB14_7
.LBB14_27:
	s_ashr_i32 s1, s16, 31
	s_mov_b32 s0, s16
	s_ashr_i32 s3, s17, 31
	s_lshl_b64 s[0:1], s[0:1], 2
	s_mov_b32 s2, s17
	s_add_nc_u64 s[0:1], s[8:9], s[0:1]
	s_wait_alu 0xfffe
	s_lshl_b64 s[2:3], s[2:3], 2
	s_load_b32 s4, s[0:1], 0x0
	s_add_nc_u64 s[0:1], s[8:9], s[2:3]
	s_load_b32 s0, s[0:1], 0x0
	s_wait_kmcnt 0x0
	v_add_nc_u32_e32 v6, s4, v11
	s_sub_co_i32 s1, s0, s6
	s_delay_alu instid0(VALU_DEP_1) | instid1(SALU_CYCLE_1)
	v_cmp_gt_i32_e32 vcc_lo, s1, v6
	s_and_b32 exec_lo, exec_lo, vcc_lo
	s_cbranch_execz .LBB14_37
; %bb.28:
	s_add_co_i32 s2, s17, -1
	s_mov_b32 s4, 0
	s_wait_alu 0xfffe
	s_cmp_lt_i32 s16, s2
	s_cselect_b32 s0, -1, 0
	s_add_co_i32 s3, s17, -2
	s_wait_alu 0xfffe
	s_cmp_lg_u32 s16, s3
	s_cselect_b32 s3, -1, 0
	s_wait_alu 0xfffe
	s_and_b32 s3, s0, s3
	s_branch .LBB14_30
.LBB14_29:                              ;   in Loop: Header=BB14_30 Depth=1
	s_wait_alu 0xfffe
	s_or_b32 exec_lo, exec_lo, s0
	v_add_nc_u32_e32 v6, 0x100, v6
	s_delay_alu instid0(VALU_DEP_1)
	v_cmp_le_i32_e32 vcc_lo, s1, v6
	s_or_b32 s4, vcc_lo, s4
	s_wait_alu 0xfffe
	s_and_not1_b32 exec_lo, exec_lo, s4
	s_cbranch_execz .LBB14_37
.LBB14_30:                              ; =>This Loop Header: Depth=1
                                        ;     Child Loop BB14_32 Depth 2
                                        ;     Child Loop BB14_36 Depth 2
	v_mov_b32_e32 v2, s16
	v_mov_b32_e32 v0, s2
	s_wait_alu 0xfffe
	s_and_not1_b32 vcc_lo, exec_lo, s3
	s_wait_alu 0xfffe
	s_cbranch_vccnz .LBB14_34
; %bb.31:                               ;   in Loop: Header=BB14_30 Depth=1
	v_mov_b32_e32 v2, s16
	v_mov_b32_e32 v0, s2
	s_mov_b32 s5, 0
.LBB14_32:                              ;   Parent Loop BB14_30 Depth=1
                                        ; =>  This Inner Loop Header: Depth=2
	s_delay_alu instid0(VALU_DEP_1) | instskip(NEXT) | instid1(VALU_DEP_1)
	v_add_nc_u32_e32 v1, v0, v2
	v_lshrrev_b32_e32 v3, 31, v1
	s_delay_alu instid0(VALU_DEP_1) | instskip(NEXT) | instid1(VALU_DEP_1)
	v_add_nc_u32_e32 v1, v1, v3
	v_ashrrev_i32_e32 v7, 1, v1
	s_delay_alu instid0(VALU_DEP_1) | instskip(NEXT) | instid1(VALU_DEP_1)
	v_ashrrev_i32_e32 v8, 31, v7
	v_lshlrev_b64_e32 v[8:9], 2, v[7:8]
	s_delay_alu instid0(VALU_DEP_1) | instskip(SKIP_1) | instid1(VALU_DEP_2)
	v_add_co_u32 v8, vcc_lo, s8, v8
	s_wait_alu 0xfffd
	v_add_co_ci_u32_e64 v9, null, s9, v9, vcc_lo
	global_load_b32 v1, v[8:9], off
	s_wait_loadcnt 0x0
	v_subrev_nc_u32_e32 v1, s6, v1
	s_delay_alu instid0(VALU_DEP_1) | instskip(SKIP_2) | instid1(VALU_DEP_1)
	v_cmp_lt_i32_e32 vcc_lo, v6, v1
	s_wait_alu 0xfffd
	v_cndmask_b32_e32 v0, v0, v7, vcc_lo
	v_dual_cndmask_b32 v2, v7, v2 :: v_dual_add_nc_u32 v1, -1, v0
	s_delay_alu instid0(VALU_DEP_1) | instskip(NEXT) | instid1(VALU_DEP_2)
	v_cmp_ge_i32_e32 vcc_lo, v2, v0
	v_cmp_eq_u32_e64 s0, v2, v1
	s_or_b32 s0, vcc_lo, s0
	s_wait_alu 0xfffe
	s_and_b32 s0, exec_lo, s0
	s_wait_alu 0xfffe
	s_or_b32 s5, s0, s5
	s_wait_alu 0xfffe
	s_and_not1_b32 exec_lo, exec_lo, s5
	s_cbranch_execnz .LBB14_32
; %bb.33:                               ;   in Loop: Header=BB14_30 Depth=1
	s_or_b32 exec_lo, exec_lo, s5
.LBB14_34:                              ;   in Loop: Header=BB14_30 Depth=1
	v_ashrrev_i32_e32 v1, 31, v0
	v_ashrrev_i32_e32 v7, 31, v6
	s_mov_b32 s0, exec_lo
	s_delay_alu instid0(VALU_DEP_2) | instskip(NEXT) | instid1(VALU_DEP_2)
	v_lshlrev_b64_e32 v[8:9], 2, v[0:1]
	v_lshlrev_b64_e32 v[10:11], 2, v[6:7]
	s_delay_alu instid0(VALU_DEP_2) | instskip(SKIP_1) | instid1(VALU_DEP_3)
	v_add_co_u32 v8, vcc_lo, s8, v8
	s_wait_alu 0xfffd
	v_add_co_ci_u32_e64 v9, null, s9, v9, vcc_lo
	global_load_b32 v1, v[8:9], off
	v_add_co_u32 v8, vcc_lo, s10, v10
	s_wait_alu 0xfffd
	v_add_co_ci_u32_e64 v9, null, s11, v11, vcc_lo
	global_load_b32 v3, v[8:9], off
	s_wait_loadcnt 0x1
	v_subrev_nc_u32_e32 v1, s6, v1
	s_delay_alu instid0(VALU_DEP_1) | instskip(SKIP_4) | instid1(VALU_DEP_1)
	v_cmp_lt_i32_e32 vcc_lo, v6, v1
	s_wait_alu 0xfffd
	v_cndmask_b32_e32 v1, v0, v2, vcc_lo
	s_wait_loadcnt 0x0
	v_subrev_nc_u32_e32 v0, s6, v3
	v_cmpx_ne_u32_e64 v0, v1
	s_cbranch_execz .LBB14_29
; %bb.35:                               ;   in Loop: Header=BB14_30 Depth=1
	v_lshlrev_b64_e32 v[2:3], 3, v[6:7]
	s_mov_b32 s5, 0
	s_delay_alu instid0(VALU_DEP_1) | instskip(SKIP_1) | instid1(VALU_DEP_2)
	v_add_co_u32 v2, vcc_lo, s12, v2
	s_wait_alu 0xfffd
	v_add_co_ci_u32_e64 v3, null, s13, v3, vcc_lo
	global_load_b64 v[9:10], v[2:3], off
	v_ashrrev_i32_e32 v2, 31, v1
	s_delay_alu instid0(VALU_DEP_1) | instskip(NEXT) | instid1(VALU_DEP_1)
	v_lshlrev_b64_e32 v[1:2], 3, v[1:2]
	v_add_co_u32 v1, vcc_lo, s14, v1
	s_wait_alu 0xfffd
	s_delay_alu instid0(VALU_DEP_2) | instskip(SKIP_2) | instid1(VALU_DEP_1)
	v_add_co_ci_u32_e64 v2, null, s15, v2, vcc_lo
	global_load_b64 v[11:12], v[1:2], off
	v_ashrrev_i32_e32 v1, 31, v0
	v_lshlrev_b64_e32 v[0:1], 3, v[0:1]
	s_delay_alu instid0(VALU_DEP_1) | instskip(SKIP_1) | instid1(VALU_DEP_2)
	v_add_co_u32 v7, vcc_lo, s18, v0
	s_wait_alu 0xfffd
	v_add_co_ci_u32_e64 v8, null, s19, v1, vcc_lo
	global_load_b64 v[2:3], v[7:8], off
	s_wait_loadcnt 0x2
	v_mul_f64_e32 v[0:1], v[4:5], v[9:10]
	s_wait_loadcnt 0x1
	s_delay_alu instid0(VALU_DEP_1)
	v_mul_f64_e32 v[9:10], v[0:1], v[11:12]
.LBB14_36:                              ;   Parent Loop BB14_30 Depth=1
                                        ; =>  This Inner Loop Header: Depth=2
	s_wait_loadcnt 0x0
	s_delay_alu instid0(VALU_DEP_1)
	v_add_f64_e32 v[0:1], v[2:3], v[9:10]
	global_atomic_cmpswap_b64 v[0:1], v[7:8], v[0:3], off th:TH_ATOMIC_RETURN scope:SCOPE_DEV
	s_wait_loadcnt 0x0
	v_cmp_eq_u64_e32 vcc_lo, v[0:1], v[2:3]
	v_dual_mov_b32 v3, v1 :: v_dual_mov_b32 v2, v0
	s_wait_alu 0xfffe
	s_or_b32 s5, vcc_lo, s5
	s_wait_alu 0xfffe
	s_and_not1_b32 exec_lo, exec_lo, s5
	s_cbranch_execnz .LBB14_36
	s_branch .LBB14_29
.LBB14_37:
	s_endpgm
	.section	.rodata,"a",@progbits
	.p2align	6, 0x0
	.amdhsa_kernel _ZL33csrmvn_symm_large_adaptive_kernelIiiddddEvbT_PKS0_N9rocsparse24const_host_device_scalarIT4_EES2_PKT0_PKT1_PKT2_S6_PT3_21rocsparse_index_base_b
		.amdhsa_group_segment_fixed_size 8192
		.amdhsa_private_segment_fixed_size 0
		.amdhsa_kernarg_size 80
		.amdhsa_user_sgpr_count 2
		.amdhsa_user_sgpr_dispatch_ptr 0
		.amdhsa_user_sgpr_queue_ptr 0
		.amdhsa_user_sgpr_kernarg_segment_ptr 1
		.amdhsa_user_sgpr_dispatch_id 0
		.amdhsa_user_sgpr_private_segment_size 0
		.amdhsa_wavefront_size32 1
		.amdhsa_uses_dynamic_stack 0
		.amdhsa_enable_private_segment 0
		.amdhsa_system_sgpr_workgroup_id_x 1
		.amdhsa_system_sgpr_workgroup_id_y 0
		.amdhsa_system_sgpr_workgroup_id_z 0
		.amdhsa_system_sgpr_workgroup_info 0
		.amdhsa_system_vgpr_workitem_id 0
		.amdhsa_next_free_vgpr 17
		.amdhsa_next_free_sgpr 23
		.amdhsa_reserve_vcc 1
		.amdhsa_float_round_mode_32 0
		.amdhsa_float_round_mode_16_64 0
		.amdhsa_float_denorm_mode_32 3
		.amdhsa_float_denorm_mode_16_64 3
		.amdhsa_fp16_overflow 0
		.amdhsa_workgroup_processor_mode 1
		.amdhsa_memory_ordered 1
		.amdhsa_forward_progress 1
		.amdhsa_inst_pref_size 17
		.amdhsa_round_robin_scheduling 0
		.amdhsa_exception_fp_ieee_invalid_op 0
		.amdhsa_exception_fp_denorm_src 0
		.amdhsa_exception_fp_ieee_div_zero 0
		.amdhsa_exception_fp_ieee_overflow 0
		.amdhsa_exception_fp_ieee_underflow 0
		.amdhsa_exception_fp_ieee_inexact 0
		.amdhsa_exception_int_div_zero 0
	.end_amdhsa_kernel
	.section	.text._ZL33csrmvn_symm_large_adaptive_kernelIiiddddEvbT_PKS0_N9rocsparse24const_host_device_scalarIT4_EES2_PKT0_PKT1_PKT2_S6_PT3_21rocsparse_index_base_b,"axG",@progbits,_ZL33csrmvn_symm_large_adaptive_kernelIiiddddEvbT_PKS0_N9rocsparse24const_host_device_scalarIT4_EES2_PKT0_PKT1_PKT2_S6_PT3_21rocsparse_index_base_b,comdat
.Lfunc_end14:
	.size	_ZL33csrmvn_symm_large_adaptive_kernelIiiddddEvbT_PKS0_N9rocsparse24const_host_device_scalarIT4_EES2_PKT0_PKT1_PKT2_S6_PT3_21rocsparse_index_base_b, .Lfunc_end14-_ZL33csrmvn_symm_large_adaptive_kernelIiiddddEvbT_PKS0_N9rocsparse24const_host_device_scalarIT4_EES2_PKT0_PKT1_PKT2_S6_PT3_21rocsparse_index_base_b
                                        ; -- End function
	.set _ZL33csrmvn_symm_large_adaptive_kernelIiiddddEvbT_PKS0_N9rocsparse24const_host_device_scalarIT4_EES2_PKT0_PKT1_PKT2_S6_PT3_21rocsparse_index_base_b.num_vgpr, 17
	.set _ZL33csrmvn_symm_large_adaptive_kernelIiiddddEvbT_PKS0_N9rocsparse24const_host_device_scalarIT4_EES2_PKT0_PKT1_PKT2_S6_PT3_21rocsparse_index_base_b.num_agpr, 0
	.set _ZL33csrmvn_symm_large_adaptive_kernelIiiddddEvbT_PKS0_N9rocsparse24const_host_device_scalarIT4_EES2_PKT0_PKT1_PKT2_S6_PT3_21rocsparse_index_base_b.numbered_sgpr, 23
	.set _ZL33csrmvn_symm_large_adaptive_kernelIiiddddEvbT_PKS0_N9rocsparse24const_host_device_scalarIT4_EES2_PKT0_PKT1_PKT2_S6_PT3_21rocsparse_index_base_b.num_named_barrier, 0
	.set _ZL33csrmvn_symm_large_adaptive_kernelIiiddddEvbT_PKS0_N9rocsparse24const_host_device_scalarIT4_EES2_PKT0_PKT1_PKT2_S6_PT3_21rocsparse_index_base_b.private_seg_size, 0
	.set _ZL33csrmvn_symm_large_adaptive_kernelIiiddddEvbT_PKS0_N9rocsparse24const_host_device_scalarIT4_EES2_PKT0_PKT1_PKT2_S6_PT3_21rocsparse_index_base_b.uses_vcc, 1
	.set _ZL33csrmvn_symm_large_adaptive_kernelIiiddddEvbT_PKS0_N9rocsparse24const_host_device_scalarIT4_EES2_PKT0_PKT1_PKT2_S6_PT3_21rocsparse_index_base_b.uses_flat_scratch, 0
	.set _ZL33csrmvn_symm_large_adaptive_kernelIiiddddEvbT_PKS0_N9rocsparse24const_host_device_scalarIT4_EES2_PKT0_PKT1_PKT2_S6_PT3_21rocsparse_index_base_b.has_dyn_sized_stack, 0
	.set _ZL33csrmvn_symm_large_adaptive_kernelIiiddddEvbT_PKS0_N9rocsparse24const_host_device_scalarIT4_EES2_PKT0_PKT1_PKT2_S6_PT3_21rocsparse_index_base_b.has_recursion, 0
	.set _ZL33csrmvn_symm_large_adaptive_kernelIiiddddEvbT_PKS0_N9rocsparse24const_host_device_scalarIT4_EES2_PKT0_PKT1_PKT2_S6_PT3_21rocsparse_index_base_b.has_indirect_call, 0
	.section	.AMDGPU.csdata,"",@progbits
; Kernel info:
; codeLenInByte = 2080
; TotalNumSgprs: 25
; NumVgprs: 17
; ScratchSize: 0
; MemoryBound: 0
; FloatMode: 240
; IeeeMode: 1
; LDSByteSize: 8192 bytes/workgroup (compile time only)
; SGPRBlocks: 0
; VGPRBlocks: 2
; NumSGPRsForWavesPerEU: 25
; NumVGPRsForWavesPerEU: 17
; Occupancy: 16
; WaveLimiterHint : 1
; COMPUTE_PGM_RSRC2:SCRATCH_EN: 0
; COMPUTE_PGM_RSRC2:USER_SGPR: 2
; COMPUTE_PGM_RSRC2:TRAP_HANDLER: 0
; COMPUTE_PGM_RSRC2:TGID_X_EN: 1
; COMPUTE_PGM_RSRC2:TGID_Y_EN: 0
; COMPUTE_PGM_RSRC2:TGID_Z_EN: 0
; COMPUTE_PGM_RSRC2:TIDIG_COMP_CNT: 0
	.section	.text._ZN9rocsparseL22csrmvn_adaptive_kernelIliddddEEvbT_PKS1_PjPKT0_NS_24const_host_device_scalarIT4_EES3_S7_PKT1_PKT2_SA_PT3_21rocsparse_index_base_b,"axG",@progbits,_ZN9rocsparseL22csrmvn_adaptive_kernelIliddddEEvbT_PKS1_PjPKT0_NS_24const_host_device_scalarIT4_EES3_S7_PKT1_PKT2_SA_PT3_21rocsparse_index_base_b,comdat
	.globl	_ZN9rocsparseL22csrmvn_adaptive_kernelIliddddEEvbT_PKS1_PjPKT0_NS_24const_host_device_scalarIT4_EES3_S7_PKT1_PKT2_SA_PT3_21rocsparse_index_base_b ; -- Begin function _ZN9rocsparseL22csrmvn_adaptive_kernelIliddddEEvbT_PKS1_PjPKT0_NS_24const_host_device_scalarIT4_EES3_S7_PKT1_PKT2_SA_PT3_21rocsparse_index_base_b
	.p2align	8
	.type	_ZN9rocsparseL22csrmvn_adaptive_kernelIliddddEEvbT_PKS1_PjPKT0_NS_24const_host_device_scalarIT4_EES3_S7_PKT1_PKT2_SA_PT3_21rocsparse_index_base_b,@function
_ZN9rocsparseL22csrmvn_adaptive_kernelIliddddEEvbT_PKS1_PjPKT0_NS_24const_host_device_scalarIT4_EES3_S7_PKT1_PKT2_SA_PT3_21rocsparse_index_base_b: ; @_ZN9rocsparseL22csrmvn_adaptive_kernelIliddddEEvbT_PKS1_PjPKT0_NS_24const_host_device_scalarIT4_EES3_S7_PKT1_PKT2_SA_PT3_21rocsparse_index_base_b
; %bb.0:
	s_clause 0x2
	s_load_b64 s[34:35], s[0:1], 0x60
	s_load_b64 s[4:5], s[0:1], 0x28
	;; [unrolled: 1-line block ×3, first 2 shown]
	s_wait_kmcnt 0x0
	s_bitcmp1_b32 s35, 0
	v_dual_mov_b32 v8, s5 :: v_dual_mov_b32 v7, s4
	s_cselect_b32 s6, -1, 0
	s_delay_alu instid0(SALU_CYCLE_1)
	s_and_b32 vcc_lo, exec_lo, s6
	s_xor_b32 s6, s6, -1
	s_cbranch_vccnz .LBB15_2
; %bb.1:
	v_dual_mov_b32 v1, s4 :: v_dual_mov_b32 v2, s5
	flat_load_b64 v[7:8], v[1:2]
.LBB15_2:
	v_dual_mov_b32 v6, s3 :: v_dual_mov_b32 v5, s2
	s_and_not1_b32 vcc_lo, exec_lo, s6
	s_cbranch_vccnz .LBB15_4
; %bb.3:
	v_dual_mov_b32 v1, s2 :: v_dual_mov_b32 v2, s3
	flat_load_b64 v[5:6], v[1:2]
.LBB15_4:
	s_wait_loadcnt_dscnt 0x0
	v_cmp_neq_f64_e32 vcc_lo, 0, v[7:8]
	v_cmp_neq_f64_e64 s2, 1.0, v[5:6]
	s_or_b32 s2, vcc_lo, s2
	s_wait_alu 0xfffe
	s_and_saveexec_b32 s3, s2
	s_cbranch_execz .LBB15_116
; %bb.5:
	s_clause 0x1
	s_load_b64 s[2:3], s[0:1], 0x10
	s_load_b64 s[6:7], s[0:1], 0x20
	s_mov_b32 s38, ttmp9
	s_ashr_i32 s39, ttmp9, 31
	s_delay_alu instid0(SALU_CYCLE_1)
	s_lshl_b64 s[4:5], s[38:39], 3
	s_lshl_b64 s[40:41], s[38:39], 2
	s_wait_kmcnt 0x0
	s_wait_alu 0xfffe
	s_add_nc_u64 s[2:3], s[2:3], s[4:5]
	s_load_b128 s[20:23], s[2:3], 0x0
	s_clause 0x1
	s_load_b256 s[12:19], s[0:1], 0x30
	s_load_b64 s[24:25], s[0:1], 0x58
	s_add_nc_u64 s[2:3], s[6:7], s[40:41]
	s_wait_kmcnt 0x0
	s_lshl_b64 s[36:37], s[20:21], 3
	s_delay_alu instid0(SALU_CYCLE_1)
	s_add_nc_u64 s[28:29], s[12:13], s[36:37]
	s_load_b32 s26, s[2:3], 0x0
	s_load_b64 s[30:31], s[28:29], 0x0
	s_sub_co_i32 s3, s22, s20
	s_mov_b32 s2, -1
	s_wait_alu 0xfffe
	s_cmp_lt_i32 s3, 2
	s_cbranch_scc0 .LBB15_72
; %bb.6:
	s_cmp_lg_u32 s3, 1
	s_cselect_b32 s2, -1, 0
	s_wait_kmcnt 0x0
	s_cmp_lg_u32 s26, 0
	s_cselect_b32 s3, -1, 0
	s_wait_alu 0xfffe
	s_or_b32 s2, s2, s3
	s_wait_alu 0xfffe
	s_and_b32 vcc_lo, exec_lo, s2
	s_mov_b32 s2, -1
	s_cbranch_vccnz .LBB15_35
; %bb.7:
	v_cmp_le_i64_e64 s2, s[22:23], s[20:21]
	s_wait_alu 0xfffe
	s_and_b32 vcc_lo, exec_lo, s2
	s_cbranch_vccnz .LBB15_34
; %bb.8:
	v_cmp_neq_f64_e64 s2, 0, v[5:6]
	v_sub_co_u32 v14, s3, v0, s34
	v_dual_mov_b32 v13, 0 :: v_dual_lshlrev_b32 v16, 3, v0
	s_wait_alu 0xf1ff
	v_sub_co_ci_u32_e64 v15, null, 0, 0, s3
	v_cmp_gt_u32_e64 s3, 0x80, v0
	v_cmp_gt_u32_e64 s4, 64, v0
	v_cmp_gt_u32_e64 s5, 32, v0
	v_cmp_gt_u32_e64 s6, 16, v0
	v_cmp_gt_u32_e64 s7, 8, v0
	v_cmp_gt_u32_e64 s8, 4, v0
	v_cmp_gt_u32_e64 s9, 2, v0
	v_cmp_eq_u32_e64 s10, 0, v0
	s_mov_b32 s35, 0
	s_mov_b64 s[42:43], s[20:21]
	s_branch .LBB15_11
.LBB15_9:                               ;   in Loop: Header=BB15_11 Depth=1
	s_or_b32 exec_lo, exec_lo, s27
	s_wait_dscnt 0x0
	global_store_b64 v13, v[1:2], s[44:45]
.LBB15_10:                              ;   in Loop: Header=BB15_11 Depth=1
	s_wait_alu 0xfffe
	s_or_b32 exec_lo, exec_lo, s11
	s_add_nc_u64 s[42:43], s[42:43], 1
	s_wait_alu 0xfffe
	v_cmp_ge_i64_e64 s11, s[42:43], s[22:23]
	s_and_b32 vcc_lo, exec_lo, s11
	s_wait_alu 0xfffe
	s_cbranch_vccnz .LBB15_34
.LBB15_11:                              ; =>This Loop Header: Depth=1
                                        ;     Child Loop BB15_13 Depth 2
	s_lshl_b64 s[44:45], s[42:43], 3
	v_mov_b32_e32 v3, 0
	s_add_nc_u64 s[46:47], s[12:13], s[44:45]
	v_mov_b32_e32 v4, 0
	s_load_b128 s[48:51], s[46:47], 0x0
	s_mov_b32 s27, exec_lo
	s_wait_kmcnt 0x0
	v_add_co_u32 v1, vcc_lo, s48, v14
	s_wait_alu 0xfffd
	v_add_co_ci_u32_e64 v2, null, s49, v15, vcc_lo
	s_sub_nc_u64 s[46:47], s[50:51], s[34:35]
	s_wait_alu 0xfffe
	v_cmpx_gt_i64_e64 s[46:47], v[1:2]
	s_cbranch_execz .LBB15_15
; %bb.12:                               ;   in Loop: Header=BB15_11 Depth=1
	v_lshlrev_b64_e32 v[9:10], 3, v[1:2]
	v_lshlrev_b64_e32 v[11:12], 2, v[1:2]
	v_mov_b32_e32 v3, 0
	v_mov_b32_e32 v4, 0
	s_mov_b32 s33, 0
	s_delay_alu instid0(VALU_DEP_4)
	v_add_co_u32 v9, vcc_lo, s16, v9
	s_wait_alu 0xfffd
	v_add_co_ci_u32_e64 v10, null, s17, v10, vcc_lo
	v_add_co_u32 v11, vcc_lo, s14, v11
	s_wait_alu 0xfffd
	v_add_co_ci_u32_e64 v12, null, s15, v12, vcc_lo
.LBB15_13:                              ;   Parent Loop BB15_11 Depth=1
                                        ; =>  This Inner Loop Header: Depth=2
	global_load_b32 v19, v[11:12], off
	global_load_b64 v[17:18], v[9:10], off
	v_add_co_u32 v11, s11, 0x400, v11
	s_wait_alu 0xf1ff
	v_add_co_ci_u32_e64 v12, null, 0, v12, s11
	s_wait_loadcnt 0x1
	v_subrev_nc_u32_e32 v19, s34, v19
	s_wait_loadcnt 0x0
	v_mul_f64_e32 v[17:18], v[7:8], v[17:18]
	s_delay_alu instid0(VALU_DEP_2) | instskip(NEXT) | instid1(VALU_DEP_1)
	v_ashrrev_i32_e32 v20, 31, v19
	v_lshlrev_b64_e32 v[19:20], 3, v[19:20]
	s_delay_alu instid0(VALU_DEP_1) | instskip(SKIP_1) | instid1(VALU_DEP_2)
	v_add_co_u32 v19, vcc_lo, s18, v19
	s_wait_alu 0xfffd
	v_add_co_ci_u32_e64 v20, null, s19, v20, vcc_lo
	v_add_co_u32 v1, vcc_lo, 0x100, v1
	s_wait_alu 0xfffd
	v_add_co_ci_u32_e64 v2, null, 0, v2, vcc_lo
	global_load_b64 v[19:20], v[19:20], off
	v_add_co_u32 v9, vcc_lo, 0x800, v9
	s_wait_alu 0xfffd
	v_add_co_ci_u32_e64 v10, null, 0, v10, vcc_lo
	v_cmp_le_i64_e32 vcc_lo, s[46:47], v[1:2]
	s_or_b32 s33, vcc_lo, s33
	s_wait_loadcnt 0x0
	v_fma_f64 v[3:4], v[17:18], v[19:20], v[3:4]
	s_and_not1_b32 exec_lo, exec_lo, s33
	s_cbranch_execnz .LBB15_13
; %bb.14:                               ;   in Loop: Header=BB15_11 Depth=1
	s_or_b32 exec_lo, exec_lo, s33
.LBB15_15:                              ;   in Loop: Header=BB15_11 Depth=1
	s_delay_alu instid0(SALU_CYCLE_1)
	s_or_b32 exec_lo, exec_lo, s27
	ds_store_b64 v16, v[3:4]
	s_wait_dscnt 0x0
	s_barrier_signal -1
	s_barrier_wait -1
	global_inv scope:SCOPE_SE
	s_and_saveexec_b32 s11, s3
	s_cbranch_execz .LBB15_17
; %bb.16:                               ;   in Loop: Header=BB15_11 Depth=1
	ds_load_2addr_stride64_b64 v[1:4], v16 offset1:2
	s_wait_dscnt 0x0
	v_add_f64_e32 v[1:2], v[1:2], v[3:4]
	ds_store_b64 v16, v[1:2]
.LBB15_17:                              ;   in Loop: Header=BB15_11 Depth=1
	s_wait_alu 0xfffe
	s_or_b32 exec_lo, exec_lo, s11
	s_wait_loadcnt_dscnt 0x0
	s_barrier_signal -1
	s_barrier_wait -1
	global_inv scope:SCOPE_SE
	s_and_saveexec_b32 s11, s4
	s_cbranch_execz .LBB15_19
; %bb.18:                               ;   in Loop: Header=BB15_11 Depth=1
	ds_load_2addr_stride64_b64 v[1:4], v16 offset1:1
	s_wait_dscnt 0x0
	v_add_f64_e32 v[1:2], v[1:2], v[3:4]
	ds_store_b64 v16, v[1:2]
.LBB15_19:                              ;   in Loop: Header=BB15_11 Depth=1
	s_wait_alu 0xfffe
	s_or_b32 exec_lo, exec_lo, s11
	s_wait_loadcnt_dscnt 0x0
	s_barrier_signal -1
	s_barrier_wait -1
	global_inv scope:SCOPE_SE
	s_and_saveexec_b32 s11, s5
	s_cbranch_execz .LBB15_21
; %bb.20:                               ;   in Loop: Header=BB15_11 Depth=1
	ds_load_2addr_b64 v[1:4], v16 offset1:32
	s_wait_dscnt 0x0
	v_add_f64_e32 v[1:2], v[1:2], v[3:4]
	ds_store_b64 v16, v[1:2]
.LBB15_21:                              ;   in Loop: Header=BB15_11 Depth=1
	s_wait_alu 0xfffe
	s_or_b32 exec_lo, exec_lo, s11
	s_wait_loadcnt_dscnt 0x0
	s_barrier_signal -1
	s_barrier_wait -1
	global_inv scope:SCOPE_SE
	s_and_saveexec_b32 s11, s6
	s_cbranch_execz .LBB15_23
; %bb.22:                               ;   in Loop: Header=BB15_11 Depth=1
	ds_load_2addr_b64 v[1:4], v16 offset1:16
	s_wait_dscnt 0x0
	v_add_f64_e32 v[1:2], v[1:2], v[3:4]
	ds_store_b64 v16, v[1:2]
.LBB15_23:                              ;   in Loop: Header=BB15_11 Depth=1
	;; [unrolled: 14-line block ×5, first 2 shown]
	s_wait_alu 0xfffe
	s_or_b32 exec_lo, exec_lo, s11
	s_wait_loadcnt_dscnt 0x0
	s_barrier_signal -1
	s_barrier_wait -1
	global_inv scope:SCOPE_SE
	s_and_saveexec_b32 s11, s10
	s_cbranch_execz .LBB15_31
; %bb.30:                               ;   in Loop: Header=BB15_11 Depth=1
	ds_load_b128 v[1:4], v13
	s_wait_dscnt 0x0
	v_add_f64_e32 v[1:2], v[1:2], v[3:4]
	ds_store_b64 v13, v[1:2]
.LBB15_31:                              ;   in Loop: Header=BB15_11 Depth=1
	s_wait_alu 0xfffe
	s_or_b32 exec_lo, exec_lo, s11
	s_wait_loadcnt_dscnt 0x0
	s_barrier_signal -1
	s_barrier_wait -1
	global_inv scope:SCOPE_SE
	s_and_saveexec_b32 s11, s10
	s_cbranch_execz .LBB15_10
; %bb.32:                               ;   in Loop: Header=BB15_11 Depth=1
	ds_load_b64 v[1:2], v13
	s_add_nc_u64 s[44:45], s[24:25], s[44:45]
	s_and_saveexec_b32 s27, s2
	s_cbranch_execz .LBB15_9
; %bb.33:                               ;   in Loop: Header=BB15_11 Depth=1
	global_load_b64 v[3:4], v13, s[44:45]
	s_wait_loadcnt_dscnt 0x0
	v_fma_f64 v[1:2], v[5:6], v[3:4], v[1:2]
	s_branch .LBB15_9
.LBB15_34:
	s_mov_b32 s2, 0
.LBB15_35:
	s_wait_alu 0xfffe
	s_and_not1_b32 vcc_lo, exec_lo, s2
	s_wait_alu 0xfffe
	s_cbranch_vccnz .LBB15_71
; %bb.36:
	s_load_b64 s[6:7], s[0:1], 0x18
	v_mov_b32_e32 v3, 0
	v_mov_b32_e32 v1, 0
	;; [unrolled: 1-line block ×3, first 2 shown]
	v_or_b32_e32 v4, s26, v0
	s_sub_co_i32 s8, s38, s26
	s_mov_b32 s35, 0
	s_mov_b32 s2, exec_lo
	s_wait_kmcnt 0x0
	s_add_nc_u64 s[4:5], s[6:7], s[40:41]
	global_load_b32 v13, v3, s[4:5]
	v_cmpx_eq_u32_e32 0, v4
	s_cbranch_execz .LBB15_40
; %bb.37:
	s_add_nc_u64 s[10:11], s[24:25], s[36:37]
	s_mov_b32 s3, exec_lo
	global_load_b64 v[1:2], v3, s[10:11]
	v_add_f64_e32 v[3:4], -1.0, v[5:6]
	s_wait_alu 0xfffe
	v_mbcnt_lo_u32_b32 v9, s3, 0
	s_mov_b32 s10, exec_lo
	s_wait_loadcnt 0x0
	s_wait_storecnt 0x0
	global_inv scope:SCOPE_DEV
	v_cmpx_eq_u32_e32 0, v9
	s_cbranch_execz .LBB15_39
; %bb.38:
	s_bcnt1_i32_b32 s3, s3
	s_ashr_i32 s9, s8, 31
	s_wait_alu 0xfffe
	s_and_b32 s3, s3, 1
	s_wait_alu 0xfffe
	v_dual_mov_b32 v9, 0 :: v_dual_mov_b32 v10, s3
	s_lshl_b64 s[38:39], s[8:9], 2
	s_delay_alu instid0(SALU_CYCLE_1)
	s_add_nc_u64 s[38:39], s[6:7], s[38:39]
	global_atomic_xor_b32 v9, v10, s[38:39] scope:SCOPE_DEV
.LBB15_39:
	s_wait_alu 0xfffe
	s_or_b32 exec_lo, exec_lo, s10
	v_mul_f64_e32 v[1:2], v[3:4], v[1:2]
.LBB15_40:
	s_wait_alu 0xfffe
	s_or_b32 exec_lo, exec_lo, s2
	s_load_b64 s[2:3], s[28:29], 0x8
	s_ashr_i32 s27, s26, 31
	s_sub_nc_u64 s[38:39], s[30:31], s[34:35]
	s_wait_alu 0xfffe
	s_mul_u64 s[10:11], s[26:27], 0xc00
	s_wait_alu 0xfffe
	s_add_nc_u64 s[10:11], s[38:39], s[10:11]
	s_wait_alu 0xfffe
	v_add_co_u32 v3, s9, s10, v0
	s_delay_alu instid0(VALU_DEP_1)
	v_add_co_ci_u32_e64 v4, null, s11, 0, s9
	s_mov_b32 s9, exec_lo
	s_wait_kmcnt 0x0
	s_sub_nc_u64 s[2:3], s[2:3], s[34:35]
	s_wait_alu 0xfffe
	v_cmpx_gt_i64_e64 s[2:3], v[3:4]
	s_cbranch_execz .LBB15_44
; %bb.41:
	v_lshlrev_b64_e32 v[9:10], 3, v[3:4]
	v_lshlrev_b64_e32 v[11:12], 2, v[3:4]
	s_add_nc_u64 s[10:11], s[10:11], 0xc00
	s_wait_alu 0xfffe
	v_cmp_lt_i64_e64 s27, s[10:11], s[2:3]
	s_delay_alu instid0(VALU_DEP_3)
	v_add_co_u32 v9, vcc_lo, s16, v9
	s_wait_alu 0xfffd
	v_add_co_ci_u32_e64 v10, null, s17, v10, vcc_lo
	v_add_co_u32 v11, vcc_lo, s14, v11
	s_wait_alu 0xfffd
	v_add_co_ci_u32_e64 v12, null, s15, v12, vcc_lo
	s_and_b32 s27, s27, exec_lo
	s_cselect_b32 s11, s11, s3
	s_cselect_b32 s10, s10, s2
	s_mov_b32 s3, 0
.LBB15_42:                              ; =>This Inner Loop Header: Depth=1
	global_load_b32 v16, v[11:12], off
	global_load_b64 v[14:15], v[9:10], off
	v_add_co_u32 v11, s2, 0x400, v11
	s_wait_alu 0xf1ff
	v_add_co_ci_u32_e64 v12, null, 0, v12, s2
	s_wait_loadcnt 0x1
	v_subrev_nc_u32_e32 v16, s34, v16
	s_wait_loadcnt 0x0
	v_mul_f64_e32 v[14:15], v[7:8], v[14:15]
	s_delay_alu instid0(VALU_DEP_2) | instskip(NEXT) | instid1(VALU_DEP_1)
	v_ashrrev_i32_e32 v17, 31, v16
	v_lshlrev_b64_e32 v[16:17], 3, v[16:17]
	s_delay_alu instid0(VALU_DEP_1) | instskip(SKIP_1) | instid1(VALU_DEP_2)
	v_add_co_u32 v16, vcc_lo, s18, v16
	s_wait_alu 0xfffd
	v_add_co_ci_u32_e64 v17, null, s19, v17, vcc_lo
	v_add_co_u32 v3, vcc_lo, 0x100, v3
	s_wait_alu 0xfffd
	v_add_co_ci_u32_e64 v4, null, 0, v4, vcc_lo
	global_load_b64 v[16:17], v[16:17], off
	v_add_co_u32 v9, vcc_lo, 0x800, v9
	s_wait_alu 0xfffd
	v_add_co_ci_u32_e64 v10, null, 0, v10, vcc_lo
	s_wait_alu 0xfffe
	v_cmp_le_i64_e32 vcc_lo, s[10:11], v[3:4]
	s_or_b32 s3, vcc_lo, s3
	s_wait_loadcnt 0x0
	v_fma_f64 v[1:2], v[14:15], v[16:17], v[1:2]
	s_wait_alu 0xfffe
	s_and_not1_b32 exec_lo, exec_lo, s3
	s_cbranch_execnz .LBB15_42
; %bb.43:
	s_or_b32 exec_lo, exec_lo, s3
.LBB15_44:
	s_delay_alu instid0(SALU_CYCLE_1)
	s_or_b32 exec_lo, exec_lo, s9
	v_lshlrev_b32_e32 v3, 3, v0
	s_mov_b32 s2, exec_lo
	ds_store_b64 v3, v[1:2]
	s_wait_storecnt 0x0
	s_wait_loadcnt_dscnt 0x0
	s_barrier_signal -1
	s_barrier_wait -1
	global_inv scope:SCOPE_SE
	v_cmpx_gt_u32_e32 0x80, v0
	s_cbranch_execz .LBB15_46
; %bb.45:
	ds_load_2addr_stride64_b64 v[9:12], v3 offset1:2
	s_wait_dscnt 0x0
	v_add_f64_e32 v[1:2], v[9:10], v[11:12]
	ds_store_b64 v3, v[1:2]
.LBB15_46:
	s_wait_alu 0xfffe
	s_or_b32 exec_lo, exec_lo, s2
	s_delay_alu instid0(SALU_CYCLE_1)
	s_mov_b32 s2, exec_lo
	s_wait_loadcnt_dscnt 0x0
	s_barrier_signal -1
	s_barrier_wait -1
	global_inv scope:SCOPE_SE
	v_cmpx_gt_u32_e32 64, v0
	s_cbranch_execz .LBB15_48
; %bb.47:
	ds_load_2addr_stride64_b64 v[9:12], v3 offset1:1
	s_wait_dscnt 0x0
	v_add_f64_e32 v[1:2], v[9:10], v[11:12]
	ds_store_b64 v3, v[1:2]
.LBB15_48:
	s_wait_alu 0xfffe
	s_or_b32 exec_lo, exec_lo, s2
	s_delay_alu instid0(SALU_CYCLE_1)
	s_mov_b32 s2, exec_lo
	s_wait_loadcnt_dscnt 0x0
	s_barrier_signal -1
	s_barrier_wait -1
	global_inv scope:SCOPE_SE
	v_cmpx_gt_u32_e32 32, v0
	s_cbranch_execz .LBB15_50
; %bb.49:
	ds_load_2addr_b64 v[9:12], v3 offset1:32
	s_wait_dscnt 0x0
	v_add_f64_e32 v[1:2], v[9:10], v[11:12]
	ds_store_b64 v3, v[1:2]
.LBB15_50:
	s_wait_alu 0xfffe
	s_or_b32 exec_lo, exec_lo, s2
	s_delay_alu instid0(SALU_CYCLE_1)
	s_mov_b32 s2, exec_lo
	s_wait_loadcnt_dscnt 0x0
	s_barrier_signal -1
	s_barrier_wait -1
	global_inv scope:SCOPE_SE
	v_cmpx_gt_u32_e32 16, v0
	s_cbranch_execz .LBB15_52
; %bb.51:
	ds_load_2addr_b64 v[9:12], v3 offset1:16
	s_wait_dscnt 0x0
	v_add_f64_e32 v[1:2], v[9:10], v[11:12]
	ds_store_b64 v3, v[1:2]
.LBB15_52:
	;; [unrolled: 16-line block ×5, first 2 shown]
	s_wait_alu 0xfffe
	s_or_b32 exec_lo, exec_lo, s2
	v_cmp_eq_u32_e32 vcc_lo, 0, v0
	s_wait_loadcnt_dscnt 0x0
	s_barrier_signal -1
	s_barrier_wait -1
	global_inv scope:SCOPE_SE
	s_and_saveexec_b32 s2, vcc_lo
	s_cbranch_execz .LBB15_60
; %bb.59:
	v_mov_b32_e32 v9, 0
	ds_load_b128 v[1:4], v9
	s_wait_dscnt 0x0
	v_add_f64_e32 v[1:2], v[1:2], v[3:4]
	ds_store_b64 v9, v[1:2]
.LBB15_60:
	s_wait_alu 0xfffe
	s_or_b32 exec_lo, exec_lo, s2
	s_wait_loadcnt_dscnt 0x0
	s_barrier_signal -1
	s_barrier_wait -1
	global_inv scope:SCOPE_SE
	s_and_saveexec_b32 s10, vcc_lo
	s_cbranch_execz .LBB15_70
; %bb.61:
	s_cmp_eq_u32 s26, 0
	s_cbranch_scc1 .LBB15_67
; %bb.62:
	s_ashr_i32 s9, s8, 31
	v_mov_b32_e32 v1, 0
	s_wait_alu 0xfffe
	s_lshl_b64 s[2:3], s[8:9], 2
	s_wait_alu 0xfffe
	s_add_nc_u64 s[2:3], s[6:7], s[2:3]
	s_branch .LBB15_64
.LBB15_63:                              ;   in Loop: Header=BB15_64 Depth=1
	s_wait_alu 0xfffe
	s_or_b32 exec_lo, exec_lo, s6
	s_wait_loadcnt 0x0
	v_readfirstlane_b32 s6, v2
	s_wait_alu 0xf1ff
	s_delay_alu instid0(VALU_DEP_1)
	v_cmp_eq_u32_e32 vcc_lo, s6, v13
	s_cbranch_vccz .LBB15_66
.LBB15_64:                              ; =>This Inner Loop Header: Depth=1
	v_mbcnt_lo_u32_b32 v2, exec_lo, 0
	s_delay_alu instid0(VALU_DEP_1)
	v_cmp_eq_u32_e32 vcc_lo, 0, v2
                                        ; implicit-def: $vgpr2
	s_and_saveexec_b32 s6, vcc_lo
	s_cbranch_execz .LBB15_63
; %bb.65:                               ;   in Loop: Header=BB15_64 Depth=1
	global_load_b32 v2, v1, s[2:3] scope:SCOPE_DEV
	s_branch .LBB15_63
.LBB15_66:
	v_mov_b32_e32 v1, 0
	global_load_u16 v2, v1, s[4:5]
	s_wait_loadcnt 0x0
	v_xor_b32_e32 v2, 1, v2
	global_store_b16 v1, v2, s[4:5]
.LBB15_67:
	s_mov_b32 s4, exec_lo
	s_wait_alu 0xfffe
	v_mbcnt_lo_u32_b32 v1, s4, 0
	s_delay_alu instid0(VALU_DEP_1)
	v_cmp_eq_u32_e32 vcc_lo, 0, v1
	s_and_b32 s2, exec_lo, vcc_lo
	s_wait_alu 0xfffe
	s_mov_b32 exec_lo, s2
	s_cbranch_execz .LBB15_70
; %bb.68:
	v_mov_b32_e32 v11, 0
	s_add_nc_u64 s[2:3], s[24:25], s[36:37]
	s_bcnt1_i32_b32 s4, s4
	s_wait_alu 0xfffe
	v_cvt_f64_u32_e32 v[1:2], s4
	global_load_b64 v[3:4], v11, s[2:3]
	ds_load_b64 v[9:10], v11
	s_mov_b32 s4, 0
	s_wait_dscnt 0x0
	v_mul_f64_e32 v[9:10], v[9:10], v[1:2]
.LBB15_69:                              ; =>This Inner Loop Header: Depth=1
	s_wait_loadcnt 0x0
	s_delay_alu instid0(VALU_DEP_1)
	v_add_f64_e32 v[1:2], v[3:4], v[9:10]
	global_atomic_cmpswap_b64 v[1:2], v11, v[1:4], s[2:3] th:TH_ATOMIC_RETURN scope:SCOPE_DEV
	s_wait_loadcnt 0x0
	v_cmp_eq_u64_e32 vcc_lo, v[1:2], v[3:4]
	v_dual_mov_b32 v4, v2 :: v_dual_mov_b32 v3, v1
	s_wait_alu 0xfffe
	s_or_b32 s4, vcc_lo, s4
	s_wait_alu 0xfffe
	s_and_not1_b32 exec_lo, exec_lo, s4
	s_cbranch_execnz .LBB15_69
.LBB15_70:
	s_wait_alu 0xfffe
	s_or_b32 exec_lo, exec_lo, s10
.LBB15_71:
	s_mov_b32 s2, 0
.LBB15_72:
	s_wait_alu 0xfffe
	s_and_not1_b32 vcc_lo, exec_lo, s2
	s_wait_alu 0xfffe
	s_cbranch_vccnz .LBB15_116
; %bb.73:
	s_load_b64 s[0:1], s[0:1], 0x8
	v_sub_co_u32 v1, s2, v0, s34
	s_wait_alu 0xf1ff
	v_sub_co_ci_u32_e64 v2, null, 0, 0, s2
	s_mov_b32 s35, 0
	s_wait_kmcnt 0x0
	v_add_co_u32 v1, vcc_lo, s30, v1
	s_wait_alu 0xfffd
	v_add_co_ci_u32_e64 v2, null, s31, v2, vcc_lo
	s_delay_alu instid0(VALU_DEP_2) | instskip(SKIP_1) | instid1(VALU_DEP_2)
	v_add_co_u32 v3, vcc_lo, 0x300, v1
	s_wait_alu 0xfffd
	v_add_co_ci_u32_e64 v4, null, 0, v2, vcc_lo
	s_delay_alu instid0(VALU_DEP_1)
	v_cmp_le_i64_e32 vcc_lo, s[0:1], v[3:4]
	s_and_saveexec_b32 s0, vcc_lo
	s_wait_alu 0xfffe
	s_xor_b32 s1, exec_lo, s0
	s_cbranch_execz .LBB15_78
; %bb.74:
	s_lshl_b64 s[2:3], s[22:23], 3
	s_mov_b32 s4, exec_lo
	s_wait_alu 0xfffe
	s_add_nc_u64 s[2:3], s[12:13], s[2:3]
	s_load_b64 s[2:3], s[2:3], 0x0
	s_wait_kmcnt 0x0
	s_sub_nc_u64 s[2:3], s[2:3], s[34:35]
	s_wait_alu 0xfffe
	v_cmpx_gt_i64_e64 s[2:3], v[1:2]
	s_cbranch_execz .LBB15_77
; %bb.75:
	v_lshlrev_b64_e32 v[3:4], 3, v[1:2]
	v_lshlrev_b64_e32 v[9:10], 2, v[1:2]
	v_lshlrev_b32_e32 v11, 3, v0
	s_mov_b32 s5, 0
	s_delay_alu instid0(VALU_DEP_3)
	v_add_co_u32 v3, vcc_lo, s16, v3
	s_wait_alu 0xfffd
	v_add_co_ci_u32_e64 v4, null, s17, v4, vcc_lo
	v_add_co_u32 v9, vcc_lo, s14, v9
	s_wait_alu 0xfffd
	v_add_co_ci_u32_e64 v10, null, s15, v10, vcc_lo
.LBB15_76:                              ; =>This Inner Loop Header: Depth=1
	global_load_b32 v14, v[9:10], off
	global_load_b64 v[12:13], v[3:4], off
	s_wait_loadcnt 0x1
	v_subrev_nc_u32_e32 v14, s34, v14
	s_wait_loadcnt 0x0
	v_mul_f64_e32 v[12:13], v[7:8], v[12:13]
	s_delay_alu instid0(VALU_DEP_2) | instskip(NEXT) | instid1(VALU_DEP_1)
	v_ashrrev_i32_e32 v15, 31, v14
	v_lshlrev_b64_e32 v[14:15], 3, v[14:15]
	s_delay_alu instid0(VALU_DEP_1) | instskip(SKIP_1) | instid1(VALU_DEP_2)
	v_add_co_u32 v14, vcc_lo, s18, v14
	s_wait_alu 0xfffd
	v_add_co_ci_u32_e64 v15, null, s19, v15, vcc_lo
	v_add_co_u32 v1, vcc_lo, 0x100, v1
	s_wait_alu 0xfffd
	v_add_co_ci_u32_e64 v2, null, 0, v2, vcc_lo
	global_load_b64 v[14:15], v[14:15], off
	v_add_co_u32 v3, vcc_lo, 0x800, v3
	v_cmp_le_i64_e64 s0, s[2:3], v[1:2]
	s_wait_alu 0xfffd
	v_add_co_ci_u32_e64 v4, null, 0, v4, vcc_lo
	v_add_co_u32 v9, vcc_lo, 0x400, v9
	s_wait_alu 0xfffd
	v_add_co_ci_u32_e64 v10, null, 0, v10, vcc_lo
	s_wait_alu 0xfffe
	s_or_b32 s5, s0, s5
	s_wait_loadcnt 0x0
	v_mul_f64_e32 v[12:13], v[12:13], v[14:15]
	ds_store_b64 v11, v[12:13]
	v_add_nc_u32_e32 v11, 0x800, v11
	s_wait_alu 0xfffe
	s_and_not1_b32 exec_lo, exec_lo, s5
	s_cbranch_execnz .LBB15_76
.LBB15_77:
	s_or_b32 exec_lo, exec_lo, s4
                                        ; implicit-def: $vgpr1_vgpr2
                                        ; implicit-def: $vgpr7_vgpr8
.LBB15_78:
	s_wait_alu 0xfffe
	s_or_saveexec_b32 s0, s1
	v_lshlrev_b32_e32 v11, 3, v0
	s_wait_alu 0xfffe
	s_xor_b32 exec_lo, exec_lo, s0
	s_cbranch_execz .LBB15_80
; %bb.79:
	v_lshlrev_b64_e32 v[3:4], 2, v[1:2]
	v_lshlrev_b64_e32 v[1:2], 3, v[1:2]
	s_delay_alu instid0(VALU_DEP_2) | instskip(SKIP_1) | instid1(VALU_DEP_3)
	v_add_co_u32 v3, vcc_lo, s14, v3
	s_wait_alu 0xfffd
	v_add_co_ci_u32_e64 v4, null, s15, v4, vcc_lo
	s_delay_alu instid0(VALU_DEP_3)
	v_add_co_u32 v1, vcc_lo, s16, v1
	s_wait_alu 0xfffd
	v_add_co_ci_u32_e64 v2, null, s17, v2, vcc_lo
	s_clause 0x3
	global_load_b32 v14, v[3:4], off
	global_load_b32 v15, v[3:4], off offset:1024
	global_load_b32 v17, v[3:4], off offset:2048
	global_load_b32 v19, v[3:4], off offset:3072
	s_clause 0x3
	global_load_b64 v[3:4], v[1:2], off
	global_load_b64 v[9:10], v[1:2], off offset:2048
	global_load_b64 v[12:13], v[1:2], off offset:4096
	;; [unrolled: 1-line block ×3, first 2 shown]
	s_wait_loadcnt 0x7
	v_subrev_nc_u32_e32 v14, s34, v14
	s_wait_loadcnt 0x6
	v_subrev_nc_u32_e32 v16, s34, v15
	;; [unrolled: 2-line block ×4, first 2 shown]
	s_wait_loadcnt 0x3
	v_mul_f64_e32 v[3:4], v[7:8], v[3:4]
	v_ashrrev_i32_e32 v15, 31, v14
	v_ashrrev_i32_e32 v17, 31, v16
	;; [unrolled: 1-line block ×4, first 2 shown]
	s_wait_loadcnt 0x2
	v_mul_f64_e32 v[9:10], v[7:8], v[9:10]
	v_lshlrev_b64_e32 v[14:15], 3, v[14:15]
	v_lshlrev_b64_e32 v[16:17], 3, v[16:17]
	;; [unrolled: 1-line block ×4, first 2 shown]
	s_wait_loadcnt 0x1
	v_mul_f64_e32 v[12:13], v[7:8], v[12:13]
	s_wait_loadcnt 0x0
	v_mul_f64_e32 v[1:2], v[7:8], v[1:2]
	v_add_co_u32 v14, vcc_lo, s18, v14
	s_wait_alu 0xfffd
	v_add_co_ci_u32_e64 v15, null, s19, v15, vcc_lo
	v_add_co_u32 v16, vcc_lo, s18, v16
	s_wait_alu 0xfffd
	v_add_co_ci_u32_e64 v17, null, s19, v17, vcc_lo
	;; [unrolled: 3-line block ×4, first 2 shown]
	s_clause 0x3
	global_load_b64 v[14:15], v[14:15], off
	global_load_b64 v[16:17], v[16:17], off
	;; [unrolled: 1-line block ×4, first 2 shown]
	s_wait_loadcnt 0x3
	v_mul_f64_e32 v[3:4], v[3:4], v[14:15]
	s_wait_loadcnt 0x2
	v_mul_f64_e32 v[7:8], v[9:10], v[16:17]
	;; [unrolled: 2-line block ×4, first 2 shown]
	ds_store_2addr_stride64_b64 v11, v[3:4], v[7:8] offset1:4
	ds_store_2addr_stride64_b64 v11, v[9:10], v[1:2] offset0:8 offset1:12
.LBB15_80:
	s_or_b32 exec_lo, exec_lo, s0
	s_cmp_lt_i32 s26, 2
	s_mov_b32 s0, -1
	s_wait_storecnt 0x0
	s_wait_loadcnt_dscnt 0x0
	s_barrier_signal -1
	s_barrier_wait -1
	global_inv scope:SCOPE_SE
	s_cbranch_scc0 .LBB15_91
; %bb.81:
	v_add_co_u32 v7, s0, s20, v0
	s_wait_alu 0xf1fe
	v_add_co_ci_u32_e64 v8, null, s21, 0, s0
	s_mov_b32 s2, exec_lo
	v_cmpx_gt_i64_e64 s[22:23], v[7:8]
	s_cbranch_execz .LBB15_90
; %bb.82:
	s_lshl_b32 s0, s30, 3
	s_mov_b32 s3, 0
	s_wait_alu 0xfffe
	s_sub_co_i32 s4, 0, s0
	v_cmp_neq_f64_e32 vcc_lo, 0, v[5:6]
	s_branch .LBB15_84
.LBB15_83:                              ;   in Loop: Header=BB15_84 Depth=1
	s_wait_alu 0xfffe
	s_or_b32 exec_lo, exec_lo, s1
	v_add_co_u32 v7, s0, 0x100, v7
	s_wait_alu 0xf1ff
	v_add_co_ci_u32_e64 v8, null, 0, v8, s0
	v_add_co_u32 v9, s1, s24, v9
	s_wait_alu 0xf1ff
	v_add_co_ci_u32_e64 v10, null, s25, v10, s1
	s_delay_alu instid0(VALU_DEP_3)
	v_cmp_le_i64_e64 s0, s[22:23], v[7:8]
	global_store_b64 v[9:10], v[2:3], off
	s_or_b32 s3, s0, s3
	s_wait_alu 0xfffe
	s_and_not1_b32 exec_lo, exec_lo, s3
	s_cbranch_execz .LBB15_90
.LBB15_84:                              ; =>This Loop Header: Depth=1
                                        ;     Child Loop BB15_86 Depth 2
	v_lshlrev_b64_e32 v[9:10], 3, v[7:8]
	s_mov_b32 s1, exec_lo
	s_delay_alu instid0(VALU_DEP_1) | instskip(SKIP_1) | instid1(VALU_DEP_2)
	v_add_co_u32 v1, s0, s12, v9
	s_wait_alu 0xf1ff
	v_add_co_ci_u32_e64 v2, null, s13, v10, s0
	global_load_b128 v[1:4], v[1:2], off
	s_wait_loadcnt 0x0
	v_subrev_nc_u32_e32 v12, s30, v3
	v_mov_b32_e32 v2, 0
	v_subrev_nc_u32_e32 v4, s30, v1
	v_mov_b32_e32 v3, 0
	s_delay_alu instid0(VALU_DEP_2)
	v_cmpx_lt_i32_e64 v4, v12
	s_cbranch_execz .LBB15_88
; %bb.85:                               ;   in Loop: Header=BB15_84 Depth=1
	v_mov_b32_e32 v2, 0
	v_mov_b32_e32 v3, 0
	s_wait_alu 0xfffe
	v_lshl_add_u32 v1, v1, 3, s4
	s_mov_b32 s5, 0
.LBB15_86:                              ;   Parent Loop BB15_84 Depth=1
                                        ; =>  This Inner Loop Header: Depth=2
	ds_load_b64 v[13:14], v1
	v_add_nc_u32_e32 v4, 1, v4
	v_add_nc_u32_e32 v1, 8, v1
	s_delay_alu instid0(VALU_DEP_2)
	v_cmp_ge_i32_e64 s0, v4, v12
	s_wait_alu 0xfffe
	s_or_b32 s5, s0, s5
	s_wait_dscnt 0x0
	v_add_f64_e32 v[2:3], v[2:3], v[13:14]
	s_wait_alu 0xfffe
	s_and_not1_b32 exec_lo, exec_lo, s5
	s_cbranch_execnz .LBB15_86
; %bb.87:                               ;   in Loop: Header=BB15_84 Depth=1
	s_or_b32 exec_lo, exec_lo, s5
.LBB15_88:                              ;   in Loop: Header=BB15_84 Depth=1
	s_wait_alu 0xfffe
	s_or_b32 exec_lo, exec_lo, s1
	s_and_saveexec_b32 s1, vcc_lo
	s_cbranch_execz .LBB15_83
; %bb.89:                               ;   in Loop: Header=BB15_84 Depth=1
	v_add_co_u32 v12, s0, s24, v9
	s_wait_alu 0xf1ff
	v_add_co_ci_u32_e64 v13, null, s25, v10, s0
	global_load_b64 v[12:13], v[12:13], off
	s_wait_loadcnt 0x0
	v_fma_f64 v[2:3], v[5:6], v[12:13], v[2:3]
	s_branch .LBB15_83
.LBB15_90:
	s_wait_alu 0xfffe
	s_or_b32 exec_lo, exec_lo, s2
	s_mov_b32 s0, 0
.LBB15_91:
	s_wait_alu 0xfffe
	s_and_not1_b32 vcc_lo, exec_lo, s0
	s_wait_alu 0xfffe
	s_cbranch_vccnz .LBB15_116
; %bb.92:
	s_clz_i32_u32 s0, s26
	s_add_co_i32 s1, s26, -1
	s_wait_alu 0xfffe
	s_xor_b32 s0, s0, 31
	v_mov_b32_e32 v3, 0
	s_wait_alu 0xfffe
	v_lshrrev_b32_e32 v7, s0, v0
	v_mov_b32_e32 v4, 0
	v_and_b32_e32 v0, s1, v0
	s_mov_b32 s1, exec_lo
	s_delay_alu instid0(VALU_DEP_3) | instskip(SKIP_2) | instid1(VALU_DEP_1)
	v_add_co_u32 v1, s0, s20, v7
	s_wait_alu 0xf1ff
	v_add_co_ci_u32_e64 v2, null, s21, 0, s0
	v_cmp_le_i64_e32 vcc_lo, s[22:23], v[1:2]
	v_cmpx_gt_i64_e64 s[22:23], v[1:2]
	s_cbranch_execz .LBB15_98
; %bb.93:
	v_lshlrev_b32_e32 v3, 3, v7
	s_mov_b32 s2, exec_lo
	s_clause 0x1
	global_load_b32 v4, v3, s[28:29]
	global_load_b32 v3, v3, s[28:29] offset:8
	s_wait_loadcnt 0x1
	v_subrev_nc_u32_e32 v4, s30, v4
	s_wait_loadcnt 0x0
	v_subrev_nc_u32_e32 v7, s30, v3
	s_delay_alu instid0(VALU_DEP_2) | instskip(SKIP_1) | instid1(VALU_DEP_2)
	v_dual_mov_b32 v3, 0 :: v_dual_add_nc_u32 v8, v0, v4
	v_mov_b32_e32 v4, 0
	v_cmpx_lt_i32_e64 v8, v7
	s_cbranch_execz .LBB15_97
; %bb.94:
	v_mov_b32_e32 v3, 0
	v_dual_mov_b32 v4, 0 :: v_dual_lshlrev_b32 v9, 3, v8
	s_lshl_b32 s4, s26, 3
	s_mov_b32 s3, 0
.LBB15_95:                              ; =>This Inner Loop Header: Depth=1
	ds_load_b64 v[12:13], v9
	v_add_nc_u32_e32 v8, s26, v8
	s_wait_alu 0xfffe
	v_add_nc_u32_e32 v9, s4, v9
	s_delay_alu instid0(VALU_DEP_2)
	v_cmp_ge_i32_e64 s0, v8, v7
	s_or_b32 s3, s0, s3
	s_wait_dscnt 0x0
	v_add_f64_e32 v[3:4], v[3:4], v[12:13]
	s_wait_alu 0xfffe
	s_and_not1_b32 exec_lo, exec_lo, s3
	s_cbranch_execnz .LBB15_95
; %bb.96:
	s_or_b32 exec_lo, exec_lo, s3
.LBB15_97:
	s_wait_alu 0xfffe
	s_or_b32 exec_lo, exec_lo, s2
.LBB15_98:
	s_wait_alu 0xfffe
	s_or_b32 exec_lo, exec_lo, s1
	s_cmp_lt_u32 s26, 0x81
	s_wait_loadcnt 0x0
	s_wait_storecnt 0x0
	s_barrier_signal -1
	s_barrier_wait -1
	global_inv scope:SCOPE_SE
	ds_store_b64 v11, v[3:4]
	s_wait_loadcnt_dscnt 0x0
	s_barrier_signal -1
	s_barrier_wait -1
	global_inv scope:SCOPE_SE
	s_cbranch_scc1 .LBB15_100
; %bb.99:
	ds_load_b64 v[7:8], v11 offset:1024
	s_wait_loadcnt_dscnt 0x0
	s_barrier_signal -1
	s_barrier_wait -1
	global_inv scope:SCOPE_SE
	v_add_f64_e32 v[3:4], v[3:4], v[7:8]
	ds_store_b64 v11, v[3:4]
.LBB15_100:
	s_cmp_lt_u32 s26, 0x41
	s_wait_loadcnt_dscnt 0x0
	s_barrier_signal -1
	s_barrier_wait -1
	global_inv scope:SCOPE_SE
	s_cbranch_scc1 .LBB15_102
; %bb.101:
	ds_load_b64 v[7:8], v11 offset:512
	s_wait_loadcnt_dscnt 0x0
	s_barrier_signal -1
	s_barrier_wait -1
	global_inv scope:SCOPE_SE
	v_add_f64_e32 v[3:4], v[3:4], v[7:8]
	ds_store_b64 v11, v[3:4]
.LBB15_102:
	s_cmp_lt_u32 s26, 33
	;; [unrolled: 15-line block ×5, first 2 shown]
	s_wait_loadcnt_dscnt 0x0
	s_barrier_signal -1
	s_barrier_wait -1
	global_inv scope:SCOPE_SE
	s_cbranch_scc1 .LBB15_110
; %bb.109:
	ds_load_b64 v[7:8], v11 offset:32
	s_wait_loadcnt_dscnt 0x0
	s_barrier_signal -1
	s_barrier_wait -1
	global_inv scope:SCOPE_SE
	v_add_f64_e32 v[3:4], v[3:4], v[7:8]
	ds_store_b64 v11, v[3:4]
.LBB15_110:
	s_cmp_eq_u32 s26, 2
	s_wait_loadcnt_dscnt 0x0
	s_barrier_signal -1
	s_barrier_wait -1
	global_inv scope:SCOPE_SE
	s_cbranch_scc1 .LBB15_112
; %bb.111:
	ds_load_b64 v[7:8], v11 offset:16
	s_wait_loadcnt_dscnt 0x0
	s_barrier_signal -1
	s_barrier_wait -1
	global_inv scope:SCOPE_SE
	v_add_f64_e32 v[3:4], v[3:4], v[7:8]
	ds_store_b64 v11, v[3:4]
.LBB15_112:
	s_wait_loadcnt_dscnt 0x0
	s_barrier_signal -1
	s_barrier_wait -1
	global_inv scope:SCOPE_SE
	ds_load_b64 v[7:8], v11 offset:8
	v_cmp_eq_u32_e64 s0, 0, v0
	s_xor_b32 s1, vcc_lo, -1
	s_wait_loadcnt_dscnt 0x0
	s_barrier_signal -1
	s_barrier_wait -1
	s_wait_alu 0xfffe
	s_and_b32 s0, s0, s1
	global_inv scope:SCOPE_SE
	v_add_f64_e32 v[3:4], v[3:4], v[7:8]
	ds_store_b64 v11, v[3:4]
	s_wait_alu 0xfffe
	s_and_b32 exec_lo, exec_lo, s0
	s_cbranch_execz .LBB15_116
; %bb.113:
	v_lshlrev_b64_e32 v[0:1], 3, v[1:2]
	s_mov_b32 s0, exec_lo
	v_cmpx_neq_f64_e32 0, v[5:6]
	s_cbranch_execz .LBB15_115
; %bb.114:
	s_delay_alu instid0(VALU_DEP_2)
	v_add_co_u32 v7, vcc_lo, s24, v0
	s_wait_alu 0xfffd
	v_add_co_ci_u32_e64 v8, null, s25, v1, vcc_lo
	global_load_b64 v[7:8], v[7:8], off
	s_wait_loadcnt 0x0
	v_fma_f64 v[3:4], v[5:6], v[7:8], v[3:4]
.LBB15_115:
	s_wait_alu 0xfffe
	s_or_b32 exec_lo, exec_lo, s0
	v_add_co_u32 v0, vcc_lo, s24, v0
	s_wait_alu 0xfffd
	v_add_co_ci_u32_e64 v1, null, s25, v1, vcc_lo
	global_store_b64 v[0:1], v[3:4], off
.LBB15_116:
	s_endpgm
	.section	.rodata,"a",@progbits
	.p2align	6, 0x0
	.amdhsa_kernel _ZN9rocsparseL22csrmvn_adaptive_kernelIliddddEEvbT_PKS1_PjPKT0_NS_24const_host_device_scalarIT4_EES3_S7_PKT1_PKT2_SA_PT3_21rocsparse_index_base_b
		.amdhsa_group_segment_fixed_size 8192
		.amdhsa_private_segment_fixed_size 0
		.amdhsa_kernarg_size 104
		.amdhsa_user_sgpr_count 2
		.amdhsa_user_sgpr_dispatch_ptr 0
		.amdhsa_user_sgpr_queue_ptr 0
		.amdhsa_user_sgpr_kernarg_segment_ptr 1
		.amdhsa_user_sgpr_dispatch_id 0
		.amdhsa_user_sgpr_private_segment_size 0
		.amdhsa_wavefront_size32 1
		.amdhsa_uses_dynamic_stack 0
		.amdhsa_enable_private_segment 0
		.amdhsa_system_sgpr_workgroup_id_x 1
		.amdhsa_system_sgpr_workgroup_id_y 0
		.amdhsa_system_sgpr_workgroup_id_z 0
		.amdhsa_system_sgpr_workgroup_info 0
		.amdhsa_system_vgpr_workitem_id 0
		.amdhsa_next_free_vgpr 22
		.amdhsa_next_free_sgpr 52
		.amdhsa_reserve_vcc 1
		.amdhsa_float_round_mode_32 0
		.amdhsa_float_round_mode_16_64 0
		.amdhsa_float_denorm_mode_32 3
		.amdhsa_float_denorm_mode_16_64 3
		.amdhsa_fp16_overflow 0
		.amdhsa_workgroup_processor_mode 1
		.amdhsa_memory_ordered 1
		.amdhsa_forward_progress 1
		.amdhsa_inst_pref_size 43
		.amdhsa_round_robin_scheduling 0
		.amdhsa_exception_fp_ieee_invalid_op 0
		.amdhsa_exception_fp_denorm_src 0
		.amdhsa_exception_fp_ieee_div_zero 0
		.amdhsa_exception_fp_ieee_overflow 0
		.amdhsa_exception_fp_ieee_underflow 0
		.amdhsa_exception_fp_ieee_inexact 0
		.amdhsa_exception_int_div_zero 0
	.end_amdhsa_kernel
	.section	.text._ZN9rocsparseL22csrmvn_adaptive_kernelIliddddEEvbT_PKS1_PjPKT0_NS_24const_host_device_scalarIT4_EES3_S7_PKT1_PKT2_SA_PT3_21rocsparse_index_base_b,"axG",@progbits,_ZN9rocsparseL22csrmvn_adaptive_kernelIliddddEEvbT_PKS1_PjPKT0_NS_24const_host_device_scalarIT4_EES3_S7_PKT1_PKT2_SA_PT3_21rocsparse_index_base_b,comdat
.Lfunc_end15:
	.size	_ZN9rocsparseL22csrmvn_adaptive_kernelIliddddEEvbT_PKS1_PjPKT0_NS_24const_host_device_scalarIT4_EES3_S7_PKT1_PKT2_SA_PT3_21rocsparse_index_base_b, .Lfunc_end15-_ZN9rocsparseL22csrmvn_adaptive_kernelIliddddEEvbT_PKS1_PjPKT0_NS_24const_host_device_scalarIT4_EES3_S7_PKT1_PKT2_SA_PT3_21rocsparse_index_base_b
                                        ; -- End function
	.set _ZN9rocsparseL22csrmvn_adaptive_kernelIliddddEEvbT_PKS1_PjPKT0_NS_24const_host_device_scalarIT4_EES3_S7_PKT1_PKT2_SA_PT3_21rocsparse_index_base_b.num_vgpr, 22
	.set _ZN9rocsparseL22csrmvn_adaptive_kernelIliddddEEvbT_PKS1_PjPKT0_NS_24const_host_device_scalarIT4_EES3_S7_PKT1_PKT2_SA_PT3_21rocsparse_index_base_b.num_agpr, 0
	.set _ZN9rocsparseL22csrmvn_adaptive_kernelIliddddEEvbT_PKS1_PjPKT0_NS_24const_host_device_scalarIT4_EES3_S7_PKT1_PKT2_SA_PT3_21rocsparse_index_base_b.numbered_sgpr, 52
	.set _ZN9rocsparseL22csrmvn_adaptive_kernelIliddddEEvbT_PKS1_PjPKT0_NS_24const_host_device_scalarIT4_EES3_S7_PKT1_PKT2_SA_PT3_21rocsparse_index_base_b.num_named_barrier, 0
	.set _ZN9rocsparseL22csrmvn_adaptive_kernelIliddddEEvbT_PKS1_PjPKT0_NS_24const_host_device_scalarIT4_EES3_S7_PKT1_PKT2_SA_PT3_21rocsparse_index_base_b.private_seg_size, 0
	.set _ZN9rocsparseL22csrmvn_adaptive_kernelIliddddEEvbT_PKS1_PjPKT0_NS_24const_host_device_scalarIT4_EES3_S7_PKT1_PKT2_SA_PT3_21rocsparse_index_base_b.uses_vcc, 1
	.set _ZN9rocsparseL22csrmvn_adaptive_kernelIliddddEEvbT_PKS1_PjPKT0_NS_24const_host_device_scalarIT4_EES3_S7_PKT1_PKT2_SA_PT3_21rocsparse_index_base_b.uses_flat_scratch, 0
	.set _ZN9rocsparseL22csrmvn_adaptive_kernelIliddddEEvbT_PKS1_PjPKT0_NS_24const_host_device_scalarIT4_EES3_S7_PKT1_PKT2_SA_PT3_21rocsparse_index_base_b.has_dyn_sized_stack, 0
	.set _ZN9rocsparseL22csrmvn_adaptive_kernelIliddddEEvbT_PKS1_PjPKT0_NS_24const_host_device_scalarIT4_EES3_S7_PKT1_PKT2_SA_PT3_21rocsparse_index_base_b.has_recursion, 0
	.set _ZN9rocsparseL22csrmvn_adaptive_kernelIliddddEEvbT_PKS1_PjPKT0_NS_24const_host_device_scalarIT4_EES3_S7_PKT1_PKT2_SA_PT3_21rocsparse_index_base_b.has_indirect_call, 0
	.section	.AMDGPU.csdata,"",@progbits
; Kernel info:
; codeLenInByte = 5400
; TotalNumSgprs: 54
; NumVgprs: 22
; ScratchSize: 0
; MemoryBound: 0
; FloatMode: 240
; IeeeMode: 1
; LDSByteSize: 8192 bytes/workgroup (compile time only)
; SGPRBlocks: 0
; VGPRBlocks: 2
; NumSGPRsForWavesPerEU: 54
; NumVGPRsForWavesPerEU: 22
; Occupancy: 16
; WaveLimiterHint : 1
; COMPUTE_PGM_RSRC2:SCRATCH_EN: 0
; COMPUTE_PGM_RSRC2:USER_SGPR: 2
; COMPUTE_PGM_RSRC2:TRAP_HANDLER: 0
; COMPUTE_PGM_RSRC2:TGID_X_EN: 1
; COMPUTE_PGM_RSRC2:TGID_Y_EN: 0
; COMPUTE_PGM_RSRC2:TGID_Z_EN: 0
; COMPUTE_PGM_RSRC2:TIDIG_COMP_CNT: 0
	.section	.text._ZN9rocsparseL27csrmvn_symm_adaptive_kernelIliddddEEvbT_S1_PKS1_NS_24const_host_device_scalarIT4_EES3_PKT0_PKT1_PKT2_S6_PT3_21rocsparse_index_base_b,"axG",@progbits,_ZN9rocsparseL27csrmvn_symm_adaptive_kernelIliddddEEvbT_S1_PKS1_NS_24const_host_device_scalarIT4_EES3_PKT0_PKT1_PKT2_S6_PT3_21rocsparse_index_base_b,comdat
	.globl	_ZN9rocsparseL27csrmvn_symm_adaptive_kernelIliddddEEvbT_S1_PKS1_NS_24const_host_device_scalarIT4_EES3_PKT0_PKT1_PKT2_S6_PT3_21rocsparse_index_base_b ; -- Begin function _ZN9rocsparseL27csrmvn_symm_adaptive_kernelIliddddEEvbT_S1_PKS1_NS_24const_host_device_scalarIT4_EES3_PKT0_PKT1_PKT2_S6_PT3_21rocsparse_index_base_b
	.p2align	8
	.type	_ZN9rocsparseL27csrmvn_symm_adaptive_kernelIliddddEEvbT_S1_PKS1_NS_24const_host_device_scalarIT4_EES3_PKT0_PKT1_PKT2_S6_PT3_21rocsparse_index_base_b,@function
_ZN9rocsparseL27csrmvn_symm_adaptive_kernelIliddddEEvbT_S1_PKS1_NS_24const_host_device_scalarIT4_EES3_PKT0_PKT1_PKT2_S6_PT3_21rocsparse_index_base_b: ; @_ZN9rocsparseL27csrmvn_symm_adaptive_kernelIliddddEEvbT_S1_PKS1_NS_24const_host_device_scalarIT4_EES3_PKT0_PKT1_PKT2_S6_PT3_21rocsparse_index_base_b
; %bb.0:
	s_clause 0x2
	s_load_b64 s[24:25], s[0:1], 0x58
	s_load_b64 s[4:5], s[0:1], 0x20
	;; [unrolled: 1-line block ×3, first 2 shown]
	s_wait_kmcnt 0x0
	s_bitcmp1_b32 s25, 0
	v_dual_mov_b32 v11, s5 :: v_dual_mov_b32 v10, s4
	s_cselect_b32 s6, -1, 0
	s_delay_alu instid0(SALU_CYCLE_1)
	s_and_b32 vcc_lo, exec_lo, s6
	s_xor_b32 s6, s6, -1
	s_cbranch_vccnz .LBB16_2
; %bb.1:
	v_dual_mov_b32 v1, s4 :: v_dual_mov_b32 v2, s5
	flat_load_b64 v[10:11], v[1:2]
.LBB16_2:
	v_dual_mov_b32 v1, s2 :: v_dual_mov_b32 v2, s3
	s_and_not1_b32 vcc_lo, exec_lo, s6
	s_cbranch_vccnz .LBB16_4
; %bb.3:
	v_dual_mov_b32 v1, s2 :: v_dual_mov_b32 v2, s3
	flat_load_b64 v[1:2], v[1:2]
.LBB16_4:
	s_wait_loadcnt_dscnt 0x0
	v_cmp_neq_f64_e32 vcc_lo, 0, v[10:11]
	v_cmp_neq_f64_e64 s2, 1.0, v[1:2]
	s_or_b32 s2, vcc_lo, s2
	s_wait_alu 0xfffe
	s_and_saveexec_b32 s3, s2
	s_cbranch_execz .LBB16_167
; %bb.5:
	s_load_b64 s[4:5], s[0:1], 0x18
	s_mov_b32 s25, 0
	s_mov_b32 s2, ttmp9
	s_mov_b32 s6, s25
	s_mov_b32 s7, s25
	v_dual_mov_b32 v1, s6 :: v_dual_lshlrev_b32 v18, 3, v0
	s_ashr_i32 s3, ttmp9, 31
	v_mov_b32_e32 v2, s7
	s_wait_alu 0xfffe
	s_lshl_b64 s[2:3], s[2:3], 3
	ds_store_2addr_stride64_b64 v18, v[1:2], v[1:2] offset1:4
	ds_store_2addr_stride64_b64 v18, v[1:2], v[1:2] offset0:8 offset1:12
	s_wait_dscnt 0x0
	s_barrier_signal -1
	s_barrier_wait -1
	global_inv scope:SCOPE_SE
	s_wait_kmcnt 0x0
	s_wait_alu 0xfffe
	s_add_nc_u64 s[2:3], s[4:5], s[2:3]
	s_load_b128 s[16:19], s[2:3], 0x0
	s_clause 0x1
	s_load_b256 s[8:15], s[0:1], 0x28
	s_load_b64 s[20:21], s[0:1], 0x50
	s_wait_kmcnt 0x0
	s_sub_nc_u64 s[22:23], s[18:19], s[16:17]
	s_delay_alu instid0(SALU_CYCLE_1)
	v_cmp_gt_i64_e64 s2, s[22:23], 2
	s_and_b32 vcc_lo, exec_lo, s2
	s_mov_b32 s2, -1
	s_cbranch_vccnz .LBB16_41
; %bb.6:
	v_cmp_le_i64_e64 s2, s[18:19], s[16:17]
	v_sub_co_u32 v9, s3, v0, s24
	v_mov_b32_e32 v13, 0
	s_wait_alu 0xf1ff
	v_sub_co_ci_u32_e64 v12, null, 0, 0, s3
	s_wait_alu 0xfffe
	s_and_b32 vcc_lo, exec_lo, s2
	s_cbranch_vccnz .LBB16_30
; %bb.7:
	v_cmp_gt_u32_e64 s2, 0x100, v0
	v_cmp_gt_u32_e64 s3, 64, v0
	;; [unrolled: 1-line block ×4, first 2 shown]
	v_cmp_eq_u32_e64 s6, 0, v0
	s_mov_b64 s[26:27], s[16:17]
	s_branch .LBB16_9
.LBB16_8:                               ;   in Loop: Header=BB16_9 Depth=1
	s_wait_alu 0xfffe
	s_or_b32 exec_lo, exec_lo, s7
	s_add_nc_u64 s[26:27], s[26:27], 1
	s_wait_alu 0xfffe
	v_cmp_ge_i64_e64 s7, s[26:27], s[18:19]
	s_and_b32 vcc_lo, exec_lo, s7
	s_wait_alu 0xfffe
	s_cbranch_vccnz .LBB16_30
.LBB16_9:                               ; =>This Loop Header: Depth=1
                                        ;     Child Loop BB16_11 Depth 2
                                        ;     Child Loop BB16_25 Depth 2
	;; [unrolled: 1-line block ×3, first 2 shown]
	s_lshl_b64 s[28:29], s[26:27], 3
	v_mov_b32_e32 v3, 0
	s_add_nc_u64 s[30:31], s[8:9], s[28:29]
	v_mov_b32_e32 v4, 0
	s_load_b128 s[36:39], s[30:31], 0x0
	s_mov_b32 s33, exec_lo
	s_wait_kmcnt 0x0
	v_add_co_u32 v1, vcc_lo, s36, v9
	s_wait_alu 0xfffd
	v_add_co_ci_u32_e64 v2, null, s37, v12, vcc_lo
	s_sub_nc_u64 s[30:31], s[38:39], s[24:25]
	s_wait_alu 0xfffe
	v_cmpx_gt_i64_e64 s[30:31], v[1:2]
	s_cbranch_execz .LBB16_13
; %bb.10:                               ;   in Loop: Header=BB16_9 Depth=1
	v_lshlrev_b64_e32 v[5:6], 2, v[1:2]
	v_lshlrev_b64_e32 v[7:8], 3, v[1:2]
	v_mov_b32_e32 v3, 0
	v_mov_b32_e32 v4, 0
	s_mov_b32 s34, 0
	s_delay_alu instid0(VALU_DEP_4)
	v_add_co_u32 v5, vcc_lo, s10, v5
	s_wait_alu 0xfffd
	v_add_co_ci_u32_e64 v6, null, s11, v6, vcc_lo
	v_add_co_u32 v7, vcc_lo, s12, v7
	s_wait_alu 0xfffd
	v_add_co_ci_u32_e64 v8, null, s13, v8, vcc_lo
.LBB16_11:                              ;   Parent Loop BB16_9 Depth=1
                                        ; =>  This Inner Loop Header: Depth=2
	global_load_b32 v14, v[5:6], off
	s_wait_loadcnt 0x0
	v_subrev_nc_u32_e32 v14, s24, v14
	s_delay_alu instid0(VALU_DEP_1) | instskip(NEXT) | instid1(VALU_DEP_1)
	v_ashrrev_i32_e32 v15, 31, v14
	v_lshlrev_b64_e32 v[14:15], 3, v[14:15]
	s_delay_alu instid0(VALU_DEP_1) | instskip(SKIP_1) | instid1(VALU_DEP_2)
	v_add_co_u32 v14, vcc_lo, s14, v14
	s_wait_alu 0xfffd
	v_add_co_ci_u32_e64 v15, null, s15, v15, vcc_lo
	v_add_co_u32 v1, vcc_lo, 0x100, v1
	global_load_b64 v[16:17], v[7:8], off
	global_load_b64 v[14:15], v[14:15], off
	s_wait_alu 0xfffd
	v_add_co_ci_u32_e64 v2, null, 0, v2, vcc_lo
	v_add_co_u32 v5, vcc_lo, 0x400, v5
	s_wait_alu 0xfffd
	v_add_co_ci_u32_e64 v6, null, 0, v6, vcc_lo
	s_delay_alu instid0(VALU_DEP_3)
	v_cmp_le_i64_e32 vcc_lo, s[30:31], v[1:2]
	v_add_co_u32 v7, s7, 0x800, v7
	s_wait_alu 0xf1ff
	v_add_co_ci_u32_e64 v8, null, 0, v8, s7
	s_wait_alu 0xfffe
	s_or_b32 s34, vcc_lo, s34
	s_wait_loadcnt 0x0
	v_fma_f64 v[3:4], v[16:17], v[14:15], v[3:4]
	s_wait_alu 0xfffe
	s_and_not1_b32 exec_lo, exec_lo, s34
	s_cbranch_execnz .LBB16_11
; %bb.12:                               ;   in Loop: Header=BB16_9 Depth=1
	s_or_b32 exec_lo, exec_lo, s34
.LBB16_13:                              ;   in Loop: Header=BB16_9 Depth=1
	s_delay_alu instid0(SALU_CYCLE_1)
	s_or_b32 exec_lo, exec_lo, s33
	ds_store_b64 v18, v[3:4]
	s_wait_loadcnt_dscnt 0x0
	s_barrier_signal -1
	s_barrier_wait -1
	global_inv scope:SCOPE_SE
	s_and_saveexec_b32 s7, s2
	s_cbranch_execz .LBB16_15
; %bb.14:                               ;   in Loop: Header=BB16_9 Depth=1
	ds_load_2addr_stride64_b64 v[1:4], v18 offset1:4
	ds_load_2addr_stride64_b64 v[5:8], v18 offset0:8 offset1:12
	s_wait_dscnt 0x0
	v_add_f64_e32 v[3:4], v[3:4], v[5:6]
	s_delay_alu instid0(VALU_DEP_1) | instskip(NEXT) | instid1(VALU_DEP_1)
	v_add_f64_e32 v[3:4], v[3:4], v[7:8]
	v_add_f64_e32 v[1:2], v[1:2], v[3:4]
	ds_store_b64 v18, v[1:2]
.LBB16_15:                              ;   in Loop: Header=BB16_9 Depth=1
	s_wait_alu 0xfffe
	s_or_b32 exec_lo, exec_lo, s7
	s_wait_loadcnt_dscnt 0x0
	s_barrier_signal -1
	s_barrier_wait -1
	global_inv scope:SCOPE_SE
	s_and_saveexec_b32 s7, s3
	s_cbranch_execz .LBB16_17
; %bb.16:                               ;   in Loop: Header=BB16_9 Depth=1
	ds_load_2addr_stride64_b64 v[1:4], v18 offset1:1
	ds_load_2addr_stride64_b64 v[5:8], v18 offset0:2 offset1:3
	s_wait_dscnt 0x0
	v_add_f64_e32 v[3:4], v[3:4], v[5:6]
	s_delay_alu instid0(VALU_DEP_1) | instskip(NEXT) | instid1(VALU_DEP_1)
	v_add_f64_e32 v[3:4], v[3:4], v[7:8]
	v_add_f64_e32 v[1:2], v[1:2], v[3:4]
	ds_store_b64 v18, v[1:2]
.LBB16_17:                              ;   in Loop: Header=BB16_9 Depth=1
	s_wait_alu 0xfffe
	s_or_b32 exec_lo, exec_lo, s7
	s_wait_loadcnt_dscnt 0x0
	s_barrier_signal -1
	s_barrier_wait -1
	global_inv scope:SCOPE_SE
	s_and_saveexec_b32 s7, s4
	s_cbranch_execz .LBB16_19
; %bb.18:                               ;   in Loop: Header=BB16_9 Depth=1
	ds_load_2addr_b64 v[1:4], v18 offset1:16
	ds_load_2addr_b64 v[5:8], v18 offset0:32 offset1:48
	s_wait_dscnt 0x0
	v_add_f64_e32 v[3:4], v[3:4], v[5:6]
	s_delay_alu instid0(VALU_DEP_1) | instskip(NEXT) | instid1(VALU_DEP_1)
	v_add_f64_e32 v[3:4], v[3:4], v[7:8]
	v_add_f64_e32 v[1:2], v[1:2], v[3:4]
	ds_store_b64 v18, v[1:2]
.LBB16_19:                              ;   in Loop: Header=BB16_9 Depth=1
	s_wait_alu 0xfffe
	s_or_b32 exec_lo, exec_lo, s7
	s_wait_loadcnt_dscnt 0x0
	s_barrier_signal -1
	s_barrier_wait -1
	global_inv scope:SCOPE_SE
	s_and_saveexec_b32 s7, s5
	s_cbranch_execz .LBB16_21
; %bb.20:                               ;   in Loop: Header=BB16_9 Depth=1
	ds_load_2addr_b64 v[1:4], v18 offset1:4
	ds_load_2addr_b64 v[5:8], v18 offset0:8 offset1:12
	s_wait_dscnt 0x0
	v_add_f64_e32 v[3:4], v[3:4], v[5:6]
	s_delay_alu instid0(VALU_DEP_1) | instskip(NEXT) | instid1(VALU_DEP_1)
	v_add_f64_e32 v[3:4], v[3:4], v[7:8]
	v_add_f64_e32 v[1:2], v[1:2], v[3:4]
	ds_store_b64 v18, v[1:2]
.LBB16_21:                              ;   in Loop: Header=BB16_9 Depth=1
	s_wait_alu 0xfffe
	s_or_b32 exec_lo, exec_lo, s7
	s_wait_loadcnt_dscnt 0x0
	s_barrier_signal -1
	s_barrier_wait -1
	global_inv scope:SCOPE_SE
	s_and_saveexec_b32 s7, s6
	s_cbranch_execz .LBB16_23
; %bb.22:                               ;   in Loop: Header=BB16_9 Depth=1
	ds_load_2addr_b64 v[1:4], v13 offset0:1 offset1:2
	ds_load_b64 v[5:6], v18
	s_wait_dscnt 0x1
	v_add_f64_e32 v[1:2], v[1:2], v[3:4]
	ds_load_b64 v[3:4], v13 offset:24
	s_wait_dscnt 0x0
	v_add_f64_e32 v[1:2], v[1:2], v[3:4]
	s_delay_alu instid0(VALU_DEP_1)
	v_add_f64_e32 v[1:2], v[5:6], v[1:2]
	ds_store_b64 v18, v[1:2]
.LBB16_23:                              ;   in Loop: Header=BB16_9 Depth=1
	s_wait_alu 0xfffe
	s_or_b32 exec_lo, exec_lo, s7
	s_wait_loadcnt_dscnt 0x0
	s_barrier_signal -1
	s_barrier_wait -1
	global_inv scope:SCOPE_SE
	s_and_saveexec_b32 s7, s6
	s_cbranch_execz .LBB16_8
; %bb.24:                               ;   in Loop: Header=BB16_9 Depth=1
	ds_load_b64 v[1:2], v13
	v_mov_b32_e32 v5, 0
	v_bfrev_b32_e32 v6, 1
	s_mov_b32 s30, exec_lo
	s_wait_dscnt 0x0
	v_mul_f64_e32 v[1:2], v[10:11], v[1:2]
.LBB16_25:                              ;   Parent Loop BB16_9 Depth=1
                                        ; =>  This Inner Loop Header: Depth=2
	s_wait_alu 0xfffe
	s_ctz_i32_b32 s31, s30
	s_wait_alu 0xfffe
	s_delay_alu instid0(VALU_DEP_1) | instskip(NEXT) | instid1(VALU_DEP_2)
	v_readlane_b32 s35, v2, s31
	v_readlane_b32 s34, v1, s31
	s_lshl_b32 s31, 1, s31
	s_wait_alu 0xfffe
	s_and_not1_b32 s30, s30, s31
	v_add_f64_e32 v[5:6], s[34:35], v[5:6]
	s_wait_alu 0xfffe
	s_cmp_lg_u32 s30, 0
	s_cbranch_scc1 .LBB16_25
; %bb.26:                               ;   in Loop: Header=BB16_9 Depth=1
	v_mbcnt_lo_u32_b32 v1, exec_lo, 0
	s_mov_b32 s30, exec_lo
	s_delay_alu instid0(VALU_DEP_1)
	v_cmpx_eq_u32_e32 0, v1
	s_wait_alu 0xfffe
	s_xor_b32 s30, exec_lo, s30
	s_cbranch_execz .LBB16_8
; %bb.27:                               ;   in Loop: Header=BB16_9 Depth=1
	s_add_nc_u64 s[28:29], s[20:21], s[28:29]
	s_mov_b32 s30, 0
	global_load_b64 v[3:4], v13, s[28:29]
.LBB16_28:                              ;   Parent Loop BB16_9 Depth=1
                                        ; =>  This Inner Loop Header: Depth=2
	s_wait_loadcnt 0x0
	v_add_f64_e32 v[1:2], v[3:4], v[5:6]
	global_atomic_cmpswap_b64 v[1:2], v13, v[1:4], s[28:29] th:TH_ATOMIC_RETURN scope:SCOPE_DEV
	s_wait_loadcnt 0x0
	v_cmp_eq_u64_e32 vcc_lo, v[1:2], v[3:4]
	v_dual_mov_b32 v4, v2 :: v_dual_mov_b32 v3, v1
	s_wait_alu 0xfffe
	s_or_b32 s30, vcc_lo, s30
	s_wait_alu 0xfffe
	s_and_not1_b32 exec_lo, exec_lo, s30
	s_cbranch_execnz .LBB16_28
; %bb.29:                               ;   in Loop: Header=BB16_9 Depth=1
	s_or_b32 exec_lo, exec_lo, s30
	s_branch .LBB16_8
.LBB16_30:
	s_lshl_b64 s[2:3], s[16:17], 3
	s_lshl_b64 s[4:5], s[18:19], 3
	s_wait_alu 0xfffe
	s_add_nc_u64 s[2:3], s[8:9], s[2:3]
	s_add_nc_u64 s[4:5], s[8:9], s[4:5]
	s_clause 0x1
	s_load_b64 s[2:3], s[2:3], 0x0
	s_load_b64 s[4:5], s[4:5], 0x0
	s_wait_kmcnt 0x0
	v_add_co_u32 v5, vcc_lo, s2, v9
	s_wait_alu 0xfffd
	v_add_co_ci_u32_e64 v6, null, s3, v12, vcc_lo
	s_sub_nc_u64 s[4:5], s[4:5], s[24:25]
	s_mov_b32 s3, exec_lo
	s_wait_alu 0xfffe
	v_cmpx_gt_i64_e64 s[4:5], v[5:6]
	s_cbranch_execz .LBB16_40
; %bb.31:
	s_add_nc_u64 s[6:7], s[18:19], -1
	s_add_nc_u64 s[26:27], s[18:19], -2
	s_wait_alu 0xfffe
	v_cmp_lt_i64_e64 s2, s[16:17], s[6:7]
	s_cmp_lg_u64 s[16:17], s[26:27]
	s_mov_b32 s26, 0
	s_cselect_b32 s25, -1, 0
	s_wait_alu 0xfffe
	s_and_b32 s25, s2, s25
	s_branch .LBB16_33
.LBB16_32:                              ;   in Loop: Header=BB16_33 Depth=1
	s_wait_alu 0xfffe
	s_or_b32 exec_lo, exec_lo, s2
	v_add_co_u32 v5, vcc_lo, 0x100, v5
	s_wait_alu 0xfffd
	v_add_co_ci_u32_e64 v6, null, 0, v6, vcc_lo
	s_delay_alu instid0(VALU_DEP_1)
	v_cmp_le_i64_e32 vcc_lo, s[4:5], v[5:6]
	s_or_b32 s26, vcc_lo, s26
	s_wait_alu 0xfffe
	s_and_not1_b32 exec_lo, exec_lo, s26
	s_cbranch_execz .LBB16_40
.LBB16_33:                              ; =>This Loop Header: Depth=1
                                        ;     Child Loop BB16_35 Depth 2
                                        ;     Child Loop BB16_39 Depth 2
	v_dual_mov_b32 v1, s16 :: v_dual_mov_b32 v2, s17
	v_dual_mov_b32 v3, s6 :: v_dual_mov_b32 v4, s7
	s_wait_alu 0xfffe
	s_and_not1_b32 vcc_lo, exec_lo, s25
	s_wait_alu 0xfffe
	s_cbranch_vccnz .LBB16_37
; %bb.34:                               ;   in Loop: Header=BB16_33 Depth=1
	v_dual_mov_b32 v1, s16 :: v_dual_mov_b32 v2, s17
	v_dual_mov_b32 v3, s6 :: v_dual_mov_b32 v4, s7
	s_mov_b32 s27, 0
.LBB16_35:                              ;   Parent Loop BB16_33 Depth=1
                                        ; =>  This Inner Loop Header: Depth=2
	s_delay_alu instid0(VALU_DEP_1) | instskip(SKIP_1) | instid1(VALU_DEP_2)
	v_add_co_u32 v7, vcc_lo, v3, v1
	s_wait_alu 0xfffd
	v_add_co_ci_u32_e64 v8, null, v4, v2, vcc_lo
	s_delay_alu instid0(VALU_DEP_1) | instskip(NEXT) | instid1(VALU_DEP_1)
	v_lshrrev_b32_e32 v9, 31, v8
	v_add_co_u32 v7, vcc_lo, v7, v9
	s_wait_alu 0xfffd
	v_add_co_ci_u32_e64 v8, null, 0, v8, vcc_lo
	s_delay_alu instid0(VALU_DEP_1) | instskip(NEXT) | instid1(VALU_DEP_1)
	v_ashrrev_i64 v[7:8], 1, v[7:8]
	v_lshlrev_b64_e32 v[12:13], 3, v[7:8]
	s_delay_alu instid0(VALU_DEP_1) | instskip(SKIP_1) | instid1(VALU_DEP_2)
	v_add_co_u32 v12, vcc_lo, s8, v12
	s_wait_alu 0xfffd
	v_add_co_ci_u32_e64 v13, null, s9, v13, vcc_lo
	global_load_b64 v[12:13], v[12:13], off
	s_wait_loadcnt 0x0
	v_sub_co_u32 v12, vcc_lo, v12, s24
	s_wait_alu 0xfffd
	v_subrev_co_ci_u32_e64 v13, null, 0, v13, vcc_lo
	s_delay_alu instid0(VALU_DEP_1) | instskip(SKIP_3) | instid1(VALU_DEP_2)
	v_cmp_lt_i64_e32 vcc_lo, v[5:6], v[12:13]
	s_wait_alu 0xfffd
	v_dual_cndmask_b32 v4, v4, v8 :: v_dual_cndmask_b32 v3, v3, v7
	v_dual_cndmask_b32 v2, v8, v2 :: v_dual_cndmask_b32 v1, v7, v1
	v_add_co_u32 v7, vcc_lo, v3, -1
	s_wait_alu 0xfffd
	s_delay_alu instid0(VALU_DEP_3) | instskip(NEXT) | instid1(VALU_DEP_3)
	v_add_co_ci_u32_e64 v8, null, -1, v4, vcc_lo
	v_cmp_ge_i64_e32 vcc_lo, v[1:2], v[3:4]
	s_delay_alu instid0(VALU_DEP_2)
	v_cmp_eq_u64_e64 s2, v[1:2], v[7:8]
	s_or_b32 s2, vcc_lo, s2
	s_wait_alu 0xfffe
	s_and_b32 s2, exec_lo, s2
	s_wait_alu 0xfffe
	s_or_b32 s27, s2, s27
	s_wait_alu 0xfffe
	s_and_not1_b32 exec_lo, exec_lo, s27
	s_cbranch_execnz .LBB16_35
; %bb.36:                               ;   in Loop: Header=BB16_33 Depth=1
	s_or_b32 exec_lo, exec_lo, s27
.LBB16_37:                              ;   in Loop: Header=BB16_33 Depth=1
	v_lshlrev_b64_e32 v[7:8], 3, v[3:4]
	v_lshlrev_b64_e32 v[12:13], 2, v[5:6]
	s_mov_b32 s2, exec_lo
	s_delay_alu instid0(VALU_DEP_2) | instskip(SKIP_1) | instid1(VALU_DEP_3)
	v_add_co_u32 v7, vcc_lo, s8, v7
	s_wait_alu 0xfffd
	v_add_co_ci_u32_e64 v8, null, s9, v8, vcc_lo
	s_delay_alu instid0(VALU_DEP_3)
	v_add_co_u32 v12, vcc_lo, s10, v12
	s_wait_alu 0xfffd
	v_add_co_ci_u32_e64 v13, null, s11, v13, vcc_lo
	global_load_b64 v[7:8], v[7:8], off
	global_load_b32 v9, v[12:13], off
	s_wait_loadcnt 0x1
	v_sub_co_u32 v7, vcc_lo, v7, s24
	s_wait_alu 0xfffd
	v_subrev_co_ci_u32_e64 v8, null, 0, v8, vcc_lo
	s_delay_alu instid0(VALU_DEP_1) | instskip(SKIP_2) | instid1(VALU_DEP_1)
	v_cmp_lt_i64_e32 vcc_lo, v[5:6], v[7:8]
	s_wait_loadcnt 0x0
	v_subrev_nc_u32_e32 v7, s24, v9
	v_ashrrev_i32_e32 v8, 31, v7
	s_wait_alu 0xfffd
	v_dual_cndmask_b32 v2, v4, v2 :: v_dual_cndmask_b32 v1, v3, v1
	s_delay_alu instid0(VALU_DEP_1)
	v_cmpx_ne_u64_e64 v[1:2], v[7:8]
	s_cbranch_execz .LBB16_32
; %bb.38:                               ;   in Loop: Header=BB16_33 Depth=1
	v_lshlrev_b64_e32 v[3:4], 3, v[5:6]
	v_lshlrev_b64_e32 v[1:2], 3, v[1:2]
	s_mov_b32 s27, 0
	s_delay_alu instid0(VALU_DEP_2) | instskip(SKIP_1) | instid1(VALU_DEP_3)
	v_add_co_u32 v3, vcc_lo, s12, v3
	s_wait_alu 0xfffd
	v_add_co_ci_u32_e64 v4, null, s13, v4, vcc_lo
	s_delay_alu instid0(VALU_DEP_3)
	v_add_co_u32 v1, vcc_lo, s14, v1
	s_wait_alu 0xfffd
	v_add_co_ci_u32_e64 v2, null, s15, v2, vcc_lo
	global_load_b64 v[12:13], v[3:4], off
	v_lshlrev_b64_e32 v[3:4], 3, v[7:8]
	global_load_b64 v[1:2], v[1:2], off
	v_add_co_u32 v7, vcc_lo, s20, v3
	s_wait_alu 0xfffd
	v_add_co_ci_u32_e64 v8, null, s21, v4, vcc_lo
	global_load_b64 v[3:4], v[7:8], off
	s_wait_loadcnt 0x2
	v_mul_f64_e32 v[12:13], v[10:11], v[12:13]
	s_wait_loadcnt 0x1
	s_delay_alu instid0(VALU_DEP_1)
	v_mul_f64_e32 v[12:13], v[12:13], v[1:2]
.LBB16_39:                              ;   Parent Loop BB16_33 Depth=1
                                        ; =>  This Inner Loop Header: Depth=2
	s_wait_loadcnt 0x0
	s_delay_alu instid0(VALU_DEP_1)
	v_add_f64_e32 v[1:2], v[3:4], v[12:13]
	global_atomic_cmpswap_b64 v[1:2], v[7:8], v[1:4], off th:TH_ATOMIC_RETURN scope:SCOPE_DEV
	s_wait_loadcnt 0x0
	v_cmp_eq_u64_e32 vcc_lo, v[1:2], v[3:4]
	v_dual_mov_b32 v4, v2 :: v_dual_mov_b32 v3, v1
	s_wait_alu 0xfffe
	s_or_b32 s27, vcc_lo, s27
	s_wait_alu 0xfffe
	s_and_not1_b32 exec_lo, exec_lo, s27
	s_cbranch_execnz .LBB16_39
	s_branch .LBB16_32
.LBB16_40:
	s_or_b32 exec_lo, exec_lo, s3
	s_mov_b32 s2, 0
.LBB16_41:
	s_wait_alu 0xfffe
	s_and_b32 vcc_lo, exec_lo, s2
	s_wait_alu 0xfffe
	s_cbranch_vccz .LBB16_167
; %bb.42:
	s_load_b32 s2, s[0:1], 0x6c
	s_mov_b32 s25, 0
	s_mov_b64 s[28:29], 0
	s_wait_alu 0xfffe
	s_mov_b32 s7, s25
	s_wait_kmcnt 0x0
	s_and_b32 s6, s2, 0xffff
	s_wait_alu 0xfffe
	v_cmp_lt_u64_e64 s2, s[6:7], s[22:23]
	s_and_b32 vcc_lo, exec_lo, s2
	s_wait_alu 0xfffe
	s_cbranch_vccnz .LBB16_44
; %bb.43:
	v_cvt_f32_u32_e32 v1, s22
	s_sub_co_i32 s3, 0, s22
	s_delay_alu instid0(VALU_DEP_1) | instskip(NEXT) | instid1(TRANS32_DEP_1)
	v_rcp_iflag_f32_e32 v1, v1
	v_mul_f32_e32 v1, 0x4f7ffffe, v1
	s_delay_alu instid0(VALU_DEP_1) | instskip(NEXT) | instid1(VALU_DEP_1)
	v_cvt_u32_f32_e32 v1, v1
	v_readfirstlane_b32 s2, v1
	s_wait_alu 0xfffe
	s_mul_i32 s3, s3, s2
	s_wait_alu 0xfffe
	s_mul_hi_u32 s3, s2, s3
	s_wait_alu 0xfffe
	s_add_co_i32 s2, s2, s3
	s_wait_alu 0xfffe
	s_mul_hi_u32 s2, s6, s2
	s_wait_alu 0xfffe
	s_mul_i32 s3, s2, s22
	s_add_co_i32 s4, s2, 1
	s_wait_alu 0xfffe
	s_sub_co_i32 s3, s6, s3
	s_wait_alu 0xfffe
	s_sub_co_i32 s5, s3, s22
	s_cmp_ge_u32 s3, s22
	s_cselect_b32 s2, s4, s2
	s_wait_alu 0xfffe
	s_cselect_b32 s3, s5, s3
	s_add_co_i32 s4, s2, 1
	s_wait_alu 0xfffe
	s_cmp_ge_u32 s3, s22
	s_cselect_b32 s28, s4, s2
.LBB16_44:
	s_lshl_b64 s[2:3], s[16:17], 3
	v_sub_co_u32 v1, s7, v0, s24
	s_wait_alu 0xfffe
	s_add_nc_u64 s[26:27], s[8:9], s[2:3]
	s_load_b64 s[4:5], s[26:27], 0x0
	s_load_b128 s[0:3], s[0:1], 0x8
	v_sub_co_ci_u32_e64 v2, null, 0, 0, s7
	s_wait_kmcnt 0x0
	v_add_co_u32 v8, vcc_lo, s4, v1
	s_wait_alu 0xfffd
	s_delay_alu instid0(VALU_DEP_2) | instskip(SKIP_1) | instid1(VALU_DEP_3)
	v_add_co_ci_u32_e64 v9, null, s5, v2, vcc_lo
	v_mov_b32_e32 v1, 0
	v_add_co_u32 v6, vcc_lo, 0x300, v8
	s_wait_alu 0xfffd
	s_delay_alu instid0(VALU_DEP_3) | instskip(NEXT) | instid1(VALU_DEP_1)
	v_add_co_ci_u32_e64 v7, null, 0, v9, vcc_lo
	v_cmp_le_i64_e32 vcc_lo, s[0:1], v[6:7]
	s_and_saveexec_b32 s0, vcc_lo
	s_wait_alu 0xfffe
	s_xor_b32 s7, exec_lo, s0
	s_cbranch_execnz .LBB16_47
; %bb.45:
	s_wait_alu 0xfffe
	s_and_not1_saveexec_b32 s1, s7
	s_cbranch_execnz .LBB16_51
.LBB16_46:
	s_wait_alu 0xfffe
	s_or_b32 exec_lo, exec_lo, s1
	s_delay_alu instid0(SALU_CYCLE_1)
	s_mov_b32 s1, exec_lo
	v_cmpx_gt_i64_e64 s[2:3], v[0:1]
	s_cbranch_execnz .LBB16_52
	s_branch .LBB16_54
.LBB16_47:
	s_lshl_b64 s[0:1], s[18:19], 3
	s_mov_b32 s29, exec_lo
	s_wait_alu 0xfffe
	s_add_nc_u64 s[0:1], s[8:9], s[0:1]
	s_load_b64 s[0:1], s[0:1], 0x0
	s_wait_kmcnt 0x0
	s_sub_nc_u64 s[30:31], s[0:1], s[4:5]
	s_wait_alu 0xfffe
	v_cmpx_gt_i64_e64 s[30:31], v[0:1]
	s_cbranch_execz .LBB16_50
; %bb.48:
	v_lshlrev_b64_e32 v[2:3], 3, v[8:9]
	v_dual_mov_b32 v12, v18 :: v_dual_mov_b32 v5, v1
	v_mov_b32_e32 v4, v0
	s_mov_b32 s33, 0
	s_delay_alu instid0(VALU_DEP_3)
	v_add_co_u32 v2, s0, s12, v2
	s_wait_alu 0xf1ff
	v_add_co_ci_u32_e64 v3, null, s13, v3, s0
.LBB16_49:                              ; =>This Inner Loop Header: Depth=1
	global_load_b64 v[13:14], v[2:3], off
	v_add_co_u32 v4, s0, 0x100, v4
	s_wait_alu 0xf1ff
	v_add_co_ci_u32_e64 v5, null, 0, v5, s0
	v_add_co_u32 v2, s0, 0x800, v2
	s_wait_alu 0xf1ff
	v_add_co_ci_u32_e64 v3, null, 0, v3, s0
	s_delay_alu instid0(VALU_DEP_3)
	v_cmp_le_i64_e64 s1, s[30:31], v[4:5]
	s_or_b32 s33, s1, s33
	s_wait_loadcnt 0x0
	v_mul_f64_e32 v[13:14], v[10:11], v[13:14]
	ds_store_b64 v12, v[13:14]
	v_add_nc_u32_e32 v12, 0x800, v12
	s_and_not1_b32 exec_lo, exec_lo, s33
	s_cbranch_execnz .LBB16_49
.LBB16_50:
	s_or_b32 exec_lo, exec_lo, s29
                                        ; implicit-def: $vgpr10_vgpr11
	s_and_not1_saveexec_b32 s1, s7
	s_cbranch_execz .LBB16_46
.LBB16_51:
	v_lshlrev_b64_e32 v[2:3], 3, v[8:9]
	s_delay_alu instid0(VALU_DEP_1) | instskip(SKIP_1) | instid1(VALU_DEP_2)
	v_add_co_u32 v2, s0, s12, v2
	s_wait_alu 0xf1ff
	v_add_co_ci_u32_e64 v3, null, s13, v3, s0
	s_clause 0x3
	global_load_b64 v[4:5], v[2:3], off
	global_load_b64 v[12:13], v[2:3], off offset:2048
	global_load_b64 v[14:15], v[2:3], off offset:4096
	;; [unrolled: 1-line block ×3, first 2 shown]
	s_wait_loadcnt 0x3
	v_mul_f64_e32 v[4:5], v[10:11], v[4:5]
	s_wait_loadcnt 0x2
	v_mul_f64_e32 v[12:13], v[10:11], v[12:13]
	;; [unrolled: 2-line block ×4, first 2 shown]
	ds_store_2addr_stride64_b64 v18, v[4:5], v[12:13] offset1:4
	ds_store_2addr_stride64_b64 v18, v[14:15], v[2:3] offset0:8 offset1:12
	s_wait_alu 0xfffe
	s_or_b32 exec_lo, exec_lo, s1
	s_delay_alu instid0(SALU_CYCLE_1)
	s_mov_b32 s1, exec_lo
	v_cmpx_gt_i64_e64 s[2:3], v[0:1]
	s_cbranch_execz .LBB16_54
.LBB16_52:
	v_dual_mov_b32 v2, 0 :: v_dual_mov_b32 v5, v1
	v_lshl_add_u32 v10, v0, 3, 0x2000
	s_mov_b32 s7, 0
	s_delay_alu instid0(VALU_DEP_2)
	v_dual_mov_b32 v4, v0 :: v_dual_mov_b32 v3, v2
.LBB16_53:                              ; =>This Inner Loop Header: Depth=1
	s_delay_alu instid0(VALU_DEP_1)
	v_add_co_u32 v4, s0, 0x100, v4
	s_wait_alu 0xf1ff
	v_add_co_ci_u32_e64 v5, null, 0, v5, s0
	ds_store_b64 v10, v[2:3]
	v_add_nc_u32_e32 v10, 0x800, v10
	v_cmp_le_i64_e64 s0, s[2:3], v[4:5]
	s_wait_alu 0xfffe
	s_or_b32 s7, s0, s7
	s_wait_alu 0xfffe
	s_and_not1_b32 exec_lo, exec_lo, s7
	s_cbranch_execnz .LBB16_53
.LBB16_54:
	s_wait_alu 0xfffe
	s_or_b32 exec_lo, exec_lo, s1
	v_cmp_ge_i64_e64 s7, s[18:19], s[2:3]
	s_sub_nc_u64 s[0:1], s[18:19], s[2:3]
	s_wait_loadcnt_dscnt 0x0
	s_barrier_signal -1
	s_barrier_wait -1
	global_inv scope:SCOPE_SE
	s_and_b32 s7, s7, exec_lo
	s_wait_alu 0xfffe
	s_cselect_b32 s13, s1, 0
	s_cselect_b32 s12, s0, 0
	s_and_saveexec_b32 s0, vcc_lo
	s_wait_alu 0xfffe
	s_xor_b32 s7, exec_lo, s0
	s_cbranch_execz .LBB16_75
; %bb.55:
	s_lshl_b64 s[0:1], s[18:19], 3
	s_mov_b32 s29, exec_lo
	s_wait_alu 0xfffe
	s_add_nc_u64 s[0:1], s[8:9], s[0:1]
	s_load_b64 s[0:1], s[0:1], 0x0
	s_wait_kmcnt 0x0
	s_sub_nc_u64 s[30:31], s[0:1], s[4:5]
	s_wait_alu 0xfffe
	v_cmpx_gt_i64_e64 s[30:31], v[0:1]
	s_cbranch_execz .LBB16_74
; %bb.56:
	s_add_nc_u64 s[34:35], s[18:19], -2
	s_sub_nc_u64 s[36:37], s[0:1], s[24:25]
	s_wait_alu 0xfffe
	s_cmp_lg_u64 s[16:17], s[34:35]
	s_add_nc_u64 s[34:35], s[18:19], -1
	s_cselect_b32 s33, -1, 0
	s_mov_b64 s[38:39], 0
	s_mov_b32 s1, 0
	s_branch .LBB16_59
.LBB16_57:                              ;   in Loop: Header=BB16_59 Depth=1
	s_wait_alu 0xfffe
	s_or_b32 exec_lo, exec_lo, s0
.LBB16_58:                              ;   in Loop: Header=BB16_59 Depth=1
	s_delay_alu instid0(SALU_CYCLE_1)
	s_or_b32 exec_lo, exec_lo, s40
	v_lshlrev_b64_e32 v[2:3], 3, v[6:7]
	s_add_nc_u64 s[38:39], s[38:39], 0x100
	s_wait_alu 0xfffe
	v_add_co_u32 v4, s0, s38, v0
	s_wait_alu 0xf1ff
	v_add_co_ci_u32_e64 v5, null, s39, 0, s0
	v_add_co_u32 v2, vcc_lo, s14, v2
	s_wait_alu 0xfffd
	v_add_co_ci_u32_e64 v3, null, s15, v3, vcc_lo
	s_delay_alu instid0(VALU_DEP_3)
	v_cmp_le_i64_e32 vcc_lo, s[30:31], v[4:5]
	v_lshlrev_b32_e32 v4, 3, v16
	global_load_b64 v[2:3], v[2:3], off
	s_or_b32 s1, vcc_lo, s1
	s_wait_loadcnt_dscnt 0x0
	v_mul_f64_e32 v[2:3], v[2:3], v[10:11]
	ds_store_b64 v4, v[2:3]
	s_wait_alu 0xfffe
	s_and_not1_b32 exec_lo, exec_lo, s1
	s_cbranch_execz .LBB16_74
.LBB16_59:                              ; =>This Loop Header: Depth=1
                                        ;     Child Loop BB16_61 Depth 2
                                        ;     Child Loop BB16_68 Depth 2
	;; [unrolled: 1-line block ×3, first 2 shown]
	v_add_co_u32 v2, vcc_lo, s38, v8
	s_wait_alu 0xfffd
	v_add_co_ci_u32_e64 v3, null, s39, v9, vcc_lo
	v_dual_mov_b32 v4, s16 :: v_dual_mov_b32 v5, s17
	s_wait_alu 0xfffe
	v_dual_mov_b32 v10, s34 :: v_dual_mov_b32 v11, s35
	s_and_not1_b32 vcc_lo, exec_lo, s33
	s_wait_alu 0xfffe
	s_cbranch_vccnz .LBB16_63
; %bb.60:                               ;   in Loop: Header=BB16_59 Depth=1
	v_dual_mov_b32 v4, s16 :: v_dual_mov_b32 v5, s17
	v_dual_mov_b32 v10, s34 :: v_dual_mov_b32 v11, s35
	s_mov_b32 s40, 0
.LBB16_61:                              ;   Parent Loop BB16_59 Depth=1
                                        ; =>  This Inner Loop Header: Depth=2
	s_delay_alu instid0(VALU_DEP_1) | instskip(SKIP_1) | instid1(VALU_DEP_2)
	v_add_co_u32 v6, vcc_lo, v10, v4
	s_wait_alu 0xfffd
	v_add_co_ci_u32_e64 v7, null, v11, v5, vcc_lo
	s_delay_alu instid0(VALU_DEP_1) | instskip(NEXT) | instid1(VALU_DEP_1)
	v_lshrrev_b32_e32 v12, 31, v7
	v_add_co_u32 v6, vcc_lo, v6, v12
	s_wait_alu 0xfffd
	v_add_co_ci_u32_e64 v7, null, 0, v7, vcc_lo
	s_delay_alu instid0(VALU_DEP_1) | instskip(NEXT) | instid1(VALU_DEP_1)
	v_ashrrev_i64 v[6:7], 1, v[6:7]
	v_lshlrev_b64_e32 v[12:13], 3, v[6:7]
	s_delay_alu instid0(VALU_DEP_1) | instskip(SKIP_1) | instid1(VALU_DEP_2)
	v_add_co_u32 v12, vcc_lo, s8, v12
	s_wait_alu 0xfffd
	v_add_co_ci_u32_e64 v13, null, s9, v13, vcc_lo
	global_load_b64 v[12:13], v[12:13], off
	s_wait_loadcnt 0x0
	v_sub_co_u32 v12, vcc_lo, v12, s24
	s_wait_alu 0xfffd
	v_subrev_co_ci_u32_e64 v13, null, 0, v13, vcc_lo
	s_delay_alu instid0(VALU_DEP_1) | instskip(SKIP_3) | instid1(VALU_DEP_2)
	v_cmp_lt_i64_e32 vcc_lo, v[2:3], v[12:13]
	s_wait_alu 0xfffd
	v_dual_cndmask_b32 v11, v11, v7 :: v_dual_cndmask_b32 v10, v10, v6
	v_dual_cndmask_b32 v5, v7, v5 :: v_dual_cndmask_b32 v4, v6, v4
	v_add_co_u32 v6, vcc_lo, v10, -1
	s_wait_alu 0xfffd
	s_delay_alu instid0(VALU_DEP_3) | instskip(NEXT) | instid1(VALU_DEP_3)
	v_add_co_ci_u32_e64 v7, null, -1, v11, vcc_lo
	v_cmp_ge_i64_e32 vcc_lo, v[4:5], v[10:11]
	s_delay_alu instid0(VALU_DEP_2)
	v_cmp_eq_u64_e64 s0, v[4:5], v[6:7]
	s_or_b32 s0, vcc_lo, s0
	s_wait_alu 0xfffe
	s_and_b32 s0, exec_lo, s0
	s_wait_alu 0xfffe
	s_or_b32 s40, s0, s40
	s_delay_alu instid0(SALU_CYCLE_1)
	s_and_not1_b32 exec_lo, exec_lo, s40
	s_cbranch_execnz .LBB16_61
; %bb.62:                               ;   in Loop: Header=BB16_59 Depth=1
	s_or_b32 exec_lo, exec_lo, s40
.LBB16_63:                              ;   in Loop: Header=BB16_59 Depth=1
	s_delay_alu instid0(VALU_DEP_1) | instskip(SKIP_3) | instid1(VALU_DEP_4)
	v_lshlrev_b64_e32 v[6:7], 3, v[10:11]
	v_lshlrev_b64_e32 v[12:13], 2, v[2:3]
	v_add_co_u32 v16, null, s38, v0
	v_cmp_le_i64_e64 s0, s[36:37], v[2:3]
	v_add_co_u32 v6, vcc_lo, s8, v6
	s_wait_alu 0xfffd
	v_add_co_ci_u32_e64 v7, null, s9, v7, vcc_lo
	v_add_co_u32 v12, vcc_lo, s10, v12
	s_wait_alu 0xfffd
	v_add_co_ci_u32_e64 v13, null, s11, v13, vcc_lo
	global_load_b64 v[6:7], v[6:7], off
	global_load_b32 v14, v[12:13], off
	s_wait_loadcnt 0x1
	v_sub_co_u32 v12, vcc_lo, v6, s24
	s_wait_alu 0xfffd
	v_subrev_co_ci_u32_e64 v13, null, 0, v7, vcc_lo
	s_wait_loadcnt 0x0
	v_subrev_nc_u32_e32 v6, s24, v14
	v_lshlrev_b32_e32 v14, 3, v16
	s_delay_alu instid0(VALU_DEP_3) | instskip(NEXT) | instid1(VALU_DEP_3)
	v_cmp_lt_i64_e32 vcc_lo, v[2:3], v[12:13]
	v_ashrrev_i32_e32 v7, 31, v6
	s_wait_alu 0xfffd
	v_dual_cndmask_b32 v5, v11, v5 :: v_dual_cndmask_b32 v4, v10, v4
                                        ; implicit-def: $vgpr10_vgpr11
	s_delay_alu instid0(VALU_DEP_1) | instskip(SKIP_3) | instid1(SALU_CYCLE_1)
	v_cmp_eq_u64_e32 vcc_lo, v[4:5], v[6:7]
	s_or_b32 s0, vcc_lo, s0
	s_wait_alu 0xfffe
	s_and_saveexec_b32 s40, s0
	s_xor_b32 s0, exec_lo, s40
; %bb.64:                               ;   in Loop: Header=BB16_59 Depth=1
	ds_load_b64 v[10:11], v14
                                        ; implicit-def: $vgpr4_vgpr5
                                        ; implicit-def: $vgpr14
; %bb.65:                               ;   in Loop: Header=BB16_59 Depth=1
	s_wait_alu 0xfffe
	s_and_not1_saveexec_b32 s40, s0
	s_cbranch_execz .LBB16_58
; %bb.66:                               ;   in Loop: Header=BB16_59 Depth=1
	v_cmp_gt_i64_e32 vcc_lo, s[12:13], v[6:7]
	v_cmp_le_i64_e64 s0, s[18:19], v[6:7]
	v_lshlrev_b64_e32 v[2:3], 3, v[4:5]
                                        ; implicit-def: $vgpr10_vgpr11
	s_or_b32 s0, vcc_lo, s0
	s_wait_alu 0xfffe
	s_and_saveexec_b32 s41, s0
	s_delay_alu instid0(SALU_CYCLE_1)
	s_xor_b32 s0, exec_lo, s41
	s_cbranch_execz .LBB16_70
; %bb.67:                               ;   in Loop: Header=BB16_59 Depth=1
	v_add_co_u32 v2, vcc_lo, s14, v2
	s_wait_alu 0xfffd
	v_add_co_ci_u32_e64 v3, null, s15, v3, vcc_lo
	v_lshlrev_b64_e32 v[4:5], 3, v[6:7]
	s_wait_dscnt 0x0
	ds_load_b64 v[10:11], v14
	s_mov_b32 s41, 0
	global_load_b64 v[2:3], v[2:3], off
	v_add_co_u32 v12, vcc_lo, s20, v4
	s_wait_alu 0xfffd
	v_add_co_ci_u32_e64 v13, null, s21, v5, vcc_lo
	global_load_b64 v[4:5], v[12:13], off
	s_wait_loadcnt_dscnt 0x100
	v_mul_f64_e32 v[14:15], v[10:11], v[2:3]
.LBB16_68:                              ;   Parent Loop BB16_59 Depth=1
                                        ; =>  This Inner Loop Header: Depth=2
	s_wait_loadcnt 0x0
	s_delay_alu instid0(VALU_DEP_1)
	v_add_f64_e32 v[2:3], v[4:5], v[14:15]
	global_atomic_cmpswap_b64 v[2:3], v[12:13], v[2:5], off th:TH_ATOMIC_RETURN scope:SCOPE_DEV
	s_wait_loadcnt 0x0
	v_cmp_eq_u64_e32 vcc_lo, v[2:3], v[4:5]
	v_dual_mov_b32 v5, v3 :: v_dual_mov_b32 v4, v2
	s_or_b32 s41, vcc_lo, s41
	s_delay_alu instid0(SALU_CYCLE_1)
	s_and_not1_b32 exec_lo, exec_lo, s41
	s_cbranch_execnz .LBB16_68
; %bb.69:                               ;   in Loop: Header=BB16_59 Depth=1
	s_or_b32 exec_lo, exec_lo, s41
                                        ; implicit-def: $vgpr14
                                        ; implicit-def: $vgpr2_vgpr3
.LBB16_70:                              ;   in Loop: Header=BB16_59 Depth=1
	s_wait_alu 0xfffe
	s_and_not1_saveexec_b32 s0, s0
	s_cbranch_execz .LBB16_57
; %bb.71:                               ;   in Loop: Header=BB16_59 Depth=1
	v_add_co_u32 v2, vcc_lo, s14, v2
	s_wait_alu 0xfffd
	v_add_co_ci_u32_e64 v3, null, s15, v3, vcc_lo
	s_wait_dscnt 0x0
	ds_load_b64 v[10:11], v14
	v_subrev_nc_u32_e32 v4, s12, v6
	s_mov_b32 s41, 0
	global_load_b64 v[2:3], v[2:3], off
	v_lshl_add_u32 v12, v4, 3, 0x2000
	ds_load_b64 v[4:5], v12
	s_wait_loadcnt_dscnt 0x1
	v_mul_f64_e32 v[2:3], v[10:11], v[2:3]
.LBB16_72:                              ;   Parent Loop BB16_59 Depth=1
                                        ; =>  This Inner Loop Header: Depth=2
	s_wait_dscnt 0x0
	s_delay_alu instid0(VALU_DEP_1)
	v_add_f64_e32 v[13:14], v[4:5], v[2:3]
	ds_cmpstore_rtn_b64 v[13:14], v12, v[13:14], v[4:5]
	s_wait_dscnt 0x0
	v_cmp_eq_u64_e32 vcc_lo, v[13:14], v[4:5]
	v_dual_mov_b32 v4, v13 :: v_dual_mov_b32 v5, v14
	s_or_b32 s41, vcc_lo, s41
	s_delay_alu instid0(SALU_CYCLE_1)
	s_and_not1_b32 exec_lo, exec_lo, s41
	s_cbranch_execnz .LBB16_72
; %bb.73:                               ;   in Loop: Header=BB16_59 Depth=1
	s_or_b32 exec_lo, exec_lo, s41
	s_branch .LBB16_57
.LBB16_74:
	s_or_b32 exec_lo, exec_lo, s29
                                        ; implicit-def: $vgpr6_vgpr7
                                        ; implicit-def: $vgpr8
.LBB16_75:
	s_wait_alu 0xfffe
	s_and_not1_saveexec_b32 s1, s7
	s_cbranch_execz .LBB16_133
; %bb.76:
	s_add_nc_u64 s[30:31], s[18:19], -1
	s_add_nc_u64 s[34:35], s[18:19], -2
	v_dual_mov_b32 v2, s16 :: v_dual_mov_b32 v3, s17
	s_wait_alu 0xfffe
	v_dual_mov_b32 v4, s30 :: v_dual_mov_b32 v5, s31
	s_cmp_lg_u64 s[16:17], s[34:35]
	s_cselect_b32 s7, -1, 0
	s_cmp_eq_u64 s[16:17], s[34:35]
	s_cbranch_scc1 .LBB16_80
; %bb.77:
	v_dual_mov_b32 v2, s16 :: v_dual_mov_b32 v3, s17
	v_dual_mov_b32 v4, s30 :: v_dual_mov_b32 v5, s31
	s_mov_b32 s29, 0
.LBB16_78:                              ; =>This Inner Loop Header: Depth=1
	s_delay_alu instid0(VALU_DEP_1) | instskip(SKIP_1) | instid1(VALU_DEP_2)
	v_add_co_u32 v10, vcc_lo, v4, v2
	s_wait_alu 0xfffd
	v_add_co_ci_u32_e64 v11, null, v5, v3, vcc_lo
	s_delay_alu instid0(VALU_DEP_1) | instskip(NEXT) | instid1(VALU_DEP_1)
	v_lshrrev_b32_e32 v12, 31, v11
	v_add_co_u32 v10, vcc_lo, v10, v12
	s_wait_alu 0xfffd
	v_add_co_ci_u32_e64 v11, null, 0, v11, vcc_lo
	s_delay_alu instid0(VALU_DEP_1) | instskip(NEXT) | instid1(VALU_DEP_1)
	v_ashrrev_i64 v[10:11], 1, v[10:11]
	v_lshlrev_b64_e32 v[12:13], 3, v[10:11]
	s_delay_alu instid0(VALU_DEP_1) | instskip(SKIP_1) | instid1(VALU_DEP_2)
	v_add_co_u32 v12, vcc_lo, s8, v12
	s_wait_alu 0xfffd
	v_add_co_ci_u32_e64 v13, null, s9, v13, vcc_lo
	global_load_b64 v[12:13], v[12:13], off
	s_wait_loadcnt 0x0
	v_sub_co_u32 v12, vcc_lo, v12, s24
	s_wait_alu 0xfffd
	v_subrev_co_ci_u32_e64 v13, null, 0, v13, vcc_lo
	s_delay_alu instid0(VALU_DEP_1) | instskip(SKIP_3) | instid1(VALU_DEP_2)
	v_cmp_lt_i64_e32 vcc_lo, v[8:9], v[12:13]
	s_wait_alu 0xfffd
	v_dual_cndmask_b32 v5, v5, v11 :: v_dual_cndmask_b32 v4, v4, v10
	v_dual_cndmask_b32 v3, v11, v3 :: v_dual_cndmask_b32 v2, v10, v2
	v_add_co_u32 v10, vcc_lo, v4, -1
	s_wait_alu 0xfffd
	s_delay_alu instid0(VALU_DEP_3) | instskip(NEXT) | instid1(VALU_DEP_3)
	v_add_co_ci_u32_e64 v11, null, -1, v5, vcc_lo
	v_cmp_ge_i64_e32 vcc_lo, v[2:3], v[4:5]
	s_delay_alu instid0(VALU_DEP_2)
	v_cmp_eq_u64_e64 s0, v[2:3], v[10:11]
	s_or_b32 s0, vcc_lo, s0
	s_wait_alu 0xfffe
	s_and_b32 s0, exec_lo, s0
	s_wait_alu 0xfffe
	s_or_b32 s29, s0, s29
	s_delay_alu instid0(SALU_CYCLE_1)
	s_and_not1_b32 exec_lo, exec_lo, s29
	s_cbranch_execnz .LBB16_78
; %bb.79:
	s_or_b32 exec_lo, exec_lo, s29
.LBB16_80:
	v_lshlrev_b64_e32 v[10:11], 3, v[4:5]
	v_lshlrev_b64_e32 v[12:13], 2, v[8:9]
	s_mov_b32 s29, exec_lo
	s_delay_alu instid0(VALU_DEP_2) | instskip(SKIP_1) | instid1(VALU_DEP_3)
	v_add_co_u32 v10, vcc_lo, s8, v10
	s_wait_alu 0xfffd
	v_add_co_ci_u32_e64 v11, null, s9, v11, vcc_lo
	global_load_b64 v[14:15], v[10:11], off
	v_add_co_u32 v10, vcc_lo, s10, v12
	s_wait_alu 0xfffd
	v_add_co_ci_u32_e64 v11, null, s11, v13, vcc_lo
	s_lshl_b64 s[10:11], s[18:19], 3
	s_wait_alu 0xfffe
	s_add_nc_u64 s[10:11], s[8:9], s[10:11]
	global_load_b32 v16, v[10:11], off
	s_wait_loadcnt 0x1
	v_sub_co_u32 v12, vcc_lo, v14, s24
	s_wait_alu 0xfffd
	v_subrev_co_ci_u32_e64 v13, null, 0, v15, vcc_lo
	s_delay_alu instid0(VALU_DEP_1) | instskip(SKIP_2) | instid1(VALU_DEP_1)
	v_cmp_lt_i64_e32 vcc_lo, v[8:9], v[12:13]
	s_wait_loadcnt 0x0
	v_subrev_nc_u32_e32 v12, s24, v16
	v_ashrrev_i32_e32 v13, 31, v12
	s_wait_alu 0xfffd
	v_dual_cndmask_b32 v3, v5, v3 :: v_dual_cndmask_b32 v2, v4, v2
	s_delay_alu instid0(VALU_DEP_1)
	v_cmpx_ne_u64_e64 v[2:3], v[12:13]
	s_cbranch_execz .LBB16_90
; %bb.81:
	s_load_b64 s[34:35], s[10:11], 0x0
	s_wait_kmcnt 0x0
	s_sub_nc_u64 s[34:35], s[34:35], s[24:25]
	s_wait_alu 0xfffe
	v_cmp_gt_i64_e32 vcc_lo, s[34:35], v[8:9]
	s_and_b32 exec_lo, exec_lo, vcc_lo
	s_cbranch_execz .LBB16_90
; %bb.82:
	v_cmp_gt_i64_e32 vcc_lo, s[12:13], v[12:13]
	v_cmp_le_i64_e64 s0, s[18:19], v[12:13]
	v_lshlrev_b64_e32 v[2:3], 3, v[2:3]
	s_or_b32 s0, vcc_lo, s0
	s_wait_alu 0xfffe
	s_and_saveexec_b32 s33, s0
	s_delay_alu instid0(SALU_CYCLE_1)
	s_xor_b32 s0, exec_lo, s33
	s_cbranch_execz .LBB16_86
; %bb.83:
	v_add_co_u32 v2, vcc_lo, s14, v2
	s_wait_alu 0xfffd
	v_add_co_ci_u32_e64 v3, null, s15, v3, vcc_lo
	v_lshlrev_b64_e32 v[4:5], 3, v[12:13]
	ds_load_b64 v[16:17], v18
	s_mov_b32 s33, 0
	global_load_b64 v[2:3], v[2:3], off
	v_add_co_u32 v14, vcc_lo, s20, v4
	s_wait_alu 0xfffd
	v_add_co_ci_u32_e64 v15, null, s21, v5, vcc_lo
	global_load_b64 v[4:5], v[14:15], off
	s_wait_loadcnt_dscnt 0x100
	v_mul_f64_e32 v[16:17], v[16:17], v[2:3]
.LBB16_84:                              ; =>This Inner Loop Header: Depth=1
	s_wait_loadcnt 0x0
	s_delay_alu instid0(VALU_DEP_1)
	v_add_f64_e32 v[2:3], v[4:5], v[16:17]
	global_atomic_cmpswap_b64 v[2:3], v[14:15], v[2:5], off th:TH_ATOMIC_RETURN scope:SCOPE_DEV
	s_wait_loadcnt 0x0
	v_cmp_eq_u64_e32 vcc_lo, v[2:3], v[4:5]
	v_dual_mov_b32 v5, v3 :: v_dual_mov_b32 v4, v2
	s_or_b32 s33, vcc_lo, s33
	s_delay_alu instid0(SALU_CYCLE_1)
	s_and_not1_b32 exec_lo, exec_lo, s33
	s_cbranch_execnz .LBB16_84
; %bb.85:
	s_or_b32 exec_lo, exec_lo, s33
                                        ; implicit-def: $vgpr2_vgpr3
.LBB16_86:
	s_wait_alu 0xfffe
	s_and_not1_saveexec_b32 s0, s0
	s_cbranch_execz .LBB16_90
; %bb.87:
	v_add_co_u32 v2, vcc_lo, s14, v2
	s_wait_alu 0xfffd
	v_add_co_ci_u32_e64 v3, null, s15, v3, vcc_lo
	ds_load_b64 v[4:5], v18
	s_mov_b32 s0, 0
	global_load_b64 v[2:3], v[2:3], off
	s_wait_loadcnt_dscnt 0x0
	v_mul_f64_e32 v[2:3], v[4:5], v[2:3]
	v_subrev_nc_u32_e32 v4, s12, v12
	s_delay_alu instid0(VALU_DEP_1)
	v_lshl_add_u32 v14, v4, 3, 0x2000
	ds_load_b64 v[4:5], v14
.LBB16_88:                              ; =>This Inner Loop Header: Depth=1
	s_wait_dscnt 0x0
	v_add_f64_e32 v[15:16], v[4:5], v[2:3]
	ds_cmpstore_rtn_b64 v[15:16], v14, v[15:16], v[4:5]
	s_wait_dscnt 0x0
	v_cmp_eq_u64_e32 vcc_lo, v[15:16], v[4:5]
	v_dual_mov_b32 v4, v15 :: v_dual_mov_b32 v5, v16
	s_wait_alu 0xfffe
	s_or_b32 s0, vcc_lo, s0
	s_wait_alu 0xfffe
	s_and_not1_b32 exec_lo, exec_lo, s0
	s_cbranch_execnz .LBB16_88
; %bb.89:
	s_or_b32 exec_lo, exec_lo, s0
.LBB16_90:
	s_delay_alu instid0(SALU_CYCLE_1)
	s_or_b32 exec_lo, exec_lo, s29
	v_lshlrev_b64_e32 v[2:3], 3, v[12:13]
	ds_load_b64 v[4:5], v18
	v_cndmask_b32_e64 v19, 0, 1, s7
	v_dual_mov_b32 v13, s30 :: v_dual_mov_b32 v14, s31
	v_add_co_u32 v2, vcc_lo, s14, v2
	s_wait_alu 0xfffd
	v_add_co_ci_u32_e64 v3, null, s15, v3, vcc_lo
	global_load_b64 v[2:3], v[2:3], off
	s_wait_loadcnt_dscnt 0x0
	v_mul_f64_e32 v[15:16], v[2:3], v[4:5]
	v_add_co_u32 v2, vcc_lo, 0x100, v8
	s_wait_alu 0xfffd
	v_add_co_ci_u32_e64 v3, null, 0, v9, vcc_lo
	v_dual_mov_b32 v4, s16 :: v_dual_mov_b32 v5, s17
	s_and_not1_b32 vcc_lo, exec_lo, s7
	ds_store_b64 v18, v[15:16]
	s_wait_alu 0xfffe
	s_cbranch_vccnz .LBB16_94
; %bb.91:
	v_dual_mov_b32 v4, s16 :: v_dual_mov_b32 v5, s17
	v_dual_mov_b32 v13, s30 :: v_dual_mov_b32 v14, s31
	s_mov_b32 s7, 0
.LBB16_92:                              ; =>This Inner Loop Header: Depth=1
	s_delay_alu instid0(VALU_DEP_1) | instskip(SKIP_1) | instid1(VALU_DEP_2)
	v_add_co_u32 v12, vcc_lo, v13, v4
	s_wait_alu 0xfffd
	v_add_co_ci_u32_e64 v16, null, v14, v5, vcc_lo
	s_delay_alu instid0(VALU_DEP_1) | instskip(NEXT) | instid1(VALU_DEP_1)
	v_lshrrev_b32_e32 v15, 31, v16
	v_add_co_u32 v15, vcc_lo, v12, v15
	s_wait_alu 0xfffd
	v_add_co_ci_u32_e64 v16, null, 0, v16, vcc_lo
	s_delay_alu instid0(VALU_DEP_1) | instskip(NEXT) | instid1(VALU_DEP_1)
	v_ashrrev_i64 v[15:16], 1, v[15:16]
	v_lshlrev_b64_e32 v[20:21], 3, v[15:16]
	s_delay_alu instid0(VALU_DEP_1) | instskip(SKIP_1) | instid1(VALU_DEP_2)
	v_add_co_u32 v20, vcc_lo, s8, v20
	s_wait_alu 0xfffd
	v_add_co_ci_u32_e64 v21, null, s9, v21, vcc_lo
	global_load_b64 v[20:21], v[20:21], off
	s_wait_loadcnt 0x0
	v_sub_co_u32 v20, vcc_lo, v20, s24
	s_wait_alu 0xfffd
	v_subrev_co_ci_u32_e64 v21, null, 0, v21, vcc_lo
	s_delay_alu instid0(VALU_DEP_1) | instskip(SKIP_3) | instid1(VALU_DEP_2)
	v_cmp_lt_i64_e32 vcc_lo, v[2:3], v[20:21]
	s_wait_alu 0xfffd
	v_dual_cndmask_b32 v14, v14, v16 :: v_dual_cndmask_b32 v13, v13, v15
	v_dual_cndmask_b32 v5, v16, v5 :: v_dual_cndmask_b32 v4, v15, v4
	v_add_co_u32 v15, vcc_lo, v13, -1
	s_wait_alu 0xfffd
	s_delay_alu instid0(VALU_DEP_3) | instskip(NEXT) | instid1(VALU_DEP_3)
	v_add_co_ci_u32_e64 v16, null, -1, v14, vcc_lo
	v_cmp_ge_i64_e32 vcc_lo, v[4:5], v[13:14]
	s_delay_alu instid0(VALU_DEP_2)
	v_cmp_eq_u64_e64 s0, v[4:5], v[15:16]
	s_or_b32 s0, vcc_lo, s0
	s_wait_alu 0xfffe
	s_and_b32 s0, exec_lo, s0
	s_wait_alu 0xfffe
	s_or_b32 s7, s0, s7
	s_wait_alu 0xfffe
	s_and_not1_b32 exec_lo, exec_lo, s7
	s_cbranch_execnz .LBB16_92
; %bb.93:
	s_or_b32 exec_lo, exec_lo, s7
.LBB16_94:
	v_lshlrev_b64_e32 v[15:16], 3, v[13:14]
	s_mov_b32 s7, exec_lo
	s_delay_alu instid0(VALU_DEP_1) | instskip(SKIP_1) | instid1(VALU_DEP_2)
	v_add_co_u32 v15, vcc_lo, s8, v15
	s_wait_alu 0xfffd
	v_add_co_ci_u32_e64 v16, null, s9, v16, vcc_lo
	global_load_b64 v[15:16], v[15:16], off
	global_load_b32 v12, v[10:11], off offset:1024
	s_wait_loadcnt 0x1
	v_sub_co_u32 v15, vcc_lo, v15, s24
	s_wait_alu 0xfffd
	v_subrev_co_ci_u32_e64 v16, null, 0, v16, vcc_lo
	s_wait_loadcnt 0x0
	v_subrev_nc_u32_e32 v12, s24, v12
	s_delay_alu instid0(VALU_DEP_2) | instskip(SKIP_2) | instid1(VALU_DEP_3)
	v_cmp_lt_i64_e32 vcc_lo, v[2:3], v[15:16]
	s_wait_alu 0xfffd
	v_dual_cndmask_b32 v5, v14, v5 :: v_dual_cndmask_b32 v4, v13, v4
	v_ashrrev_i32_e32 v13, 31, v12
	s_delay_alu instid0(VALU_DEP_1)
	v_cmpx_ne_u64_e64 v[4:5], v[12:13]
	s_cbranch_execz .LBB16_104
; %bb.95:
	s_load_b64 s[34:35], s[10:11], 0x0
	s_wait_kmcnt 0x0
	s_sub_nc_u64 s[34:35], s[34:35], s[24:25]
	s_wait_alu 0xfffe
	v_cmp_gt_i64_e32 vcc_lo, s[34:35], v[2:3]
	s_and_b32 exec_lo, exec_lo, vcc_lo
	s_cbranch_execz .LBB16_104
; %bb.96:
	v_cmp_gt_i64_e32 vcc_lo, s[12:13], v[12:13]
	v_cmp_le_i64_e64 s0, s[18:19], v[12:13]
	v_lshlrev_b64_e32 v[2:3], 3, v[4:5]
	s_or_b32 s0, vcc_lo, s0
	s_wait_alu 0xfffe
	s_and_saveexec_b32 s29, s0
	s_delay_alu instid0(SALU_CYCLE_1)
	s_xor_b32 s0, exec_lo, s29
	s_cbranch_execz .LBB16_100
; %bb.97:
	v_add_co_u32 v2, vcc_lo, s14, v2
	s_wait_alu 0xfffd
	v_add_co_ci_u32_e64 v3, null, s15, v3, vcc_lo
	v_lshlrev_b64_e32 v[4:5], 3, v[12:13]
	ds_load_b64 v[16:17], v18 offset:2048
	s_mov_b32 s29, 0
	global_load_b64 v[2:3], v[2:3], off
	v_add_co_u32 v14, vcc_lo, s20, v4
	s_wait_alu 0xfffd
	v_add_co_ci_u32_e64 v15, null, s21, v5, vcc_lo
	global_load_b64 v[4:5], v[14:15], off
	s_wait_loadcnt_dscnt 0x100
	v_mul_f64_e32 v[16:17], v[16:17], v[2:3]
.LBB16_98:                              ; =>This Inner Loop Header: Depth=1
	s_wait_loadcnt 0x0
	s_delay_alu instid0(VALU_DEP_1)
	v_add_f64_e32 v[2:3], v[4:5], v[16:17]
	global_atomic_cmpswap_b64 v[2:3], v[14:15], v[2:5], off th:TH_ATOMIC_RETURN scope:SCOPE_DEV
	s_wait_loadcnt 0x0
	v_cmp_eq_u64_e32 vcc_lo, v[2:3], v[4:5]
	v_dual_mov_b32 v5, v3 :: v_dual_mov_b32 v4, v2
	s_or_b32 s29, vcc_lo, s29
	s_delay_alu instid0(SALU_CYCLE_1)
	s_and_not1_b32 exec_lo, exec_lo, s29
	s_cbranch_execnz .LBB16_98
; %bb.99:
	s_or_b32 exec_lo, exec_lo, s29
                                        ; implicit-def: $vgpr2_vgpr3
.LBB16_100:
	s_wait_alu 0xfffe
	s_and_not1_saveexec_b32 s0, s0
	s_cbranch_execz .LBB16_104
; %bb.101:
	v_add_co_u32 v2, vcc_lo, s14, v2
	s_wait_alu 0xfffd
	v_add_co_ci_u32_e64 v3, null, s15, v3, vcc_lo
	ds_load_b64 v[4:5], v18 offset:2048
	s_mov_b32 s0, 0
	global_load_b64 v[2:3], v[2:3], off
	s_wait_loadcnt_dscnt 0x0
	v_mul_f64_e32 v[2:3], v[4:5], v[2:3]
	v_subrev_nc_u32_e32 v4, s12, v12
	s_delay_alu instid0(VALU_DEP_1)
	v_lshl_add_u32 v14, v4, 3, 0x2000
	ds_load_b64 v[4:5], v14
.LBB16_102:                             ; =>This Inner Loop Header: Depth=1
	s_wait_dscnt 0x0
	v_add_f64_e32 v[15:16], v[4:5], v[2:3]
	ds_cmpstore_rtn_b64 v[15:16], v14, v[15:16], v[4:5]
	s_wait_dscnt 0x0
	v_cmp_eq_u64_e32 vcc_lo, v[15:16], v[4:5]
	v_dual_mov_b32 v4, v15 :: v_dual_mov_b32 v5, v16
	s_wait_alu 0xfffe
	s_or_b32 s0, vcc_lo, s0
	s_wait_alu 0xfffe
	s_and_not1_b32 exec_lo, exec_lo, s0
	s_cbranch_execnz .LBB16_102
; %bb.103:
	s_or_b32 exec_lo, exec_lo, s0
.LBB16_104:
	s_wait_alu 0xfffe
	s_or_b32 exec_lo, exec_lo, s7
	v_lshlrev_b64_e32 v[2:3], 3, v[12:13]
	ds_load_b64 v[4:5], v18 offset:2048
	v_dual_mov_b32 v12, s30 :: v_dual_mov_b32 v13, s31
	v_add_co_u32 v2, vcc_lo, s14, v2
	s_wait_alu 0xfffd
	v_add_co_ci_u32_e64 v3, null, s15, v3, vcc_lo
	v_cmp_ne_u32_e32 vcc_lo, 1, v19
	global_load_b64 v[2:3], v[2:3], off
	s_and_b32 vcc_lo, exec_lo, vcc_lo
	s_wait_loadcnt_dscnt 0x0
	v_mul_f64_e32 v[14:15], v[2:3], v[4:5]
	v_add_co_u32 v2, s0, 0x200, v8
	s_wait_alu 0xf1ff
	v_add_co_ci_u32_e64 v3, null, 0, v9, s0
	v_dual_mov_b32 v4, s16 :: v_dual_mov_b32 v5, s17
	ds_store_b64 v18, v[14:15] offset:2048
	s_wait_alu 0xfffe
	s_cbranch_vccnz .LBB16_108
; %bb.105:
	v_dual_mov_b32 v4, s16 :: v_dual_mov_b32 v5, s17
	v_dual_mov_b32 v12, s30 :: v_dual_mov_b32 v13, s31
	s_mov_b32 s7, 0
.LBB16_106:                             ; =>This Inner Loop Header: Depth=1
	s_delay_alu instid0(VALU_DEP_1) | instskip(SKIP_1) | instid1(VALU_DEP_2)
	v_add_co_u32 v8, vcc_lo, v12, v4
	s_wait_alu 0xfffd
	v_add_co_ci_u32_e64 v9, null, v13, v5, vcc_lo
	s_delay_alu instid0(VALU_DEP_1) | instskip(NEXT) | instid1(VALU_DEP_1)
	v_lshrrev_b32_e32 v14, 31, v9
	v_add_co_u32 v8, vcc_lo, v8, v14
	s_wait_alu 0xfffd
	v_add_co_ci_u32_e64 v9, null, 0, v9, vcc_lo
	s_delay_alu instid0(VALU_DEP_1) | instskip(NEXT) | instid1(VALU_DEP_1)
	v_ashrrev_i64 v[8:9], 1, v[8:9]
	v_lshlrev_b64_e32 v[14:15], 3, v[8:9]
	s_delay_alu instid0(VALU_DEP_1) | instskip(SKIP_1) | instid1(VALU_DEP_2)
	v_add_co_u32 v14, vcc_lo, s8, v14
	s_wait_alu 0xfffd
	v_add_co_ci_u32_e64 v15, null, s9, v15, vcc_lo
	global_load_b64 v[14:15], v[14:15], off
	s_wait_loadcnt 0x0
	v_sub_co_u32 v14, vcc_lo, v14, s24
	s_wait_alu 0xfffd
	v_subrev_co_ci_u32_e64 v15, null, 0, v15, vcc_lo
	s_delay_alu instid0(VALU_DEP_1) | instskip(SKIP_3) | instid1(VALU_DEP_2)
	v_cmp_lt_i64_e32 vcc_lo, v[2:3], v[14:15]
	s_wait_alu 0xfffd
	v_dual_cndmask_b32 v13, v13, v9 :: v_dual_cndmask_b32 v12, v12, v8
	v_dual_cndmask_b32 v5, v9, v5 :: v_dual_cndmask_b32 v4, v8, v4
	v_add_co_u32 v8, vcc_lo, v12, -1
	s_wait_alu 0xfffd
	s_delay_alu instid0(VALU_DEP_3) | instskip(NEXT) | instid1(VALU_DEP_3)
	v_add_co_ci_u32_e64 v9, null, -1, v13, vcc_lo
	v_cmp_ge_i64_e32 vcc_lo, v[4:5], v[12:13]
	s_delay_alu instid0(VALU_DEP_2)
	v_cmp_eq_u64_e64 s0, v[4:5], v[8:9]
	s_or_b32 s0, vcc_lo, s0
	s_wait_alu 0xfffe
	s_and_b32 s0, exec_lo, s0
	s_wait_alu 0xfffe
	s_or_b32 s7, s0, s7
	s_wait_alu 0xfffe
	s_and_not1_b32 exec_lo, exec_lo, s7
	s_cbranch_execnz .LBB16_106
; %bb.107:
	s_or_b32 exec_lo, exec_lo, s7
.LBB16_108:
	v_lshlrev_b64_e32 v[8:9], 3, v[12:13]
	s_mov_b32 s7, exec_lo
	s_delay_alu instid0(VALU_DEP_1) | instskip(SKIP_1) | instid1(VALU_DEP_2)
	v_add_co_u32 v8, vcc_lo, s8, v8
	s_wait_alu 0xfffd
	v_add_co_ci_u32_e64 v9, null, s9, v9, vcc_lo
	global_load_b64 v[8:9], v[8:9], off
	global_load_b32 v14, v[10:11], off offset:2048
	s_wait_loadcnt 0x1
	v_sub_co_u32 v8, vcc_lo, v8, s24
	s_wait_alu 0xfffd
	v_subrev_co_ci_u32_e64 v9, null, 0, v9, vcc_lo
	s_delay_alu instid0(VALU_DEP_1) | instskip(SKIP_2) | instid1(VALU_DEP_1)
	v_cmp_lt_i64_e32 vcc_lo, v[2:3], v[8:9]
	s_wait_loadcnt 0x0
	v_subrev_nc_u32_e32 v8, s24, v14
	v_ashrrev_i32_e32 v9, 31, v8
	s_wait_alu 0xfffd
	v_dual_cndmask_b32 v5, v13, v5 :: v_dual_cndmask_b32 v4, v12, v4
	s_delay_alu instid0(VALU_DEP_1)
	v_cmpx_ne_u64_e64 v[4:5], v[8:9]
	s_cbranch_execz .LBB16_118
; %bb.109:
	s_load_b64 s[34:35], s[10:11], 0x0
	s_wait_kmcnt 0x0
	s_sub_nc_u64 s[34:35], s[34:35], s[24:25]
	s_wait_alu 0xfffe
	v_cmp_gt_i64_e32 vcc_lo, s[34:35], v[2:3]
	s_and_b32 exec_lo, exec_lo, vcc_lo
	s_cbranch_execz .LBB16_118
; %bb.110:
	v_cmp_gt_i64_e32 vcc_lo, s[12:13], v[8:9]
	v_cmp_le_i64_e64 s0, s[18:19], v[8:9]
	v_lshlrev_b64_e32 v[2:3], 3, v[4:5]
	s_or_b32 s0, vcc_lo, s0
	s_wait_alu 0xfffe
	s_and_saveexec_b32 s29, s0
	s_delay_alu instid0(SALU_CYCLE_1)
	s_xor_b32 s0, exec_lo, s29
	s_cbranch_execz .LBB16_114
; %bb.111:
	v_add_co_u32 v2, vcc_lo, s14, v2
	s_wait_alu 0xfffd
	v_add_co_ci_u32_e64 v3, null, s15, v3, vcc_lo
	v_lshlrev_b64_e32 v[4:5], 3, v[8:9]
	ds_load_b64 v[14:15], v18 offset:4096
	s_mov_b32 s29, 0
	global_load_b64 v[2:3], v[2:3], off
	v_add_co_u32 v12, vcc_lo, s20, v4
	s_wait_alu 0xfffd
	v_add_co_ci_u32_e64 v13, null, s21, v5, vcc_lo
	global_load_b64 v[4:5], v[12:13], off
	s_wait_loadcnt_dscnt 0x100
	v_mul_f64_e32 v[14:15], v[14:15], v[2:3]
.LBB16_112:                             ; =>This Inner Loop Header: Depth=1
	s_wait_loadcnt 0x0
	s_delay_alu instid0(VALU_DEP_1)
	v_add_f64_e32 v[2:3], v[4:5], v[14:15]
	global_atomic_cmpswap_b64 v[2:3], v[12:13], v[2:5], off th:TH_ATOMIC_RETURN scope:SCOPE_DEV
	s_wait_loadcnt 0x0
	v_cmp_eq_u64_e32 vcc_lo, v[2:3], v[4:5]
	v_dual_mov_b32 v5, v3 :: v_dual_mov_b32 v4, v2
	s_or_b32 s29, vcc_lo, s29
	s_delay_alu instid0(SALU_CYCLE_1)
	s_and_not1_b32 exec_lo, exec_lo, s29
	s_cbranch_execnz .LBB16_112
; %bb.113:
	s_or_b32 exec_lo, exec_lo, s29
                                        ; implicit-def: $vgpr2_vgpr3
.LBB16_114:
	s_wait_alu 0xfffe
	s_and_not1_saveexec_b32 s0, s0
	s_cbranch_execz .LBB16_118
; %bb.115:
	v_add_co_u32 v2, vcc_lo, s14, v2
	s_wait_alu 0xfffd
	v_add_co_ci_u32_e64 v3, null, s15, v3, vcc_lo
	ds_load_b64 v[4:5], v18 offset:4096
	s_mov_b32 s0, 0
	global_load_b64 v[2:3], v[2:3], off
	s_wait_loadcnt_dscnt 0x0
	v_mul_f64_e32 v[2:3], v[4:5], v[2:3]
	v_subrev_nc_u32_e32 v4, s12, v8
	s_delay_alu instid0(VALU_DEP_1)
	v_lshl_add_u32 v12, v4, 3, 0x2000
	ds_load_b64 v[4:5], v12
.LBB16_116:                             ; =>This Inner Loop Header: Depth=1
	s_wait_dscnt 0x0
	v_add_f64_e32 v[13:14], v[4:5], v[2:3]
	ds_cmpstore_rtn_b64 v[13:14], v12, v[13:14], v[4:5]
	s_wait_dscnt 0x0
	v_cmp_eq_u64_e32 vcc_lo, v[13:14], v[4:5]
	v_dual_mov_b32 v4, v13 :: v_dual_mov_b32 v5, v14
	s_wait_alu 0xfffe
	s_or_b32 s0, vcc_lo, s0
	s_wait_alu 0xfffe
	s_and_not1_b32 exec_lo, exec_lo, s0
	s_cbranch_execnz .LBB16_116
; %bb.117:
	s_or_b32 exec_lo, exec_lo, s0
.LBB16_118:
	s_wait_alu 0xfffe
	s_or_b32 exec_lo, exec_lo, s7
	v_lshlrev_b64_e32 v[2:3], 3, v[8:9]
	ds_load_b64 v[4:5], v18 offset:4096
	v_add_co_u32 v2, vcc_lo, s14, v2
	s_wait_alu 0xfffd
	v_add_co_ci_u32_e64 v3, null, s15, v3, vcc_lo
	v_cmp_ne_u32_e32 vcc_lo, 1, v19
	global_load_b64 v[2:3], v[2:3], off
	s_and_b32 vcc_lo, exec_lo, vcc_lo
	s_wait_loadcnt_dscnt 0x0
	v_mul_f64_e32 v[8:9], v[2:3], v[4:5]
	v_dual_mov_b32 v2, s16 :: v_dual_mov_b32 v3, s17
	v_dual_mov_b32 v4, s30 :: v_dual_mov_b32 v5, s31
	ds_store_b64 v18, v[8:9] offset:4096
	s_wait_alu 0xfffe
	s_cbranch_vccnz .LBB16_122
; %bb.119:
	v_dual_mov_b32 v2, s16 :: v_dual_mov_b32 v3, s17
	v_dual_mov_b32 v4, s30 :: v_dual_mov_b32 v5, s31
	s_mov_b32 s7, 0
.LBB16_120:                             ; =>This Inner Loop Header: Depth=1
	s_delay_alu instid0(VALU_DEP_1) | instskip(SKIP_1) | instid1(VALU_DEP_2)
	v_add_co_u32 v8, vcc_lo, v4, v2
	s_wait_alu 0xfffd
	v_add_co_ci_u32_e64 v9, null, v5, v3, vcc_lo
	s_delay_alu instid0(VALU_DEP_1) | instskip(NEXT) | instid1(VALU_DEP_1)
	v_lshrrev_b32_e32 v12, 31, v9
	v_add_co_u32 v8, vcc_lo, v8, v12
	s_wait_alu 0xfffd
	v_add_co_ci_u32_e64 v9, null, 0, v9, vcc_lo
	s_delay_alu instid0(VALU_DEP_1) | instskip(NEXT) | instid1(VALU_DEP_1)
	v_ashrrev_i64 v[8:9], 1, v[8:9]
	v_lshlrev_b64_e32 v[12:13], 3, v[8:9]
	s_delay_alu instid0(VALU_DEP_1) | instskip(SKIP_1) | instid1(VALU_DEP_2)
	v_add_co_u32 v12, vcc_lo, s8, v12
	s_wait_alu 0xfffd
	v_add_co_ci_u32_e64 v13, null, s9, v13, vcc_lo
	global_load_b64 v[12:13], v[12:13], off
	s_wait_loadcnt 0x0
	v_sub_co_u32 v12, vcc_lo, v12, s24
	s_wait_alu 0xfffd
	v_subrev_co_ci_u32_e64 v13, null, 0, v13, vcc_lo
	s_delay_alu instid0(VALU_DEP_1) | instskip(SKIP_3) | instid1(VALU_DEP_2)
	v_cmp_lt_i64_e32 vcc_lo, v[6:7], v[12:13]
	s_wait_alu 0xfffd
	v_dual_cndmask_b32 v5, v5, v9 :: v_dual_cndmask_b32 v4, v4, v8
	v_dual_cndmask_b32 v3, v9, v3 :: v_dual_cndmask_b32 v2, v8, v2
	v_add_co_u32 v8, vcc_lo, v4, -1
	s_wait_alu 0xfffd
	s_delay_alu instid0(VALU_DEP_3) | instskip(NEXT) | instid1(VALU_DEP_3)
	v_add_co_ci_u32_e64 v9, null, -1, v5, vcc_lo
	v_cmp_ge_i64_e32 vcc_lo, v[2:3], v[4:5]
	s_delay_alu instid0(VALU_DEP_2)
	v_cmp_eq_u64_e64 s0, v[2:3], v[8:9]
	s_or_b32 s0, vcc_lo, s0
	s_wait_alu 0xfffe
	s_and_b32 s0, exec_lo, s0
	s_wait_alu 0xfffe
	s_or_b32 s7, s0, s7
	s_wait_alu 0xfffe
	s_and_not1_b32 exec_lo, exec_lo, s7
	s_cbranch_execnz .LBB16_120
; %bb.121:
	s_or_b32 exec_lo, exec_lo, s7
.LBB16_122:
	v_lshlrev_b64_e32 v[8:9], 3, v[4:5]
	s_mov_b32 s7, exec_lo
	s_delay_alu instid0(VALU_DEP_1) | instskip(SKIP_1) | instid1(VALU_DEP_2)
	v_add_co_u32 v8, vcc_lo, s8, v8
	s_wait_alu 0xfffd
	v_add_co_ci_u32_e64 v9, null, s9, v9, vcc_lo
	global_load_b64 v[8:9], v[8:9], off
	global_load_b32 v10, v[10:11], off offset:3072
	s_wait_loadcnt 0x1
	v_sub_co_u32 v8, vcc_lo, v8, s24
	s_wait_alu 0xfffd
	v_subrev_co_ci_u32_e64 v9, null, 0, v9, vcc_lo
	s_delay_alu instid0(VALU_DEP_1) | instskip(SKIP_2) | instid1(VALU_DEP_1)
	v_cmp_lt_i64_e32 vcc_lo, v[6:7], v[8:9]
	s_wait_loadcnt 0x0
	v_subrev_nc_u32_e32 v8, s24, v10
	v_ashrrev_i32_e32 v9, 31, v8
	s_wait_alu 0xfffd
	v_dual_cndmask_b32 v3, v5, v3 :: v_dual_cndmask_b32 v2, v4, v2
	s_delay_alu instid0(VALU_DEP_1)
	v_cmpx_ne_u64_e64 v[2:3], v[8:9]
	s_cbranch_execz .LBB16_132
; %bb.123:
	s_load_b64 s[10:11], s[10:11], 0x0
	s_wait_kmcnt 0x0
	s_sub_nc_u64 s[10:11], s[10:11], s[24:25]
	s_wait_alu 0xfffe
	v_cmp_gt_i64_e32 vcc_lo, s[10:11], v[6:7]
	s_and_b32 exec_lo, exec_lo, vcc_lo
	s_cbranch_execz .LBB16_132
; %bb.124:
	v_cmp_gt_i64_e32 vcc_lo, s[12:13], v[8:9]
	v_cmp_le_i64_e64 s0, s[18:19], v[8:9]
	v_lshlrev_b64_e32 v[2:3], 3, v[2:3]
	s_or_b32 s0, vcc_lo, s0
	s_wait_alu 0xfffe
	s_and_saveexec_b32 s10, s0
	s_wait_alu 0xfffe
	s_xor_b32 s0, exec_lo, s10
	s_cbranch_execz .LBB16_128
; %bb.125:
	v_add_co_u32 v2, vcc_lo, s14, v2
	s_wait_alu 0xfffd
	v_add_co_ci_u32_e64 v3, null, s15, v3, vcc_lo
	v_lshlrev_b64_e32 v[4:5], 3, v[8:9]
	ds_load_b64 v[10:11], v18 offset:6144
	s_mov_b32 s10, 0
	global_load_b64 v[2:3], v[2:3], off
	v_add_co_u32 v6, vcc_lo, s20, v4
	s_wait_alu 0xfffd
	v_add_co_ci_u32_e64 v7, null, s21, v5, vcc_lo
	global_load_b64 v[4:5], v[6:7], off
	s_wait_loadcnt_dscnt 0x100
	v_mul_f64_e32 v[10:11], v[10:11], v[2:3]
.LBB16_126:                             ; =>This Inner Loop Header: Depth=1
	s_wait_loadcnt 0x0
	s_delay_alu instid0(VALU_DEP_1)
	v_add_f64_e32 v[2:3], v[4:5], v[10:11]
	global_atomic_cmpswap_b64 v[2:3], v[6:7], v[2:5], off th:TH_ATOMIC_RETURN scope:SCOPE_DEV
	s_wait_loadcnt 0x0
	v_cmp_eq_u64_e32 vcc_lo, v[2:3], v[4:5]
	v_dual_mov_b32 v5, v3 :: v_dual_mov_b32 v4, v2
	s_wait_alu 0xfffe
	s_or_b32 s10, vcc_lo, s10
	s_wait_alu 0xfffe
	s_and_not1_b32 exec_lo, exec_lo, s10
	s_cbranch_execnz .LBB16_126
; %bb.127:
	s_or_b32 exec_lo, exec_lo, s10
                                        ; implicit-def: $vgpr2_vgpr3
.LBB16_128:
	s_wait_alu 0xfffe
	s_and_not1_saveexec_b32 s0, s0
	s_cbranch_execz .LBB16_132
; %bb.129:
	v_add_co_u32 v2, vcc_lo, s14, v2
	s_wait_alu 0xfffd
	v_add_co_ci_u32_e64 v3, null, s15, v3, vcc_lo
	ds_load_b64 v[4:5], v18 offset:6144
	s_mov_b32 s0, 0
	global_load_b64 v[2:3], v[2:3], off
	s_wait_loadcnt_dscnt 0x0
	v_mul_f64_e32 v[2:3], v[4:5], v[2:3]
	v_subrev_nc_u32_e32 v4, s12, v8
	s_delay_alu instid0(VALU_DEP_1)
	v_lshl_add_u32 v6, v4, 3, 0x2000
	ds_load_b64 v[4:5], v6
.LBB16_130:                             ; =>This Inner Loop Header: Depth=1
	s_wait_dscnt 0x0
	v_add_f64_e32 v[10:11], v[4:5], v[2:3]
	ds_cmpstore_rtn_b64 v[10:11], v6, v[10:11], v[4:5]
	s_wait_dscnt 0x0
	v_cmp_eq_u64_e32 vcc_lo, v[10:11], v[4:5]
	v_dual_mov_b32 v4, v10 :: v_dual_mov_b32 v5, v11
	s_wait_alu 0xfffe
	s_or_b32 s0, vcc_lo, s0
	s_wait_alu 0xfffe
	s_and_not1_b32 exec_lo, exec_lo, s0
	s_cbranch_execnz .LBB16_130
; %bb.131:
	s_or_b32 exec_lo, exec_lo, s0
.LBB16_132:
	s_wait_alu 0xfffe
	s_or_b32 exec_lo, exec_lo, s7
	v_lshlrev_b64_e32 v[2:3], 3, v[8:9]
	ds_load_b64 v[4:5], v18 offset:6144
	v_add_co_u32 v2, vcc_lo, s14, v2
	s_wait_alu 0xfffd
	v_add_co_ci_u32_e64 v3, null, s15, v3, vcc_lo
	global_load_b64 v[2:3], v[2:3], off
	s_wait_loadcnt_dscnt 0x0
	v_mul_f64_e32 v[2:3], v[2:3], v[4:5]
	ds_store_b64 v18, v[2:3] offset:6144
.LBB16_133:
	s_wait_alu 0xfffe
	s_or_b32 exec_lo, exec_lo, s1
	v_cmp_lt_i64_e64 s0, s[18:19], s[2:3]
	s_wait_loadcnt_dscnt 0x0
	s_barrier_signal -1
	s_barrier_wait -1
	global_inv scope:SCOPE_SE
	s_and_b32 s0, s0, exec_lo
	s_cselect_b32 s1, s19, s3
	s_cselect_b32 s0, s18, s2
	s_wait_alu 0xfffe
	s_sub_nc_u64 s[2:3], s[0:1], s[22:23]
	s_mov_b32 s1, exec_lo
	s_wait_alu 0xfffe
	v_cmpx_gt_i64_e64 s[2:3], v[0:1]
	s_cbranch_execz .LBB16_138
; %bb.134:
	v_dual_mov_b32 v7, v1 :: v_dual_mov_b32 v6, v0
	s_lshl_b64 s[10:11], s[12:13], 3
	s_mov_b32 s7, 0
	s_wait_alu 0xfffe
	s_add_nc_u64 s[10:11], s[20:21], s[10:11]
.LBB16_135:                             ; =>This Loop Header: Depth=1
                                        ;     Child Loop BB16_136 Depth 2
	v_lshlrev_b64_e32 v[2:3], 3, v[6:7]
	s_mov_b32 s12, 0
	s_wait_alu 0xfffe
	s_delay_alu instid0(VALU_DEP_1) | instskip(SKIP_1) | instid1(VALU_DEP_2)
	v_add_co_u32 v8, vcc_lo, s10, v2
	s_wait_alu 0xfffd
	v_add_co_ci_u32_e64 v9, null, s11, v3, vcc_lo
	v_lshl_add_u32 v2, v6, 3, 0x2000
	global_load_b64 v[4:5], v[8:9], off
	ds_load_b64 v[10:11], v2
.LBB16_136:                             ;   Parent Loop BB16_135 Depth=1
                                        ; =>  This Inner Loop Header: Depth=2
	s_wait_loadcnt_dscnt 0x0
	v_add_f64_e32 v[2:3], v[4:5], v[10:11]
	global_atomic_cmpswap_b64 v[2:3], v[8:9], v[2:5], off th:TH_ATOMIC_RETURN scope:SCOPE_DEV
	s_wait_loadcnt 0x0
	v_cmp_eq_u64_e32 vcc_lo, v[2:3], v[4:5]
	v_dual_mov_b32 v5, v3 :: v_dual_mov_b32 v4, v2
	s_or_b32 s12, vcc_lo, s12
	s_wait_alu 0xfffe
	s_and_not1_b32 exec_lo, exec_lo, s12
	s_cbranch_execnz .LBB16_136
; %bb.137:                              ;   in Loop: Header=BB16_135 Depth=1
	s_or_b32 exec_lo, exec_lo, s12
	v_add_co_u32 v6, vcc_lo, 0x100, v6
	s_wait_alu 0xfffd
	v_add_co_ci_u32_e64 v7, null, 0, v7, vcc_lo
	s_delay_alu instid0(VALU_DEP_1)
	v_cmp_le_i64_e32 vcc_lo, s[2:3], v[6:7]
	s_or_b32 s7, vcc_lo, s7
	s_wait_alu 0xfffe
	s_and_not1_b32 exec_lo, exec_lo, s7
	s_cbranch_execnz .LBB16_135
.LBB16_138:
	s_or_b32 exec_lo, exec_lo, s1
	s_add_co_i32 s1, s28, -1
	v_add_co_u32 v6, s7, s16, v0
	s_wait_alu 0xfffe
	s_ashr_i32 s3, s1, 1
	v_add_co_ci_u32_e64 v7, null, s17, 0, s7
	s_wait_alu 0xfffe
	s_or_b32 s1, s3, s1
	s_wait_loadcnt 0x0
	s_wait_alu 0xfffe
	s_ashr_i32 s3, s1, 2
	s_barrier_signal -1
	s_wait_alu 0xfffe
	s_or_b32 s1, s3, s1
	s_barrier_wait -1
	s_wait_alu 0xfffe
	s_ashr_i32 s3, s1, 4
	global_inv scope:SCOPE_SE
	s_wait_alu 0xfffe
	s_or_b32 s1, s3, s1
	s_wait_alu 0xfffe
	s_ashr_i32 s3, s1, 8
	s_wait_alu 0xfffe
	s_or_b32 s1, s3, s1
	s_wait_alu 0xfffe
	s_ashr_i32 s3, s1, 16
	s_wait_alu 0xfffe
	s_or_b32 s3, s3, s1
	s_mov_b32 s1, -1
	s_wait_alu 0xfffe
	s_add_co_i32 s3, s3, 1
	s_wait_alu 0xfffe
	s_ashr_i32 s10, s3, 1
	s_wait_alu 0xfffe
	s_cmp_gt_i32 s10, 1
	s_cbranch_scc1 .LBB16_149
; %bb.139:
	s_mov_b32 s1, exec_lo
	v_cmpx_gt_i64_e64 s[18:19], v[6:7]
	s_cbranch_execz .LBB16_148
; %bb.140:
	s_sub_co_i32 s0, s0, s18
	v_dual_mov_b32 v9, v7 :: v_dual_mov_b32 v8, v6
	s_lshl_b32 s7, s4, 3
	s_wait_alu 0xfffe
	s_lshl_b32 s0, s0, 3
	s_mov_b32 s3, 0
	s_wait_alu 0xfffe
	s_addk_co_i32 s0, 0x2000
	s_sub_co_i32 s7, 0, s7
.LBB16_141:                             ; =>This Loop Header: Depth=1
                                        ;     Child Loop BB16_143 Depth 2
                                        ;     Child Loop BB16_146 Depth 2
	v_lshlrev_b64_e32 v[10:11], 3, v[8:9]
	v_mov_b32_e32 v12, 0
	v_mov_b32_e32 v13, 0
	s_mov_b32 s11, exec_lo
	s_delay_alu instid0(VALU_DEP_3)
	v_add_co_u32 v2, vcc_lo, s8, v10
	s_wait_alu 0xfffd
	v_add_co_ci_u32_e64 v3, null, s9, v11, vcc_lo
	global_load_b128 v[2:5], v[2:3], off
	s_wait_loadcnt 0x0
	v_cmpx_lt_i64_e64 v[2:3], v[4:5]
	s_cbranch_execz .LBB16_145
; %bb.142:                              ;   in Loop: Header=BB16_141 Depth=1
	v_sub_co_u32 v4, vcc_lo, v4, s4
	s_wait_alu 0xfffd
	v_subrev_co_ci_u32_e64 v5, null, s5, v5, vcc_lo
	v_sub_co_u32 v14, vcc_lo, v2, s4
	v_mov_b32_e32 v12, 0
	s_wait_alu 0xfffd
	v_subrev_co_ci_u32_e64 v15, null, s5, v3, vcc_lo
	v_mov_b32_e32 v13, 0
	s_wait_alu 0xfffe
	v_lshl_add_u32 v2, v2, 3, s7
	s_mov_b32 s12, 0
.LBB16_143:                             ;   Parent Loop BB16_141 Depth=1
                                        ; =>  This Inner Loop Header: Depth=2
	ds_load_b64 v[16:17], v2
	v_add_co_u32 v14, vcc_lo, v14, 1
	s_wait_alu 0xfffd
	v_add_co_ci_u32_e64 v15, null, 0, v15, vcc_lo
	v_add_nc_u32_e32 v2, 8, v2
	s_delay_alu instid0(VALU_DEP_2)
	v_cmp_ge_i64_e32 vcc_lo, v[14:15], v[4:5]
	s_wait_alu 0xfffe
	s_or_b32 s12, vcc_lo, s12
	s_wait_dscnt 0x0
	v_add_f64_e32 v[12:13], v[12:13], v[16:17]
	s_wait_alu 0xfffe
	s_and_not1_b32 exec_lo, exec_lo, s12
	s_cbranch_execnz .LBB16_143
; %bb.144:                              ;   in Loop: Header=BB16_141 Depth=1
	s_or_b32 exec_lo, exec_lo, s12
.LBB16_145:                             ;   in Loop: Header=BB16_141 Depth=1
	s_wait_alu 0xfffe
	s_or_b32 exec_lo, exec_lo, s11
	v_add_co_u32 v10, vcc_lo, s20, v10
	s_wait_alu 0xfffd
	v_add_co_ci_u32_e64 v11, null, s21, v11, vcc_lo
	v_lshl_add_u32 v2, v8, 3, s0
	s_mov_b32 s11, 0
	global_load_b64 v[4:5], v[10:11], off
	ds_load_b64 v[2:3], v2
	s_wait_dscnt 0x0
	v_add_f64_e32 v[12:13], v[12:13], v[2:3]
.LBB16_146:                             ;   Parent Loop BB16_141 Depth=1
                                        ; =>  This Inner Loop Header: Depth=2
	s_wait_loadcnt 0x0
	s_delay_alu instid0(VALU_DEP_1)
	v_add_f64_e32 v[2:3], v[4:5], v[12:13]
	global_atomic_cmpswap_b64 v[2:3], v[10:11], v[2:5], off th:TH_ATOMIC_RETURN scope:SCOPE_DEV
	s_wait_loadcnt 0x0
	v_cmp_eq_u64_e32 vcc_lo, v[2:3], v[4:5]
	v_dual_mov_b32 v5, v3 :: v_dual_mov_b32 v4, v2
	s_wait_alu 0xfffe
	s_or_b32 s11, vcc_lo, s11
	s_wait_alu 0xfffe
	s_and_not1_b32 exec_lo, exec_lo, s11
	s_cbranch_execnz .LBB16_146
; %bb.147:                              ;   in Loop: Header=BB16_141 Depth=1
	s_or_b32 exec_lo, exec_lo, s11
	v_add_co_u32 v8, vcc_lo, v8, s6
	s_wait_alu 0xfffd
	v_add_co_ci_u32_e64 v9, null, 0, v9, vcc_lo
	s_delay_alu instid0(VALU_DEP_1)
	v_cmp_le_i64_e32 vcc_lo, s[18:19], v[8:9]
	s_or_b32 s3, vcc_lo, s3
	s_wait_alu 0xfffe
	s_and_not1_b32 exec_lo, exec_lo, s3
	s_cbranch_execnz .LBB16_141
.LBB16_148:
	s_wait_alu 0xfffe
	s_or_b32 exec_lo, exec_lo, s1
	s_mov_b32 s1, 0
.LBB16_149:
	s_wait_alu 0xfffe
	s_and_not1_b32 vcc_lo, exec_lo, s1
	s_wait_alu 0xfffe
	s_cbranch_vccnz .LBB16_167
; %bb.150:
	s_cvt_f32_u32 s0, s10
	s_sub_co_i32 s1, 0, s10
	s_mov_b32 s11, 0
	s_wait_alu 0xfffe
	v_rcp_iflag_f32_e32 v2, s0
	s_delay_alu instid0(TRANS32_DEP_1) | instskip(SKIP_2) | instid1(SALU_CYCLE_2)
	v_readfirstlane_b32 s0, v2
	s_mul_f32 s0, s0, 0x4f7ffffe
	s_wait_alu 0xfffe
	s_cvt_u32_f32 s0, s0
	s_wait_alu 0xfffe
	s_delay_alu instid0(SALU_CYCLE_2)
	s_mul_i32 s3, s1, s0
	s_wait_alu 0xfffe
	s_mul_hi_u32 s3, s0, s3
	s_wait_alu 0xfffe
	s_add_co_i32 s0, s0, s3
	s_wait_alu 0xfffe
	v_mul_hi_u32 v2, v0, s0
	s_mov_b32 s0, exec_lo
	s_delay_alu instid0(VALU_DEP_1) | instskip(NEXT) | instid1(VALU_DEP_1)
	v_mul_lo_u32 v3, v2, s10
	v_sub_nc_u32_e32 v3, v0, v3
	s_delay_alu instid0(VALU_DEP_1) | instskip(SKIP_2) | instid1(VALU_DEP_2)
	v_subrev_nc_u32_e32 v5, s10, v3
	v_cmp_le_u32_e32 vcc_lo, s10, v3
	s_wait_alu 0xfffd
	v_dual_cndmask_b32 v3, v3, v5 :: v_dual_add_nc_u32 v4, 1, v2
	s_delay_alu instid0(VALU_DEP_1) | instskip(NEXT) | instid1(VALU_DEP_2)
	v_dual_cndmask_b32 v2, v2, v4 :: v_dual_mov_b32 v5, 0
	v_cmp_le_u32_e32 vcc_lo, s10, v3
	s_delay_alu instid0(VALU_DEP_2) | instskip(SKIP_1) | instid1(VALU_DEP_1)
	v_add_nc_u32_e32 v4, 1, v2
	s_wait_alu 0xfffd
	v_cndmask_b32_e32 v4, v2, v4, vcc_lo
	s_delay_alu instid0(VALU_DEP_1) | instskip(NEXT) | instid1(VALU_DEP_1)
	v_lshlrev_b64_e32 v[2:3], 3, v[4:5]
	v_add_co_u32 v2, vcc_lo, s26, v2
	s_wait_alu 0xfffd
	s_delay_alu instid0(VALU_DEP_2)
	v_add_co_ci_u32_e64 v3, null, s27, v3, vcc_lo
	global_load_b128 v[8:11], v[2:3], off
	s_wait_loadcnt 0x0
	v_sub_co_u32 v2, vcc_lo, v8, s4
	s_wait_alu 0xfffd
	v_subrev_co_ci_u32_e64 v3, null, s5, v9, vcc_lo
	v_sub_co_u32 v14, vcc_lo, v10, s4
	s_wait_alu 0xfffd
	v_subrev_co_ci_u32_e64 v15, null, s5, v11, vcc_lo
	v_mov_b32_e32 v8, v5
	s_delay_alu instid0(VALU_DEP_3) | instskip(SKIP_1) | instid1(VALU_DEP_3)
	v_sub_co_u32 v12, vcc_lo, v14, v2
	s_wait_alu 0xfffd
	v_sub_co_ci_u32_e64 v9, null, v15, v3, vcc_lo
                                        ; implicit-def: $vgpr10_vgpr11
	s_delay_alu instid0(VALU_DEP_1)
	v_cmpx_ne_u64_e32 0, v[8:9]
	s_wait_alu 0xfffe
	s_xor_b32 s3, exec_lo, s0
	s_cbranch_execz .LBB16_152
; %bb.151:
	s_add_nc_u64 s[4:5], s[10:11], 0
	s_mov_b32 s13, s11
	s_wait_alu 0xfffe
	s_xor_b64 s[4:5], s[4:5], 0
	s_mov_b32 s17, s11
	s_wait_alu 0xfffe
	s_cvt_f32_u32 s0, s4
	s_cvt_f32_u32 s6, s5
	s_sub_nc_u64 s[8:9], 0, s[4:5]
	v_ashrrev_i32_e32 v16, 31, v9
	s_wait_alu 0xfffe
	s_fmamk_f32 s0, s6, 0x4f800000, s0
	s_delay_alu instid0(VALU_DEP_1) | instskip(SKIP_1) | instid1(SALU_CYCLE_1)
	v_add_co_u32 v8, vcc_lo, v12, v16
	s_wait_alu 0xfffe
	v_s_rcp_f32 s0, s0
	s_wait_alu 0xfffd
	v_add_co_ci_u32_e64 v9, null, v9, v16, vcc_lo
	v_xor_b32_e32 v17, v8, v16
	s_delay_alu instid0(VALU_DEP_2) | instskip(NEXT) | instid1(TRANS32_DEP_1)
	v_xor_b32_e32 v19, v9, v16
	s_mul_f32 s0, s0, 0x5f7ffffc
	s_wait_alu 0xfffe
	s_delay_alu instid0(SALU_CYCLE_2) | instskip(SKIP_1) | instid1(SALU_CYCLE_2)
	s_mul_f32 s6, s0, 0x2f800000
	s_wait_alu 0xfffe
	s_trunc_f32 s6, s6
	s_wait_alu 0xfffe
	s_delay_alu instid0(SALU_CYCLE_2) | instskip(SKIP_2) | instid1(SALU_CYCLE_1)
	s_fmamk_f32 s0, s6, 0xcf800000, s0
	s_cvt_u32_f32 s7, s6
	s_wait_alu 0xfffe
	s_cvt_u32_f32 s6, s0
	s_wait_alu 0xfffe
	s_delay_alu instid0(SALU_CYCLE_2)
	s_mul_u64 s[14:15], s[8:9], s[6:7]
	s_wait_alu 0xfffe
	s_mul_hi_u32 s19, s6, s15
	s_mul_i32 s18, s6, s15
	s_mul_hi_u32 s12, s6, s14
	s_mul_i32 s16, s7, s14
	s_wait_alu 0xfffe
	s_add_nc_u64 s[12:13], s[12:13], s[18:19]
	s_mul_hi_u32 s0, s7, s14
	s_mul_hi_u32 s24, s7, s15
	s_wait_alu 0xfffe
	s_add_co_u32 s12, s12, s16
	s_add_co_ci_u32 s16, s13, s0
	s_mul_i32 s14, s7, s15
	s_add_co_ci_u32 s15, s24, 0
	s_wait_alu 0xfffe
	s_add_nc_u64 s[12:13], s[16:17], s[14:15]
	s_mov_b32 s15, s11
	s_wait_alu 0xfffe
	s_add_co_u32 s6, s6, s12
	s_cselect_b32 s0, -1, 0
	s_wait_alu 0xfffe
	s_cmp_lg_u32 s0, 0
	s_add_co_ci_u32 s7, s7, s13
	s_mov_b32 s13, s11
	s_wait_alu 0xfffe
	s_mul_u64 s[8:9], s[8:9], s[6:7]
	s_wait_alu 0xfffe
	s_mul_hi_u32 s17, s6, s9
	s_mul_i32 s16, s6, s9
	s_mul_hi_u32 s14, s6, s8
	s_mul_i32 s11, s7, s8
	s_wait_alu 0xfffe
	s_add_nc_u64 s[14:15], s[14:15], s[16:17]
	s_mul_hi_u32 s0, s7, s8
	s_mul_hi_u32 s18, s7, s9
	s_mul_i32 s8, s7, s9
	s_wait_alu 0xfffe
	s_add_co_u32 s9, s14, s11
	s_add_co_ci_u32 s12, s15, s0
	s_add_co_ci_u32 s9, s18, 0
	s_wait_alu 0xfffe
	s_add_nc_u64 s[8:9], s[12:13], s[8:9]
	s_wait_alu 0xfffe
	s_add_co_u32 s0, s6, s8
	s_cselect_b32 s6, -1, 0
	s_wait_alu 0xfffe
	v_mul_hi_u32 v20, v17, s0
	s_cmp_lg_u32 s6, 0
	v_mad_co_u64_u32 v[10:11], null, v19, s0, 0
	s_add_co_ci_u32 s6, s7, s9
	s_wait_alu 0xfffe
	v_mad_co_u64_u32 v[8:9], null, v17, s6, 0
	v_mad_co_u64_u32 v[12:13], null, v19, s6, 0
	s_delay_alu instid0(VALU_DEP_2) | instskip(SKIP_1) | instid1(VALU_DEP_3)
	v_add_co_u32 v8, vcc_lo, v20, v8
	s_wait_alu 0xfffd
	v_add_co_ci_u32_e64 v9, null, 0, v9, vcc_lo
	s_delay_alu instid0(VALU_DEP_2) | instskip(SKIP_1) | instid1(VALU_DEP_2)
	v_add_co_u32 v8, vcc_lo, v8, v10
	s_wait_alu 0xfffd
	v_add_co_ci_u32_e32 v8, vcc_lo, v9, v11, vcc_lo
	s_wait_alu 0xfffd
	v_add_co_ci_u32_e32 v9, vcc_lo, 0, v13, vcc_lo
	s_delay_alu instid0(VALU_DEP_2) | instskip(SKIP_1) | instid1(VALU_DEP_2)
	v_add_co_u32 v10, vcc_lo, v8, v12
	s_wait_alu 0xfffd
	v_add_co_ci_u32_e64 v11, null, 0, v9, vcc_lo
	s_delay_alu instid0(VALU_DEP_2) | instskip(SKIP_1) | instid1(VALU_DEP_3)
	v_mul_lo_u32 v12, s5, v10
	v_mad_co_u64_u32 v[8:9], null, s4, v10, 0
	v_mul_lo_u32 v13, s4, v11
	s_delay_alu instid0(VALU_DEP_2) | instskip(NEXT) | instid1(VALU_DEP_2)
	v_sub_co_u32 v8, vcc_lo, v17, v8
	v_add3_u32 v9, v9, v13, v12
	v_add_co_u32 v13, s0, v10, 2
	s_wait_alu 0xf1ff
	v_add_co_ci_u32_e64 v17, null, 0, v11, s0
	s_delay_alu instid0(VALU_DEP_3) | instskip(SKIP_3) | instid1(VALU_DEP_3)
	v_sub_nc_u32_e32 v12, v19, v9
	v_sub_co_u32 v20, s0, v8, s4
	s_wait_alu 0xfffd
	v_sub_co_ci_u32_e64 v9, null, v19, v9, vcc_lo
	v_subrev_co_ci_u32_e64 v12, null, s5, v12, vcc_lo
	s_delay_alu instid0(VALU_DEP_3) | instskip(SKIP_1) | instid1(VALU_DEP_2)
	v_cmp_le_u32_e32 vcc_lo, s4, v20
	s_wait_alu 0xf1ff
	v_subrev_co_ci_u32_e64 v12, null, 0, v12, s0
	s_wait_alu 0xfffd
	v_cndmask_b32_e64 v19, 0, -1, vcc_lo
	v_cmp_eq_u32_e64 s0, s5, v9
	s_delay_alu instid0(VALU_DEP_3)
	v_cmp_le_u32_e32 vcc_lo, s5, v12
	s_wait_alu 0xfffd
	v_cndmask_b32_e64 v20, 0, -1, vcc_lo
	v_cmp_le_u32_e32 vcc_lo, s4, v8
	s_wait_alu 0xfffd
	v_cndmask_b32_e64 v8, 0, -1, vcc_lo
	;; [unrolled: 3-line block ×3, first 2 shown]
	v_cmp_eq_u32_e32 vcc_lo, s5, v12
	s_wait_alu 0xf1ff
	s_delay_alu instid0(VALU_DEP_2)
	v_cndmask_b32_e64 v8, v21, v8, s0
	s_wait_alu 0xfffd
	v_cndmask_b32_e32 v12, v20, v19, vcc_lo
	v_add_co_u32 v19, vcc_lo, v10, 1
	s_wait_alu 0xfffd
	v_add_co_ci_u32_e64 v20, null, 0, v11, vcc_lo
	s_delay_alu instid0(VALU_DEP_3) | instskip(SKIP_1) | instid1(VALU_DEP_2)
	v_cmp_ne_u32_e32 vcc_lo, 0, v12
	s_wait_alu 0xfffd
	v_cndmask_b32_e32 v9, v20, v17, vcc_lo
	v_cndmask_b32_e32 v12, v19, v13, vcc_lo
	v_cmp_ne_u32_e32 vcc_lo, 0, v8
	s_wait_alu 0xfffd
	s_delay_alu instid0(VALU_DEP_2) | instskip(NEXT) | instid1(VALU_DEP_1)
	v_dual_cndmask_b32 v8, v11, v9 :: v_dual_cndmask_b32 v9, v10, v12
                                        ; implicit-def: $vgpr12
	v_xor_b32_e32 v8, v8, v16
	s_delay_alu instid0(VALU_DEP_2) | instskip(NEXT) | instid1(VALU_DEP_1)
	v_xor_b32_e32 v9, v9, v16
	v_sub_co_u32 v10, vcc_lo, v9, v16
	s_wait_alu 0xfffd
	s_delay_alu instid0(VALU_DEP_3)
	v_sub_co_ci_u32_e64 v11, null, v8, v16, vcc_lo
.LBB16_152:
	s_wait_alu 0xfffe
	s_and_not1_saveexec_b32 s0, s3
	s_cbranch_execz .LBB16_154
; %bb.153:
	v_cvt_f32_u32_e32 v8, s10
	s_delay_alu instid0(VALU_DEP_1) | instskip(NEXT) | instid1(TRANS32_DEP_1)
	v_rcp_iflag_f32_e32 v8, v8
	v_mul_f32_e32 v8, 0x4f7ffffe, v8
	s_delay_alu instid0(VALU_DEP_1) | instskip(NEXT) | instid1(VALU_DEP_1)
	v_cvt_u32_f32_e32 v8, v8
	v_mul_lo_u32 v9, s1, v8
	s_delay_alu instid0(VALU_DEP_1) | instskip(NEXT) | instid1(VALU_DEP_1)
	v_mul_hi_u32 v9, v8, v9
	v_add_nc_u32_e32 v8, v8, v9
	s_delay_alu instid0(VALU_DEP_1) | instskip(NEXT) | instid1(VALU_DEP_1)
	v_mul_hi_u32 v8, v12, v8
	v_mul_lo_u32 v9, v8, s10
	v_add_nc_u32_e32 v10, 1, v8
	s_delay_alu instid0(VALU_DEP_2) | instskip(NEXT) | instid1(VALU_DEP_1)
	v_sub_nc_u32_e32 v9, v12, v9
	v_subrev_nc_u32_e32 v11, s10, v9
	v_cmp_le_u32_e32 vcc_lo, s10, v9
	s_wait_alu 0xfffd
	s_delay_alu instid0(VALU_DEP_2) | instskip(SKIP_1) | instid1(VALU_DEP_2)
	v_dual_cndmask_b32 v9, v9, v11 :: v_dual_cndmask_b32 v8, v8, v10
	v_mov_b32_e32 v11, 0
	v_cmp_le_u32_e32 vcc_lo, s10, v9
	s_delay_alu instid0(VALU_DEP_3) | instskip(SKIP_1) | instid1(VALU_DEP_1)
	v_add_nc_u32_e32 v10, 1, v8
	s_wait_alu 0xfffd
	v_cndmask_b32_e32 v10, v8, v10, vcc_lo
.LBB16_154:
	s_wait_alu 0xfffe
	s_or_b32 exec_lo, exec_lo, s0
	v_cmp_gt_i64_e32 vcc_lo, s[22:23], v[4:5]
	v_mov_b32_e32 v4, 0
	v_mov_b32_e32 v5, 0
	s_and_saveexec_b32 s0, vcc_lo
	s_cbranch_execz .LBB16_162
; %bb.155:
	s_add_co_i32 s1, s10, -1
	v_mov_b32_e32 v4, 0
	s_wait_alu 0xfffe
	v_dual_mov_b32 v5, 0 :: v_dual_and_b32 v8, s1, v0
	s_mov_b32 s1, exec_lo
	s_delay_alu instid0(VALU_DEP_1)
	v_lshlrev_b32_e32 v16, 3, v8
	v_cmpx_lt_i64_e32 0, v[10:11]
	s_cbranch_execz .LBB16_159
; %bb.156:
	v_dual_mov_b32 v4, 0 :: v_dual_mov_b32 v13, v11
	s_delay_alu instid0(VALU_DEP_3)
	v_lshl_add_u32 v9, v2, 3, v16
	v_dual_mov_b32 v5, 0 :: v_dual_mov_b32 v12, v10
	s_lshl_b32 s4, s10, 3
	s_mov_b32 s3, 0
.LBB16_157:                             ; =>This Inner Loop Header: Depth=1
	ds_load_b64 v[19:20], v9
	v_add_co_u32 v12, vcc_lo, v12, -1
	s_wait_alu 0xfffd
	v_add_co_ci_u32_e64 v13, null, -1, v13, vcc_lo
	s_wait_alu 0xfffe
	v_add_nc_u32_e32 v9, s4, v9
	s_delay_alu instid0(VALU_DEP_2)
	v_cmp_eq_u64_e32 vcc_lo, 0, v[12:13]
	s_or_b32 s3, vcc_lo, s3
	s_wait_dscnt 0x0
	v_add_f64_e32 v[4:5], v[4:5], v[19:20]
	s_wait_alu 0xfffe
	s_and_not1_b32 exec_lo, exec_lo, s3
	s_cbranch_execnz .LBB16_157
; %bb.158:
	s_or_b32 exec_lo, exec_lo, s3
.LBB16_159:
	s_wait_alu 0xfffe
	s_or_b32 exec_lo, exec_lo, s1
	v_mad_co_u64_u32 v[2:3], null, v10, s10, v[2:3]
	v_mov_b32_e32 v9, 0
	s_mov_b32 s1, exec_lo
	s_delay_alu instid0(VALU_DEP_2) | instskip(NEXT) | instid1(VALU_DEP_3)
	v_mad_co_u64_u32 v[10:11], null, v11, s10, v[3:4]
	v_sub_co_u32 v11, vcc_lo, v14, v2
	s_wait_alu 0xfffd
	s_delay_alu instid0(VALU_DEP_2) | instskip(NEXT) | instid1(VALU_DEP_1)
	v_sub_co_ci_u32_e64 v12, null, v15, v10, vcc_lo
	v_cmpx_gt_i64_e64 v[11:12], v[8:9]
	s_cbranch_execz .LBB16_161
; %bb.160:
	v_lshl_add_u32 v2, v2, 3, v16
	ds_load_b64 v[2:3], v2
	s_wait_dscnt 0x0
	v_add_f64_e32 v[4:5], v[4:5], v[2:3]
.LBB16_161:
	s_wait_alu 0xfffe
	s_or_b32 exec_lo, exec_lo, s1
.LBB16_162:
	s_wait_alu 0xfffe
	s_or_b32 exec_lo, exec_lo, s0
	v_cmp_gt_i64_e32 vcc_lo, s[22:23], v[0:1]
	s_barrier_signal -1
	s_barrier_wait -1
	global_inv scope:SCOPE_SE
	ds_store_b64 v18, v[4:5]
	s_wait_loadcnt_dscnt 0x0
	s_barrier_signal -1
	s_barrier_wait -1
	global_inv scope:SCOPE_SE
	s_and_b32 exec_lo, exec_lo, vcc_lo
	s_cbranch_execz .LBB16_167
; %bb.163:
	v_mul_lo_u32 v1, s10, v0
	v_mov_b32_e32 v4, 0
	v_mov_b32_e32 v5, 0
	s_delay_alu instid0(VALU_DEP_3)
	v_lshlrev_b32_e32 v1, 3, v1
.LBB16_164:                             ; =>This Inner Loop Header: Depth=1
	ds_load_b64 v[2:3], v1
	v_add_nc_u32_e32 v1, 8, v1
	s_add_co_i32 s10, s10, -1
	s_wait_alu 0xfffe
	s_cmp_eq_u32 s10, 0
	s_wait_dscnt 0x0
	v_add_f64_e32 v[4:5], v[4:5], v[2:3]
	s_cbranch_scc0 .LBB16_164
; %bb.165:
	v_lshlrev_b64_e32 v[1:2], 3, v[6:7]
	v_lshlrev_b32_e32 v0, 3, v0
	s_lshl_b32 s0, s2, 3
	s_wait_alu 0xfffe
	s_delay_alu instid0(VALU_DEP_1) | instskip(NEXT) | instid1(VALU_DEP_3)
	v_add3_u32 v0, 0x2000, s0, v0
	v_add_co_u32 v6, vcc_lo, s20, v1
	s_wait_alu 0xfffd
	v_add_co_ci_u32_e64 v7, null, s21, v2, vcc_lo
	ds_load_b64 v[0:1], v0
	s_mov_b32 s0, 0
	global_load_b64 v[2:3], v[6:7], off
	s_wait_dscnt 0x0
	v_add_f64_e32 v[4:5], v[4:5], v[0:1]
.LBB16_166:                             ; =>This Inner Loop Header: Depth=1
	s_wait_loadcnt 0x0
	s_delay_alu instid0(VALU_DEP_1)
	v_add_f64_e32 v[0:1], v[2:3], v[4:5]
	global_atomic_cmpswap_b64 v[0:1], v[6:7], v[0:3], off th:TH_ATOMIC_RETURN scope:SCOPE_DEV
	s_wait_loadcnt 0x0
	v_cmp_eq_u64_e32 vcc_lo, v[0:1], v[2:3]
	v_dual_mov_b32 v3, v1 :: v_dual_mov_b32 v2, v0
	s_wait_alu 0xfffe
	s_or_b32 s0, vcc_lo, s0
	s_wait_alu 0xfffe
	s_and_not1_b32 exec_lo, exec_lo, s0
	s_cbranch_execnz .LBB16_166
.LBB16_167:
	s_endpgm
	.section	.rodata,"a",@progbits
	.p2align	6, 0x0
	.amdhsa_kernel _ZN9rocsparseL27csrmvn_symm_adaptive_kernelIliddddEEvbT_S1_PKS1_NS_24const_host_device_scalarIT4_EES3_PKT0_PKT1_PKT2_S6_PT3_21rocsparse_index_base_b
		.amdhsa_group_segment_fixed_size 8192
		.amdhsa_private_segment_fixed_size 0
		.amdhsa_kernarg_size 352
		.amdhsa_user_sgpr_count 2
		.amdhsa_user_sgpr_dispatch_ptr 0
		.amdhsa_user_sgpr_queue_ptr 0
		.amdhsa_user_sgpr_kernarg_segment_ptr 1
		.amdhsa_user_sgpr_dispatch_id 0
		.amdhsa_user_sgpr_private_segment_size 0
		.amdhsa_wavefront_size32 1
		.amdhsa_uses_dynamic_stack 0
		.amdhsa_enable_private_segment 0
		.amdhsa_system_sgpr_workgroup_id_x 1
		.amdhsa_system_sgpr_workgroup_id_y 0
		.amdhsa_system_sgpr_workgroup_id_z 0
		.amdhsa_system_sgpr_workgroup_info 0
		.amdhsa_system_vgpr_workitem_id 0
		.amdhsa_next_free_vgpr 22
		.amdhsa_next_free_sgpr 42
		.amdhsa_reserve_vcc 1
		.amdhsa_float_round_mode_32 0
		.amdhsa_float_round_mode_16_64 0
		.amdhsa_float_denorm_mode_32 3
		.amdhsa_float_denorm_mode_16_64 3
		.amdhsa_fp16_overflow 0
		.amdhsa_workgroup_processor_mode 1
		.amdhsa_memory_ordered 1
		.amdhsa_forward_progress 1
		.amdhsa_inst_pref_size 82
		.amdhsa_round_robin_scheduling 0
		.amdhsa_exception_fp_ieee_invalid_op 0
		.amdhsa_exception_fp_denorm_src 0
		.amdhsa_exception_fp_ieee_div_zero 0
		.amdhsa_exception_fp_ieee_overflow 0
		.amdhsa_exception_fp_ieee_underflow 0
		.amdhsa_exception_fp_ieee_inexact 0
		.amdhsa_exception_int_div_zero 0
	.end_amdhsa_kernel
	.section	.text._ZN9rocsparseL27csrmvn_symm_adaptive_kernelIliddddEEvbT_S1_PKS1_NS_24const_host_device_scalarIT4_EES3_PKT0_PKT1_PKT2_S6_PT3_21rocsparse_index_base_b,"axG",@progbits,_ZN9rocsparseL27csrmvn_symm_adaptive_kernelIliddddEEvbT_S1_PKS1_NS_24const_host_device_scalarIT4_EES3_PKT0_PKT1_PKT2_S6_PT3_21rocsparse_index_base_b,comdat
.Lfunc_end16:
	.size	_ZN9rocsparseL27csrmvn_symm_adaptive_kernelIliddddEEvbT_S1_PKS1_NS_24const_host_device_scalarIT4_EES3_PKT0_PKT1_PKT2_S6_PT3_21rocsparse_index_base_b, .Lfunc_end16-_ZN9rocsparseL27csrmvn_symm_adaptive_kernelIliddddEEvbT_S1_PKS1_NS_24const_host_device_scalarIT4_EES3_PKT0_PKT1_PKT2_S6_PT3_21rocsparse_index_base_b
                                        ; -- End function
	.set _ZN9rocsparseL27csrmvn_symm_adaptive_kernelIliddddEEvbT_S1_PKS1_NS_24const_host_device_scalarIT4_EES3_PKT0_PKT1_PKT2_S6_PT3_21rocsparse_index_base_b.num_vgpr, 22
	.set _ZN9rocsparseL27csrmvn_symm_adaptive_kernelIliddddEEvbT_S1_PKS1_NS_24const_host_device_scalarIT4_EES3_PKT0_PKT1_PKT2_S6_PT3_21rocsparse_index_base_b.num_agpr, 0
	.set _ZN9rocsparseL27csrmvn_symm_adaptive_kernelIliddddEEvbT_S1_PKS1_NS_24const_host_device_scalarIT4_EES3_PKT0_PKT1_PKT2_S6_PT3_21rocsparse_index_base_b.numbered_sgpr, 42
	.set _ZN9rocsparseL27csrmvn_symm_adaptive_kernelIliddddEEvbT_S1_PKS1_NS_24const_host_device_scalarIT4_EES3_PKT0_PKT1_PKT2_S6_PT3_21rocsparse_index_base_b.num_named_barrier, 0
	.set _ZN9rocsparseL27csrmvn_symm_adaptive_kernelIliddddEEvbT_S1_PKS1_NS_24const_host_device_scalarIT4_EES3_PKT0_PKT1_PKT2_S6_PT3_21rocsparse_index_base_b.private_seg_size, 0
	.set _ZN9rocsparseL27csrmvn_symm_adaptive_kernelIliddddEEvbT_S1_PKS1_NS_24const_host_device_scalarIT4_EES3_PKT0_PKT1_PKT2_S6_PT3_21rocsparse_index_base_b.uses_vcc, 1
	.set _ZN9rocsparseL27csrmvn_symm_adaptive_kernelIliddddEEvbT_S1_PKS1_NS_24const_host_device_scalarIT4_EES3_PKT0_PKT1_PKT2_S6_PT3_21rocsparse_index_base_b.uses_flat_scratch, 0
	.set _ZN9rocsparseL27csrmvn_symm_adaptive_kernelIliddddEEvbT_S1_PKS1_NS_24const_host_device_scalarIT4_EES3_PKT0_PKT1_PKT2_S6_PT3_21rocsparse_index_base_b.has_dyn_sized_stack, 0
	.set _ZN9rocsparseL27csrmvn_symm_adaptive_kernelIliddddEEvbT_S1_PKS1_NS_24const_host_device_scalarIT4_EES3_PKT0_PKT1_PKT2_S6_PT3_21rocsparse_index_base_b.has_recursion, 0
	.set _ZN9rocsparseL27csrmvn_symm_adaptive_kernelIliddddEEvbT_S1_PKS1_NS_24const_host_device_scalarIT4_EES3_PKT0_PKT1_PKT2_S6_PT3_21rocsparse_index_base_b.has_indirect_call, 0
	.section	.AMDGPU.csdata,"",@progbits
; Kernel info:
; codeLenInByte = 10488
; TotalNumSgprs: 44
; NumVgprs: 22
; ScratchSize: 0
; MemoryBound: 0
; FloatMode: 240
; IeeeMode: 1
; LDSByteSize: 8192 bytes/workgroup (compile time only)
; SGPRBlocks: 0
; VGPRBlocks: 2
; NumSGPRsForWavesPerEU: 44
; NumVGPRsForWavesPerEU: 22
; Occupancy: 16
; WaveLimiterHint : 1
; COMPUTE_PGM_RSRC2:SCRATCH_EN: 0
; COMPUTE_PGM_RSRC2:USER_SGPR: 2
; COMPUTE_PGM_RSRC2:TRAP_HANDLER: 0
; COMPUTE_PGM_RSRC2:TGID_X_EN: 1
; COMPUTE_PGM_RSRC2:TGID_Y_EN: 0
; COMPUTE_PGM_RSRC2:TGID_Z_EN: 0
; COMPUTE_PGM_RSRC2:TIDIG_COMP_CNT: 0
	.section	.text._ZL33csrmvn_symm_large_adaptive_kernelIliddddEvbT_PKS0_N9rocsparse24const_host_device_scalarIT4_EES2_PKT0_PKT1_PKT2_S6_PT3_21rocsparse_index_base_b,"axG",@progbits,_ZL33csrmvn_symm_large_adaptive_kernelIliddddEvbT_PKS0_N9rocsparse24const_host_device_scalarIT4_EES2_PKT0_PKT1_PKT2_S6_PT3_21rocsparse_index_base_b,comdat
	.globl	_ZL33csrmvn_symm_large_adaptive_kernelIliddddEvbT_PKS0_N9rocsparse24const_host_device_scalarIT4_EES2_PKT0_PKT1_PKT2_S6_PT3_21rocsparse_index_base_b ; -- Begin function _ZL33csrmvn_symm_large_adaptive_kernelIliddddEvbT_PKS0_N9rocsparse24const_host_device_scalarIT4_EES2_PKT0_PKT1_PKT2_S6_PT3_21rocsparse_index_base_b
	.p2align	8
	.type	_ZL33csrmvn_symm_large_adaptive_kernelIliddddEvbT_PKS0_N9rocsparse24const_host_device_scalarIT4_EES2_PKT0_PKT1_PKT2_S6_PT3_21rocsparse_index_base_b,@function
_ZL33csrmvn_symm_large_adaptive_kernelIliddddEvbT_PKS0_N9rocsparse24const_host_device_scalarIT4_EES2_PKT0_PKT1_PKT2_S6_PT3_21rocsparse_index_base_b: ; @_ZL33csrmvn_symm_large_adaptive_kernelIliddddEvbT_PKS0_N9rocsparse24const_host_device_scalarIT4_EES2_PKT0_PKT1_PKT2_S6_PT3_21rocsparse_index_base_b
; %bb.0:
	s_clause 0x2
	s_load_b64 s[6:7], s[0:1], 0x50
	s_load_b64 s[4:5], s[0:1], 0x18
	;; [unrolled: 1-line block ×3, first 2 shown]
	s_wait_kmcnt 0x0
	s_bitcmp1_b32 s7, 0
	v_dual_mov_b32 v4, s4 :: v_dual_mov_b32 v5, s5
	s_cselect_b32 s7, -1, 0
	s_delay_alu instid0(SALU_CYCLE_1)
	s_and_b32 vcc_lo, exec_lo, s7
	s_xor_b32 s7, s7, -1
	s_cbranch_vccnz .LBB17_2
; %bb.1:
	v_dual_mov_b32 v1, s4 :: v_dual_mov_b32 v2, s5
	flat_load_b64 v[4:5], v[1:2]
.LBB17_2:
	v_dual_mov_b32 v1, s2 :: v_dual_mov_b32 v2, s3
	s_and_not1_b32 vcc_lo, exec_lo, s7
	s_cbranch_vccnz .LBB17_4
; %bb.3:
	v_dual_mov_b32 v1, s2 :: v_dual_mov_b32 v2, s3
	flat_load_b64 v[1:2], v[1:2]
.LBB17_4:
	s_wait_loadcnt_dscnt 0x0
	v_cmp_neq_f64_e32 vcc_lo, 0, v[4:5]
	v_cmp_neq_f64_e64 s2, 1.0, v[1:2]
	s_or_b32 s2, vcc_lo, s2
	s_wait_alu 0xfffe
	s_and_saveexec_b32 s3, s2
	s_cbranch_execz .LBB17_37
; %bb.5:
	s_load_b64 s[4:5], s[0:1], 0x10
	s_mov_b32 s22, 0
	s_mov_b32 s2, ttmp9
	s_mov_b32 s23, s22
	v_dual_mov_b32 v1, s22 :: v_dual_lshlrev_b32 v10, 3, v0
	s_ashr_i32 s3, ttmp9, 31
	v_dual_mov_b32 v2, s23 :: v_dual_mov_b32 v13, 0
	s_wait_alu 0xfffe
	s_lshl_b64 s[2:3], s[2:3], 3
	ds_store_2addr_stride64_b64 v10, v[1:2], v[1:2] offset1:4
	ds_store_2addr_stride64_b64 v10, v[1:2], v[1:2] offset0:8 offset1:12
	s_wait_dscnt 0x0
	s_barrier_signal -1
	s_barrier_wait -1
	global_inv scope:SCOPE_SE
	s_mov_b32 s7, s22
	s_wait_kmcnt 0x0
	s_wait_alu 0xfffe
	s_add_nc_u64 s[2:3], s[4:5], s[2:3]
	s_load_b128 s[16:19], s[2:3], 0x0
	s_clause 0x1
	s_load_b256 s[8:15], s[0:1], 0x20
	s_load_b64 s[20:21], s[0:1], 0x48
	v_sub_co_u32 v11, s1, v0, s6
	s_delay_alu instid0(VALU_DEP_1)
	v_sub_co_ci_u32_e64 v12, null, 0, 0, s1
	s_wait_kmcnt 0x0
	v_cmp_ge_i64_e64 s0, s[16:17], s[18:19]
	s_and_b32 vcc_lo, exec_lo, s0
	s_cbranch_vccnz .LBB17_27
; %bb.6:
	v_cmp_gt_u32_e64 s0, 64, v0
	v_cmp_gt_u32_e64 s1, 16, v0
	;; [unrolled: 1-line block ×3, first 2 shown]
	v_cmp_eq_u32_e64 s3, 0, v0
	s_mov_b64 s[22:23], s[16:17]
	s_branch .LBB17_8
.LBB17_7:                               ;   in Loop: Header=BB17_8 Depth=1
	s_wait_alu 0xfffe
	s_or_b32 exec_lo, exec_lo, s26
	s_add_nc_u64 s[22:23], s[22:23], 1
	s_wait_alu 0xfffe
	v_cmp_ge_i64_e64 s4, s[22:23], s[18:19]
	s_and_b32 vcc_lo, exec_lo, s4
	s_wait_alu 0xfffe
	s_cbranch_vccnz .LBB17_27
.LBB17_8:                               ; =>This Loop Header: Depth=1
                                        ;     Child Loop BB17_10 Depth 2
                                        ;     Child Loop BB17_22 Depth 2
	;; [unrolled: 1-line block ×3, first 2 shown]
	s_wait_alu 0xfffe
	s_lshl_b64 s[24:25], s[22:23], 3
	v_mov_b32_e32 v2, 0
	s_add_nc_u64 s[4:5], s[8:9], s[24:25]
	v_mov_b32_e32 v3, 0
	s_load_b128 s[28:31], s[4:5], 0x0
	s_mov_b32 s5, exec_lo
	s_wait_kmcnt 0x0
	v_add_co_u32 v0, vcc_lo, s28, v11
	s_wait_alu 0xfffd
	v_add_co_ci_u32_e64 v1, null, s29, v12, vcc_lo
	s_sub_nc_u64 s[26:27], s[30:31], s[6:7]
	s_wait_alu 0xfffe
	v_cmpx_gt_i64_e64 s[26:27], v[0:1]
	s_cbranch_execz .LBB17_12
; %bb.9:                                ;   in Loop: Header=BB17_8 Depth=1
	v_lshlrev_b64_e32 v[6:7], 2, v[0:1]
	v_lshlrev_b64_e32 v[8:9], 3, v[0:1]
	v_mov_b32_e32 v2, 0
	v_mov_b32_e32 v3, 0
	s_mov_b32 s28, 0
	s_delay_alu instid0(VALU_DEP_4)
	v_add_co_u32 v6, vcc_lo, s10, v6
	s_wait_alu 0xfffd
	v_add_co_ci_u32_e64 v7, null, s11, v7, vcc_lo
	v_add_co_u32 v8, vcc_lo, s12, v8
	s_wait_alu 0xfffd
	v_add_co_ci_u32_e64 v9, null, s13, v9, vcc_lo
.LBB17_10:                              ;   Parent Loop BB17_8 Depth=1
                                        ; =>  This Inner Loop Header: Depth=2
	global_load_b32 v14, v[6:7], off
	s_wait_loadcnt 0x0
	v_subrev_nc_u32_e32 v14, s6, v14
	s_delay_alu instid0(VALU_DEP_1) | instskip(NEXT) | instid1(VALU_DEP_1)
	v_ashrrev_i32_e32 v15, 31, v14
	v_lshlrev_b64_e32 v[14:15], 3, v[14:15]
	s_delay_alu instid0(VALU_DEP_1) | instskip(SKIP_1) | instid1(VALU_DEP_2)
	v_add_co_u32 v14, vcc_lo, s14, v14
	s_wait_alu 0xfffd
	v_add_co_ci_u32_e64 v15, null, s15, v15, vcc_lo
	v_add_co_u32 v0, vcc_lo, 0x100, v0
	global_load_b64 v[16:17], v[8:9], off
	global_load_b64 v[14:15], v[14:15], off
	s_wait_alu 0xfffd
	v_add_co_ci_u32_e64 v1, null, 0, v1, vcc_lo
	v_add_co_u32 v6, vcc_lo, 0x400, v6
	s_wait_alu 0xfffd
	v_add_co_ci_u32_e64 v7, null, 0, v7, vcc_lo
	s_delay_alu instid0(VALU_DEP_3)
	v_cmp_le_i64_e32 vcc_lo, s[26:27], v[0:1]
	v_add_co_u32 v8, s4, 0x800, v8
	s_wait_alu 0xf1ff
	v_add_co_ci_u32_e64 v9, null, 0, v9, s4
	s_wait_alu 0xfffe
	s_or_b32 s28, vcc_lo, s28
	s_wait_loadcnt 0x0
	v_fma_f64 v[2:3], v[16:17], v[14:15], v[2:3]
	s_wait_alu 0xfffe
	s_and_not1_b32 exec_lo, exec_lo, s28
	s_cbranch_execnz .LBB17_10
; %bb.11:                               ;   in Loop: Header=BB17_8 Depth=1
	s_or_b32 exec_lo, exec_lo, s28
.LBB17_12:                              ;   in Loop: Header=BB17_8 Depth=1
	s_wait_alu 0xfffe
	s_or_b32 exec_lo, exec_lo, s5
	ds_store_b64 v10, v[2:3]
	s_wait_loadcnt_dscnt 0x0
	s_barrier_signal -1
	s_barrier_wait -1
	global_inv scope:SCOPE_SE
	ds_load_2addr_stride64_b64 v[0:3], v10 offset1:4
	ds_load_2addr_stride64_b64 v[6:9], v10 offset0:8 offset1:12
	s_wait_dscnt 0x0
	v_add_f64_e32 v[2:3], v[2:3], v[6:7]
	s_delay_alu instid0(VALU_DEP_1) | instskip(NEXT) | instid1(VALU_DEP_1)
	v_add_f64_e32 v[2:3], v[2:3], v[8:9]
	v_add_f64_e32 v[0:1], v[0:1], v[2:3]
	ds_store_b64 v10, v[0:1]
	s_wait_loadcnt_dscnt 0x0
	s_barrier_signal -1
	s_barrier_wait -1
	global_inv scope:SCOPE_SE
	s_and_saveexec_b32 s4, s0
	s_cbranch_execz .LBB17_14
; %bb.13:                               ;   in Loop: Header=BB17_8 Depth=1
	ds_load_2addr_stride64_b64 v[0:3], v10 offset1:1
	ds_load_2addr_stride64_b64 v[6:9], v10 offset0:2 offset1:3
	s_wait_dscnt 0x0
	v_add_f64_e32 v[2:3], v[2:3], v[6:7]
	s_delay_alu instid0(VALU_DEP_1) | instskip(NEXT) | instid1(VALU_DEP_1)
	v_add_f64_e32 v[2:3], v[2:3], v[8:9]
	v_add_f64_e32 v[0:1], v[0:1], v[2:3]
	ds_store_b64 v10, v[0:1]
.LBB17_14:                              ;   in Loop: Header=BB17_8 Depth=1
	s_wait_alu 0xfffe
	s_or_b32 exec_lo, exec_lo, s4
	s_wait_loadcnt_dscnt 0x0
	s_barrier_signal -1
	s_barrier_wait -1
	global_inv scope:SCOPE_SE
	s_and_saveexec_b32 s4, s1
	s_cbranch_execz .LBB17_16
; %bb.15:                               ;   in Loop: Header=BB17_8 Depth=1
	ds_load_2addr_b64 v[0:3], v10 offset1:16
	ds_load_2addr_b64 v[6:9], v10 offset0:32 offset1:48
	s_wait_dscnt 0x0
	v_add_f64_e32 v[2:3], v[2:3], v[6:7]
	s_delay_alu instid0(VALU_DEP_1) | instskip(NEXT) | instid1(VALU_DEP_1)
	v_add_f64_e32 v[2:3], v[2:3], v[8:9]
	v_add_f64_e32 v[0:1], v[0:1], v[2:3]
	ds_store_b64 v10, v[0:1]
.LBB17_16:                              ;   in Loop: Header=BB17_8 Depth=1
	s_wait_alu 0xfffe
	s_or_b32 exec_lo, exec_lo, s4
	s_wait_loadcnt_dscnt 0x0
	s_barrier_signal -1
	s_barrier_wait -1
	global_inv scope:SCOPE_SE
	s_and_saveexec_b32 s4, s2
	s_cbranch_execz .LBB17_18
; %bb.17:                               ;   in Loop: Header=BB17_8 Depth=1
	ds_load_2addr_b64 v[0:3], v10 offset1:4
	ds_load_2addr_b64 v[6:9], v10 offset0:8 offset1:12
	s_wait_dscnt 0x0
	v_add_f64_e32 v[2:3], v[2:3], v[6:7]
	s_delay_alu instid0(VALU_DEP_1) | instskip(NEXT) | instid1(VALU_DEP_1)
	v_add_f64_e32 v[2:3], v[2:3], v[8:9]
	v_add_f64_e32 v[0:1], v[0:1], v[2:3]
	ds_store_b64 v10, v[0:1]
.LBB17_18:                              ;   in Loop: Header=BB17_8 Depth=1
	s_wait_alu 0xfffe
	s_or_b32 exec_lo, exec_lo, s4
	s_wait_loadcnt_dscnt 0x0
	s_barrier_signal -1
	s_barrier_wait -1
	global_inv scope:SCOPE_SE
	s_and_saveexec_b32 s4, s3
	s_cbranch_execz .LBB17_20
; %bb.19:                               ;   in Loop: Header=BB17_8 Depth=1
	ds_load_2addr_b64 v[0:3], v13 offset0:1 offset1:2
	ds_load_b64 v[6:7], v10
	s_wait_dscnt 0x1
	v_add_f64_e32 v[0:1], v[0:1], v[2:3]
	ds_load_b64 v[2:3], v13 offset:24
	s_wait_dscnt 0x0
	v_add_f64_e32 v[0:1], v[0:1], v[2:3]
	s_delay_alu instid0(VALU_DEP_1)
	v_add_f64_e32 v[0:1], v[6:7], v[0:1]
	ds_store_b64 v10, v[0:1]
.LBB17_20:                              ;   in Loop: Header=BB17_8 Depth=1
	s_wait_alu 0xfffe
	s_or_b32 exec_lo, exec_lo, s4
	s_wait_loadcnt_dscnt 0x0
	s_barrier_signal -1
	s_barrier_wait -1
	global_inv scope:SCOPE_SE
	s_and_saveexec_b32 s26, s3
	s_cbranch_execz .LBB17_7
; %bb.21:                               ;   in Loop: Header=BB17_8 Depth=1
	ds_load_b64 v[0:1], v13
	v_mov_b32_e32 v6, 0
	v_bfrev_b32_e32 v7, 1
	s_mov_b32 s4, exec_lo
	s_wait_dscnt 0x0
	v_mul_f64_e32 v[0:1], v[4:5], v[0:1]
.LBB17_22:                              ;   Parent Loop BB17_8 Depth=1
                                        ; =>  This Inner Loop Header: Depth=2
	s_wait_alu 0xfffe
	s_ctz_i32_b32 s5, s4
	s_wait_alu 0xfffe
	s_delay_alu instid0(VALU_DEP_1) | instskip(NEXT) | instid1(VALU_DEP_2)
	v_readlane_b32 s29, v1, s5
	v_readlane_b32 s28, v0, s5
	s_lshl_b32 s5, 1, s5
	s_wait_alu 0xfffe
	s_and_not1_b32 s4, s4, s5
	v_add_f64_e32 v[6:7], s[28:29], v[6:7]
	s_wait_alu 0xfffe
	s_cmp_lg_u32 s4, 0
	s_cbranch_scc1 .LBB17_22
; %bb.23:                               ;   in Loop: Header=BB17_8 Depth=1
	v_mbcnt_lo_u32_b32 v0, exec_lo, 0
	s_mov_b32 s4, exec_lo
	s_delay_alu instid0(VALU_DEP_1)
	v_cmpx_eq_u32_e32 0, v0
	s_wait_alu 0xfffe
	s_xor_b32 s4, exec_lo, s4
	s_cbranch_execz .LBB17_7
; %bb.24:                               ;   in Loop: Header=BB17_8 Depth=1
	s_add_nc_u64 s[4:5], s[20:21], s[24:25]
	s_mov_b32 s24, 0
	global_load_b64 v[2:3], v13, s[4:5]
.LBB17_25:                              ;   Parent Loop BB17_8 Depth=1
                                        ; =>  This Inner Loop Header: Depth=2
	s_wait_loadcnt 0x0
	v_add_f64_e32 v[0:1], v[2:3], v[6:7]
	global_atomic_cmpswap_b64 v[0:1], v13, v[0:3], s[4:5] th:TH_ATOMIC_RETURN scope:SCOPE_DEV
	s_wait_loadcnt 0x0
	v_cmp_eq_u64_e32 vcc_lo, v[0:1], v[2:3]
	v_dual_mov_b32 v3, v1 :: v_dual_mov_b32 v2, v0
	s_or_b32 s24, vcc_lo, s24
	s_delay_alu instid0(SALU_CYCLE_1)
	s_and_not1_b32 exec_lo, exec_lo, s24
	s_cbranch_execnz .LBB17_25
; %bb.26:                               ;   in Loop: Header=BB17_8 Depth=1
	s_or_b32 exec_lo, exec_lo, s24
	s_branch .LBB17_7
.LBB17_27:
	s_lshl_b64 s[0:1], s[16:17], 3
	s_lshl_b64 s[2:3], s[18:19], 3
	s_wait_alu 0xfffe
	s_add_nc_u64 s[0:1], s[8:9], s[0:1]
	s_add_nc_u64 s[2:3], s[8:9], s[2:3]
	s_clause 0x1
	s_load_b64 s[0:1], s[0:1], 0x0
	s_load_b64 s[2:3], s[2:3], 0x0
	s_wait_kmcnt 0x0
	v_add_co_u32 v6, vcc_lo, s0, v11
	s_wait_alu 0xfffd
	v_add_co_ci_u32_e64 v7, null, s1, v12, vcc_lo
	s_sub_nc_u64 s[2:3], s[2:3], s[6:7]
	s_wait_alu 0xfffe
	v_cmp_gt_i64_e32 vcc_lo, s[2:3], v[6:7]
	s_and_b32 exec_lo, exec_lo, vcc_lo
	s_cbranch_execz .LBB17_37
; %bb.28:
	s_add_nc_u64 s[4:5], s[18:19], -1
	s_add_nc_u64 s[0:1], s[18:19], -2
	s_wait_alu 0xfffe
	v_cmp_lt_i64_e64 s7, s[16:17], s[4:5]
	s_cmp_lg_u64 s[16:17], s[0:1]
	s_cselect_b32 s0, -1, 0
	s_wait_alu 0xfffe
	s_and_b32 s1, s7, s0
	s_mov_b32 s7, 0
	s_branch .LBB17_30
.LBB17_29:                              ;   in Loop: Header=BB17_30 Depth=1
	s_wait_alu 0xfffe
	s_or_b32 exec_lo, exec_lo, s0
	v_add_co_u32 v6, vcc_lo, 0x100, v6
	s_wait_alu 0xfffd
	v_add_co_ci_u32_e64 v7, null, 0, v7, vcc_lo
	s_delay_alu instid0(VALU_DEP_1)
	v_cmp_le_i64_e32 vcc_lo, s[2:3], v[6:7]
	s_or_b32 s7, vcc_lo, s7
	s_wait_alu 0xfffe
	s_and_not1_b32 exec_lo, exec_lo, s7
	s_cbranch_execz .LBB17_37
.LBB17_30:                              ; =>This Loop Header: Depth=1
                                        ;     Child Loop BB17_32 Depth 2
                                        ;     Child Loop BB17_36 Depth 2
	v_dual_mov_b32 v0, s16 :: v_dual_mov_b32 v1, s17
	v_dual_mov_b32 v2, s4 :: v_dual_mov_b32 v3, s5
	s_wait_alu 0xfffe
	s_and_not1_b32 vcc_lo, exec_lo, s1
	s_wait_alu 0xfffe
	s_cbranch_vccnz .LBB17_34
; %bb.31:                               ;   in Loop: Header=BB17_30 Depth=1
	v_dual_mov_b32 v0, s16 :: v_dual_mov_b32 v1, s17
	v_dual_mov_b32 v2, s4 :: v_dual_mov_b32 v3, s5
	s_mov_b32 s18, 0
.LBB17_32:                              ;   Parent Loop BB17_30 Depth=1
                                        ; =>  This Inner Loop Header: Depth=2
	s_delay_alu instid0(VALU_DEP_1) | instskip(SKIP_1) | instid1(VALU_DEP_2)
	v_add_co_u32 v8, vcc_lo, v2, v0
	s_wait_alu 0xfffd
	v_add_co_ci_u32_e64 v9, null, v3, v1, vcc_lo
	s_delay_alu instid0(VALU_DEP_1) | instskip(NEXT) | instid1(VALU_DEP_1)
	v_lshrrev_b32_e32 v10, 31, v9
	v_add_co_u32 v8, vcc_lo, v8, v10
	s_wait_alu 0xfffd
	v_add_co_ci_u32_e64 v9, null, 0, v9, vcc_lo
	s_delay_alu instid0(VALU_DEP_1) | instskip(NEXT) | instid1(VALU_DEP_1)
	v_ashrrev_i64 v[8:9], 1, v[8:9]
	v_lshlrev_b64_e32 v[10:11], 3, v[8:9]
	s_delay_alu instid0(VALU_DEP_1) | instskip(SKIP_1) | instid1(VALU_DEP_2)
	v_add_co_u32 v10, vcc_lo, s8, v10
	s_wait_alu 0xfffd
	v_add_co_ci_u32_e64 v11, null, s9, v11, vcc_lo
	global_load_b64 v[10:11], v[10:11], off
	s_wait_loadcnt 0x0
	v_sub_co_u32 v10, vcc_lo, v10, s6
	s_wait_alu 0xfffd
	v_subrev_co_ci_u32_e64 v11, null, 0, v11, vcc_lo
	s_delay_alu instid0(VALU_DEP_1) | instskip(SKIP_3) | instid1(VALU_DEP_2)
	v_cmp_lt_i64_e32 vcc_lo, v[6:7], v[10:11]
	s_wait_alu 0xfffd
	v_dual_cndmask_b32 v3, v3, v9 :: v_dual_cndmask_b32 v2, v2, v8
	v_dual_cndmask_b32 v1, v9, v1 :: v_dual_cndmask_b32 v0, v8, v0
	v_add_co_u32 v8, vcc_lo, v2, -1
	s_wait_alu 0xfffd
	s_delay_alu instid0(VALU_DEP_3) | instskip(NEXT) | instid1(VALU_DEP_3)
	v_add_co_ci_u32_e64 v9, null, -1, v3, vcc_lo
	v_cmp_ge_i64_e32 vcc_lo, v[0:1], v[2:3]
	s_delay_alu instid0(VALU_DEP_2)
	v_cmp_eq_u64_e64 s0, v[0:1], v[8:9]
	s_or_b32 s0, vcc_lo, s0
	s_wait_alu 0xfffe
	s_and_b32 s0, exec_lo, s0
	s_wait_alu 0xfffe
	s_or_b32 s18, s0, s18
	s_wait_alu 0xfffe
	s_and_not1_b32 exec_lo, exec_lo, s18
	s_cbranch_execnz .LBB17_32
; %bb.33:                               ;   in Loop: Header=BB17_30 Depth=1
	s_or_b32 exec_lo, exec_lo, s18
.LBB17_34:                              ;   in Loop: Header=BB17_30 Depth=1
	v_lshlrev_b64_e32 v[8:9], 3, v[2:3]
	v_lshlrev_b64_e32 v[10:11], 2, v[6:7]
	s_mov_b32 s0, exec_lo
	s_delay_alu instid0(VALU_DEP_2) | instskip(SKIP_1) | instid1(VALU_DEP_3)
	v_add_co_u32 v8, vcc_lo, s8, v8
	s_wait_alu 0xfffd
	v_add_co_ci_u32_e64 v9, null, s9, v9, vcc_lo
	s_delay_alu instid0(VALU_DEP_3)
	v_add_co_u32 v10, vcc_lo, s10, v10
	s_wait_alu 0xfffd
	v_add_co_ci_u32_e64 v11, null, s11, v11, vcc_lo
	global_load_b64 v[8:9], v[8:9], off
	global_load_b32 v10, v[10:11], off
	s_wait_loadcnt 0x1
	v_sub_co_u32 v8, vcc_lo, v8, s6
	s_wait_alu 0xfffd
	v_subrev_co_ci_u32_e64 v9, null, 0, v9, vcc_lo
	s_delay_alu instid0(VALU_DEP_1) | instskip(SKIP_2) | instid1(VALU_DEP_1)
	v_cmp_lt_i64_e32 vcc_lo, v[6:7], v[8:9]
	s_wait_loadcnt 0x0
	v_subrev_nc_u32_e32 v8, s6, v10
	v_ashrrev_i32_e32 v9, 31, v8
	s_wait_alu 0xfffd
	v_dual_cndmask_b32 v1, v3, v1 :: v_dual_cndmask_b32 v0, v2, v0
	s_delay_alu instid0(VALU_DEP_1)
	v_cmpx_ne_u64_e64 v[0:1], v[8:9]
	s_cbranch_execz .LBB17_29
; %bb.35:                               ;   in Loop: Header=BB17_30 Depth=1
	v_lshlrev_b64_e32 v[2:3], 3, v[6:7]
	v_lshlrev_b64_e32 v[0:1], 3, v[0:1]
	s_mov_b32 s18, 0
	s_delay_alu instid0(VALU_DEP_2) | instskip(SKIP_1) | instid1(VALU_DEP_3)
	v_add_co_u32 v2, vcc_lo, s12, v2
	s_wait_alu 0xfffd
	v_add_co_ci_u32_e64 v3, null, s13, v3, vcc_lo
	s_delay_alu instid0(VALU_DEP_3)
	v_add_co_u32 v0, vcc_lo, s14, v0
	s_wait_alu 0xfffd
	v_add_co_ci_u32_e64 v1, null, s15, v1, vcc_lo
	global_load_b64 v[10:11], v[2:3], off
	v_lshlrev_b64_e32 v[2:3], 3, v[8:9]
	global_load_b64 v[0:1], v[0:1], off
	v_add_co_u32 v8, vcc_lo, s20, v2
	s_wait_alu 0xfffd
	v_add_co_ci_u32_e64 v9, null, s21, v3, vcc_lo
	global_load_b64 v[2:3], v[8:9], off
	s_wait_loadcnt 0x2
	v_mul_f64_e32 v[10:11], v[4:5], v[10:11]
	s_wait_loadcnt 0x1
	s_delay_alu instid0(VALU_DEP_1)
	v_mul_f64_e32 v[10:11], v[10:11], v[0:1]
.LBB17_36:                              ;   Parent Loop BB17_30 Depth=1
                                        ; =>  This Inner Loop Header: Depth=2
	s_wait_loadcnt 0x0
	s_delay_alu instid0(VALU_DEP_1)
	v_add_f64_e32 v[0:1], v[2:3], v[10:11]
	global_atomic_cmpswap_b64 v[0:1], v[8:9], v[0:3], off th:TH_ATOMIC_RETURN scope:SCOPE_DEV
	s_wait_loadcnt 0x0
	v_cmp_eq_u64_e32 vcc_lo, v[0:1], v[2:3]
	v_dual_mov_b32 v3, v1 :: v_dual_mov_b32 v2, v0
	s_wait_alu 0xfffe
	s_or_b32 s18, vcc_lo, s18
	s_wait_alu 0xfffe
	s_and_not1_b32 exec_lo, exec_lo, s18
	s_cbranch_execnz .LBB17_36
	s_branch .LBB17_29
.LBB17_37:
	s_endpgm
	.section	.rodata,"a",@progbits
	.p2align	6, 0x0
	.amdhsa_kernel _ZL33csrmvn_symm_large_adaptive_kernelIliddddEvbT_PKS0_N9rocsparse24const_host_device_scalarIT4_EES2_PKT0_PKT1_PKT2_S6_PT3_21rocsparse_index_base_b
		.amdhsa_group_segment_fixed_size 8192
		.amdhsa_private_segment_fixed_size 0
		.amdhsa_kernarg_size 88
		.amdhsa_user_sgpr_count 2
		.amdhsa_user_sgpr_dispatch_ptr 0
		.amdhsa_user_sgpr_queue_ptr 0
		.amdhsa_user_sgpr_kernarg_segment_ptr 1
		.amdhsa_user_sgpr_dispatch_id 0
		.amdhsa_user_sgpr_private_segment_size 0
		.amdhsa_wavefront_size32 1
		.amdhsa_uses_dynamic_stack 0
		.amdhsa_enable_private_segment 0
		.amdhsa_system_sgpr_workgroup_id_x 1
		.amdhsa_system_sgpr_workgroup_id_y 0
		.amdhsa_system_sgpr_workgroup_id_z 0
		.amdhsa_system_sgpr_workgroup_info 0
		.amdhsa_system_vgpr_workitem_id 0
		.amdhsa_next_free_vgpr 18
		.amdhsa_next_free_sgpr 32
		.amdhsa_reserve_vcc 1
		.amdhsa_float_round_mode_32 0
		.amdhsa_float_round_mode_16_64 0
		.amdhsa_float_denorm_mode_32 3
		.amdhsa_float_denorm_mode_16_64 3
		.amdhsa_fp16_overflow 0
		.amdhsa_workgroup_processor_mode 1
		.amdhsa_memory_ordered 1
		.amdhsa_forward_progress 1
		.amdhsa_inst_pref_size 18
		.amdhsa_round_robin_scheduling 0
		.amdhsa_exception_fp_ieee_invalid_op 0
		.amdhsa_exception_fp_denorm_src 0
		.amdhsa_exception_fp_ieee_div_zero 0
		.amdhsa_exception_fp_ieee_overflow 0
		.amdhsa_exception_fp_ieee_underflow 0
		.amdhsa_exception_fp_ieee_inexact 0
		.amdhsa_exception_int_div_zero 0
	.end_amdhsa_kernel
	.section	.text._ZL33csrmvn_symm_large_adaptive_kernelIliddddEvbT_PKS0_N9rocsparse24const_host_device_scalarIT4_EES2_PKT0_PKT1_PKT2_S6_PT3_21rocsparse_index_base_b,"axG",@progbits,_ZL33csrmvn_symm_large_adaptive_kernelIliddddEvbT_PKS0_N9rocsparse24const_host_device_scalarIT4_EES2_PKT0_PKT1_PKT2_S6_PT3_21rocsparse_index_base_b,comdat
.Lfunc_end17:
	.size	_ZL33csrmvn_symm_large_adaptive_kernelIliddddEvbT_PKS0_N9rocsparse24const_host_device_scalarIT4_EES2_PKT0_PKT1_PKT2_S6_PT3_21rocsparse_index_base_b, .Lfunc_end17-_ZL33csrmvn_symm_large_adaptive_kernelIliddddEvbT_PKS0_N9rocsparse24const_host_device_scalarIT4_EES2_PKT0_PKT1_PKT2_S6_PT3_21rocsparse_index_base_b
                                        ; -- End function
	.set _ZL33csrmvn_symm_large_adaptive_kernelIliddddEvbT_PKS0_N9rocsparse24const_host_device_scalarIT4_EES2_PKT0_PKT1_PKT2_S6_PT3_21rocsparse_index_base_b.num_vgpr, 18
	.set _ZL33csrmvn_symm_large_adaptive_kernelIliddddEvbT_PKS0_N9rocsparse24const_host_device_scalarIT4_EES2_PKT0_PKT1_PKT2_S6_PT3_21rocsparse_index_base_b.num_agpr, 0
	.set _ZL33csrmvn_symm_large_adaptive_kernelIliddddEvbT_PKS0_N9rocsparse24const_host_device_scalarIT4_EES2_PKT0_PKT1_PKT2_S6_PT3_21rocsparse_index_base_b.numbered_sgpr, 32
	.set _ZL33csrmvn_symm_large_adaptive_kernelIliddddEvbT_PKS0_N9rocsparse24const_host_device_scalarIT4_EES2_PKT0_PKT1_PKT2_S6_PT3_21rocsparse_index_base_b.num_named_barrier, 0
	.set _ZL33csrmvn_symm_large_adaptive_kernelIliddddEvbT_PKS0_N9rocsparse24const_host_device_scalarIT4_EES2_PKT0_PKT1_PKT2_S6_PT3_21rocsparse_index_base_b.private_seg_size, 0
	.set _ZL33csrmvn_symm_large_adaptive_kernelIliddddEvbT_PKS0_N9rocsparse24const_host_device_scalarIT4_EES2_PKT0_PKT1_PKT2_S6_PT3_21rocsparse_index_base_b.uses_vcc, 1
	.set _ZL33csrmvn_symm_large_adaptive_kernelIliddddEvbT_PKS0_N9rocsparse24const_host_device_scalarIT4_EES2_PKT0_PKT1_PKT2_S6_PT3_21rocsparse_index_base_b.uses_flat_scratch, 0
	.set _ZL33csrmvn_symm_large_adaptive_kernelIliddddEvbT_PKS0_N9rocsparse24const_host_device_scalarIT4_EES2_PKT0_PKT1_PKT2_S6_PT3_21rocsparse_index_base_b.has_dyn_sized_stack, 0
	.set _ZL33csrmvn_symm_large_adaptive_kernelIliddddEvbT_PKS0_N9rocsparse24const_host_device_scalarIT4_EES2_PKT0_PKT1_PKT2_S6_PT3_21rocsparse_index_base_b.has_recursion, 0
	.set _ZL33csrmvn_symm_large_adaptive_kernelIliddddEvbT_PKS0_N9rocsparse24const_host_device_scalarIT4_EES2_PKT0_PKT1_PKT2_S6_PT3_21rocsparse_index_base_b.has_indirect_call, 0
	.section	.AMDGPU.csdata,"",@progbits
; Kernel info:
; codeLenInByte = 2232
; TotalNumSgprs: 34
; NumVgprs: 18
; ScratchSize: 0
; MemoryBound: 0
; FloatMode: 240
; IeeeMode: 1
; LDSByteSize: 8192 bytes/workgroup (compile time only)
; SGPRBlocks: 0
; VGPRBlocks: 2
; NumSGPRsForWavesPerEU: 34
; NumVGPRsForWavesPerEU: 18
; Occupancy: 16
; WaveLimiterHint : 1
; COMPUTE_PGM_RSRC2:SCRATCH_EN: 0
; COMPUTE_PGM_RSRC2:USER_SGPR: 2
; COMPUTE_PGM_RSRC2:TRAP_HANDLER: 0
; COMPUTE_PGM_RSRC2:TGID_X_EN: 1
; COMPUTE_PGM_RSRC2:TGID_Y_EN: 0
; COMPUTE_PGM_RSRC2:TGID_Z_EN: 0
; COMPUTE_PGM_RSRC2:TIDIG_COMP_CNT: 0
	.section	.text._ZN9rocsparseL22csrmvn_adaptive_kernelIllddddEEvbT_PKS1_PjPKT0_NS_24const_host_device_scalarIT4_EES3_S7_PKT1_PKT2_SA_PT3_21rocsparse_index_base_b,"axG",@progbits,_ZN9rocsparseL22csrmvn_adaptive_kernelIllddddEEvbT_PKS1_PjPKT0_NS_24const_host_device_scalarIT4_EES3_S7_PKT1_PKT2_SA_PT3_21rocsparse_index_base_b,comdat
	.globl	_ZN9rocsparseL22csrmvn_adaptive_kernelIllddddEEvbT_PKS1_PjPKT0_NS_24const_host_device_scalarIT4_EES3_S7_PKT1_PKT2_SA_PT3_21rocsparse_index_base_b ; -- Begin function _ZN9rocsparseL22csrmvn_adaptive_kernelIllddddEEvbT_PKS1_PjPKT0_NS_24const_host_device_scalarIT4_EES3_S7_PKT1_PKT2_SA_PT3_21rocsparse_index_base_b
	.p2align	8
	.type	_ZN9rocsparseL22csrmvn_adaptive_kernelIllddddEEvbT_PKS1_PjPKT0_NS_24const_host_device_scalarIT4_EES3_S7_PKT1_PKT2_SA_PT3_21rocsparse_index_base_b,@function
_ZN9rocsparseL22csrmvn_adaptive_kernelIllddddEEvbT_PKS1_PjPKT0_NS_24const_host_device_scalarIT4_EES3_S7_PKT1_PKT2_SA_PT3_21rocsparse_index_base_b: ; @_ZN9rocsparseL22csrmvn_adaptive_kernelIllddddEEvbT_PKS1_PjPKT0_NS_24const_host_device_scalarIT4_EES3_S7_PKT1_PKT2_SA_PT3_21rocsparse_index_base_b
; %bb.0:
	s_clause 0x2
	s_load_b64 s[34:35], s[0:1], 0x60
	s_load_b64 s[4:5], s[0:1], 0x28
	;; [unrolled: 1-line block ×3, first 2 shown]
	s_wait_kmcnt 0x0
	s_bitcmp1_b32 s35, 0
	v_dual_mov_b32 v8, s5 :: v_dual_mov_b32 v7, s4
	s_cselect_b32 s6, -1, 0
	s_delay_alu instid0(SALU_CYCLE_1)
	s_and_b32 vcc_lo, exec_lo, s6
	s_xor_b32 s6, s6, -1
	s_cbranch_vccnz .LBB18_2
; %bb.1:
	v_dual_mov_b32 v1, s4 :: v_dual_mov_b32 v2, s5
	flat_load_b64 v[7:8], v[1:2]
.LBB18_2:
	v_dual_mov_b32 v6, s3 :: v_dual_mov_b32 v5, s2
	s_and_not1_b32 vcc_lo, exec_lo, s6
	s_cbranch_vccnz .LBB18_4
; %bb.3:
	v_dual_mov_b32 v1, s2 :: v_dual_mov_b32 v2, s3
	flat_load_b64 v[5:6], v[1:2]
.LBB18_4:
	s_wait_loadcnt_dscnt 0x0
	v_cmp_neq_f64_e32 vcc_lo, 0, v[7:8]
	v_cmp_neq_f64_e64 s2, 1.0, v[5:6]
	s_or_b32 s2, vcc_lo, s2
	s_wait_alu 0xfffe
	s_and_saveexec_b32 s3, s2
	s_cbranch_execz .LBB18_115
; %bb.5:
	s_clause 0x1
	s_load_b64 s[2:3], s[0:1], 0x10
	s_load_b64 s[6:7], s[0:1], 0x20
	s_mov_b32 s38, ttmp9
	s_ashr_i32 s39, ttmp9, 31
	s_delay_alu instid0(SALU_CYCLE_1)
	s_lshl_b64 s[4:5], s[38:39], 3
	s_wait_kmcnt 0x0
	s_wait_alu 0xfffe
	s_add_nc_u64 s[2:3], s[2:3], s[4:5]
	s_load_b128 s[20:23], s[2:3], 0x0
	s_clause 0x1
	s_load_b256 s[12:19], s[0:1], 0x30
	s_load_b64 s[24:25], s[0:1], 0x58
	s_add_nc_u64 s[2:3], s[6:7], s[4:5]
	s_wait_kmcnt 0x0
	s_lshl_b64 s[36:37], s[20:21], 3
	s_delay_alu instid0(SALU_CYCLE_1)
	s_add_nc_u64 s[30:31], s[12:13], s[36:37]
	s_load_b64 s[26:27], s[2:3], 0x0
	s_load_b64 s[28:29], s[30:31], 0x0
	s_sub_nc_u64 s[2:3], s[22:23], s[20:21]
	s_wait_alu 0xfffe
	v_cmp_lt_i64_e64 s4, s[2:3], 2
	s_and_b32 vcc_lo, exec_lo, s4
	s_mov_b32 s4, -1
	s_cbranch_vccz .LBB18_71
; %bb.6:
	s_cmp_lg_u64 s[2:3], 1
	v_cmp_gt_u32_e64 s2, 0x80, v0
	s_cselect_b32 s4, -1, 0
	s_wait_kmcnt 0x0
	s_cmp_lg_u64 s[26:27], 0
	v_cmp_gt_u32_e64 s3, 64, v0
	s_cselect_b32 s5, -1, 0
	v_cmp_gt_u32_e64 s6, 8, v0
	s_wait_alu 0xfffe
	s_or_b32 s5, s4, s5
	v_cmp_gt_u32_e64 s4, 32, v0
	s_wait_alu 0xfffe
	s_and_b32 vcc_lo, exec_lo, s5
	v_cmp_gt_u32_e64 s5, 16, v0
	v_cmp_gt_u32_e64 s7, 4, v0
	;; [unrolled: 1-line block ×3, first 2 shown]
	v_cmp_eq_u32_e64 s9, 0, v0
	s_mov_b32 s10, -1
	s_cbranch_vccnz .LBB18_34
; %bb.7:
	v_cmp_neq_f64_e64 s10, 0, v[5:6]
	v_sub_co_u32 v14, s11, v0, s34
	v_dual_mov_b32 v13, 0 :: v_dual_lshlrev_b32 v16, 3, v0
	v_sub_co_ci_u32_e64 v15, null, 0, 0, s11
	s_mov_b32 s35, 0
	s_mov_b64 s[40:41], s[20:21]
	s_branch .LBB18_10
.LBB18_8:                               ;   in Loop: Header=BB18_10 Depth=1
	s_or_b32 exec_lo, exec_lo, s33
	s_wait_dscnt 0x0
	global_store_b64 v13, v[1:2], s[42:43]
.LBB18_9:                               ;   in Loop: Header=BB18_10 Depth=1
	s_wait_alu 0xfffe
	s_or_b32 exec_lo, exec_lo, s11
	s_add_nc_u64 s[40:41], s[40:41], 1
	s_wait_alu 0xfffe
	v_cmp_ge_i64_e64 s11, s[40:41], s[22:23]
	s_and_b32 vcc_lo, exec_lo, s11
	s_wait_alu 0xfffe
	s_cbranch_vccnz .LBB18_33
.LBB18_10:                              ; =>This Loop Header: Depth=1
                                        ;     Child Loop BB18_12 Depth 2
	s_lshl_b64 s[42:43], s[40:41], 3
	v_mov_b32_e32 v3, 0
	s_add_nc_u64 s[44:45], s[12:13], s[42:43]
	v_mov_b32_e32 v4, 0
	s_load_b128 s[44:47], s[44:45], 0x0
	s_mov_b32 s33, exec_lo
	s_wait_kmcnt 0x0
	v_add_co_u32 v1, vcc_lo, s44, v14
	s_wait_alu 0xfffd
	v_add_co_ci_u32_e64 v2, null, s45, v15, vcc_lo
	s_sub_nc_u64 s[44:45], s[46:47], s[34:35]
	s_wait_alu 0xfffe
	v_cmpx_gt_i64_e64 s[44:45], v[1:2]
	s_cbranch_execz .LBB18_14
; %bb.11:                               ;   in Loop: Header=BB18_10 Depth=1
	v_lshlrev_b64_e32 v[11:12], 3, v[1:2]
	v_mov_b32_e32 v3, 0
	v_mov_b32_e32 v4, 0
	s_mov_b32 s46, 0
	s_delay_alu instid0(VALU_DEP_3)
	v_add_co_u32 v9, vcc_lo, s16, v11
	s_wait_alu 0xfffd
	v_add_co_ci_u32_e64 v10, null, s17, v12, vcc_lo
	v_add_co_u32 v11, vcc_lo, s14, v11
	s_wait_alu 0xfffd
	v_add_co_ci_u32_e64 v12, null, s15, v12, vcc_lo
.LBB18_12:                              ;   Parent Loop BB18_10 Depth=1
                                        ; =>  This Inner Loop Header: Depth=2
	global_load_b64 v[17:18], v[11:12], off
	global_load_b64 v[19:20], v[9:10], off
	v_add_co_u32 v11, s11, 0x800, v11
	s_wait_alu 0xf1ff
	v_add_co_ci_u32_e64 v12, null, 0, v12, s11
	s_wait_loadcnt 0x1
	v_sub_co_u32 v17, vcc_lo, v17, s34
	s_wait_alu 0xfffd
	v_subrev_co_ci_u32_e64 v18, null, 0, v18, vcc_lo
	s_wait_loadcnt 0x0
	v_mul_f64_e32 v[19:20], v[7:8], v[19:20]
	s_delay_alu instid0(VALU_DEP_2) | instskip(NEXT) | instid1(VALU_DEP_1)
	v_lshlrev_b64_e32 v[17:18], 3, v[17:18]
	v_add_co_u32 v17, vcc_lo, s18, v17
	s_wait_alu 0xfffd
	s_delay_alu instid0(VALU_DEP_2)
	v_add_co_ci_u32_e64 v18, null, s19, v18, vcc_lo
	v_add_co_u32 v1, vcc_lo, 0x100, v1
	s_wait_alu 0xfffd
	v_add_co_ci_u32_e64 v2, null, 0, v2, vcc_lo
	global_load_b64 v[17:18], v[17:18], off
	v_add_co_u32 v9, vcc_lo, 0x800, v9
	s_wait_alu 0xfffd
	v_add_co_ci_u32_e64 v10, null, 0, v10, vcc_lo
	v_cmp_le_i64_e32 vcc_lo, s[44:45], v[1:2]
	s_or_b32 s46, vcc_lo, s46
	s_wait_loadcnt 0x0
	v_fma_f64 v[3:4], v[19:20], v[17:18], v[3:4]
	s_and_not1_b32 exec_lo, exec_lo, s46
	s_cbranch_execnz .LBB18_12
; %bb.13:                               ;   in Loop: Header=BB18_10 Depth=1
	s_or_b32 exec_lo, exec_lo, s46
.LBB18_14:                              ;   in Loop: Header=BB18_10 Depth=1
	s_delay_alu instid0(SALU_CYCLE_1)
	s_or_b32 exec_lo, exec_lo, s33
	ds_store_b64 v16, v[3:4]
	s_wait_dscnt 0x0
	s_barrier_signal -1
	s_barrier_wait -1
	global_inv scope:SCOPE_SE
	s_and_saveexec_b32 s11, s2
	s_cbranch_execz .LBB18_16
; %bb.15:                               ;   in Loop: Header=BB18_10 Depth=1
	ds_load_2addr_stride64_b64 v[1:4], v16 offset1:2
	s_wait_dscnt 0x0
	v_add_f64_e32 v[1:2], v[1:2], v[3:4]
	ds_store_b64 v16, v[1:2]
.LBB18_16:                              ;   in Loop: Header=BB18_10 Depth=1
	s_wait_alu 0xfffe
	s_or_b32 exec_lo, exec_lo, s11
	s_wait_loadcnt_dscnt 0x0
	s_barrier_signal -1
	s_barrier_wait -1
	global_inv scope:SCOPE_SE
	s_and_saveexec_b32 s11, s3
	s_cbranch_execz .LBB18_18
; %bb.17:                               ;   in Loop: Header=BB18_10 Depth=1
	ds_load_2addr_stride64_b64 v[1:4], v16 offset1:1
	s_wait_dscnt 0x0
	v_add_f64_e32 v[1:2], v[1:2], v[3:4]
	ds_store_b64 v16, v[1:2]
.LBB18_18:                              ;   in Loop: Header=BB18_10 Depth=1
	s_wait_alu 0xfffe
	s_or_b32 exec_lo, exec_lo, s11
	s_wait_loadcnt_dscnt 0x0
	s_barrier_signal -1
	s_barrier_wait -1
	global_inv scope:SCOPE_SE
	s_and_saveexec_b32 s11, s4
	s_cbranch_execz .LBB18_20
; %bb.19:                               ;   in Loop: Header=BB18_10 Depth=1
	ds_load_2addr_b64 v[1:4], v16 offset1:32
	s_wait_dscnt 0x0
	v_add_f64_e32 v[1:2], v[1:2], v[3:4]
	ds_store_b64 v16, v[1:2]
.LBB18_20:                              ;   in Loop: Header=BB18_10 Depth=1
	s_wait_alu 0xfffe
	s_or_b32 exec_lo, exec_lo, s11
	s_wait_loadcnt_dscnt 0x0
	s_barrier_signal -1
	s_barrier_wait -1
	global_inv scope:SCOPE_SE
	s_and_saveexec_b32 s11, s5
	s_cbranch_execz .LBB18_22
; %bb.21:                               ;   in Loop: Header=BB18_10 Depth=1
	ds_load_2addr_b64 v[1:4], v16 offset1:16
	s_wait_dscnt 0x0
	v_add_f64_e32 v[1:2], v[1:2], v[3:4]
	ds_store_b64 v16, v[1:2]
.LBB18_22:                              ;   in Loop: Header=BB18_10 Depth=1
	;; [unrolled: 14-line block ×5, first 2 shown]
	s_wait_alu 0xfffe
	s_or_b32 exec_lo, exec_lo, s11
	s_wait_loadcnt_dscnt 0x0
	s_barrier_signal -1
	s_barrier_wait -1
	global_inv scope:SCOPE_SE
	s_and_saveexec_b32 s11, s9
	s_cbranch_execz .LBB18_30
; %bb.29:                               ;   in Loop: Header=BB18_10 Depth=1
	ds_load_b128 v[1:4], v13
	s_wait_dscnt 0x0
	v_add_f64_e32 v[1:2], v[1:2], v[3:4]
	ds_store_b64 v13, v[1:2]
.LBB18_30:                              ;   in Loop: Header=BB18_10 Depth=1
	s_wait_alu 0xfffe
	s_or_b32 exec_lo, exec_lo, s11
	s_wait_loadcnt_dscnt 0x0
	s_barrier_signal -1
	s_barrier_wait -1
	global_inv scope:SCOPE_SE
	s_and_saveexec_b32 s11, s9
	s_cbranch_execz .LBB18_9
; %bb.31:                               ;   in Loop: Header=BB18_10 Depth=1
	ds_load_b64 v[1:2], v13
	s_add_nc_u64 s[42:43], s[24:25], s[42:43]
	s_and_saveexec_b32 s33, s10
	s_cbranch_execz .LBB18_8
; %bb.32:                               ;   in Loop: Header=BB18_10 Depth=1
	global_load_b64 v[3:4], v13, s[42:43]
	s_wait_loadcnt_dscnt 0x0
	v_fma_f64 v[1:2], v[5:6], v[3:4], v[1:2]
	s_branch .LBB18_8
.LBB18_33:
	s_mov_b32 s10, 0
.LBB18_34:
	s_wait_alu 0xfffe
	s_and_b32 vcc_lo, exec_lo, s10
	s_wait_alu 0xfffe
	s_cbranch_vccz .LBB18_70
; %bb.35:
	s_load_b64 s[6:7], s[0:1], 0x18
	v_mov_b32_e32 v3, 0
	s_lshl_b64 s[2:3], s[38:39], 2
	v_mov_b32_e32 v1, 0
	v_mov_b32_e32 v2, 0
	s_cmp_lg_u64 s[26:27], 0
	v_cmp_eq_u32_e32 vcc_lo, 0, v0
	s_cselect_b32 s33, -1, 0
	s_cmp_eq_u64 s[26:27], 0
	s_sub_nc_u64 s[8:9], s[38:39], s[26:27]
	s_mov_b32 s35, 0
	s_wait_kmcnt 0x0
	s_wait_alu 0xfffe
	s_add_nc_u64 s[4:5], s[6:7], s[2:3]
	s_cselect_b32 s2, -1, 0
	global_load_b32 v13, v3, s[4:5]
	s_wait_alu 0xfffe
	s_and_b32 s2, vcc_lo, s2
	s_wait_alu 0xfffe
	s_and_saveexec_b32 s3, s2
	s_cbranch_execz .LBB18_39
; %bb.36:
	s_add_nc_u64 s[38:39], s[24:25], s[36:37]
	s_mov_b32 s10, exec_lo
	global_load_b64 v[1:2], v3, s[38:39]
	v_add_f64_e32 v[3:4], -1.0, v[5:6]
	s_wait_alu 0xfffe
	v_mbcnt_lo_u32_b32 v9, s10, 0
	s_mov_b32 s11, exec_lo
	s_wait_loadcnt 0x0
	s_wait_storecnt 0x0
	global_inv scope:SCOPE_DEV
	v_cmpx_eq_u32_e32 0, v9
	s_cbranch_execz .LBB18_38
; %bb.37:
	s_bcnt1_i32_b32 s2, s10
	s_lshl_b64 s[38:39], s[8:9], 2
	s_wait_alu 0xfffe
	s_and_b32 s2, s2, 1
	s_wait_alu 0xfffe
	v_dual_mov_b32 v9, 0 :: v_dual_mov_b32 v10, s2
	s_add_nc_u64 s[38:39], s[6:7], s[38:39]
	global_atomic_xor_b32 v9, v10, s[38:39] scope:SCOPE_DEV
.LBB18_38:
	s_wait_alu 0xfffe
	s_or_b32 exec_lo, exec_lo, s11
	v_mul_f64_e32 v[1:2], v[3:4], v[1:2]
.LBB18_39:
	s_wait_alu 0xfffe
	s_or_b32 exec_lo, exec_lo, s3
	s_load_b64 s[2:3], s[30:31], 0x8
	s_mul_u64 s[10:11], s[26:27], 0xc00
	s_sub_nc_u64 s[38:39], s[28:29], s[34:35]
	s_wait_alu 0xfffe
	s_add_nc_u64 s[38:39], s[38:39], s[10:11]
	s_delay_alu instid0(SALU_CYCLE_1)
	v_add_co_u32 v3, s10, s38, v0
	s_wait_alu 0xf1ff
	v_add_co_ci_u32_e64 v4, null, s39, 0, s10
	s_wait_kmcnt 0x0
	s_sub_nc_u64 s[10:11], s[2:3], s[34:35]
	s_mov_b32 s35, exec_lo
	s_wait_alu 0xfffe
	v_cmpx_gt_i64_e64 s[10:11], v[3:4]
	s_cbranch_execz .LBB18_43
; %bb.40:
	v_lshlrev_b64_e32 v[11:12], 3, v[3:4]
	s_add_nc_u64 s[38:39], s[38:39], 0xc00
	s_wait_alu 0xfffe
	v_cmp_lt_i64_e64 s3, s[38:39], s[10:11]
	s_delay_alu instid0(VALU_DEP_2)
	v_add_co_u32 v9, s2, s16, v11
	s_wait_alu 0xf1ff
	v_add_co_ci_u32_e64 v10, null, s17, v12, s2
	s_and_b32 s2, s3, exec_lo
	v_add_co_u32 v11, s2, s14, v11
	s_wait_alu 0xf1fe
	v_add_co_ci_u32_e64 v12, null, s15, v12, s2
	s_cselect_b32 s11, s39, s11
	s_cselect_b32 s10, s38, s10
	s_mov_b32 s38, 0
.LBB18_41:                              ; =>This Inner Loop Header: Depth=1
	global_load_b64 v[14:15], v[11:12], off
	global_load_b64 v[16:17], v[9:10], off
	v_add_co_u32 v11, s3, 0x800, v11
	s_wait_alu 0xf1ff
	v_add_co_ci_u32_e64 v12, null, 0, v12, s3
	s_wait_loadcnt 0x1
	v_sub_co_u32 v14, s2, v14, s34
	s_wait_alu 0xf1ff
	v_subrev_co_ci_u32_e64 v15, null, 0, v15, s2
	s_wait_loadcnt 0x0
	v_mul_f64_e32 v[16:17], v[7:8], v[16:17]
	s_delay_alu instid0(VALU_DEP_2) | instskip(NEXT) | instid1(VALU_DEP_1)
	v_lshlrev_b64_e32 v[14:15], 3, v[14:15]
	v_add_co_u32 v14, s2, s18, v14
	s_wait_alu 0xf1ff
	s_delay_alu instid0(VALU_DEP_2)
	v_add_co_ci_u32_e64 v15, null, s19, v15, s2
	v_add_co_u32 v3, s2, 0x100, v3
	s_wait_alu 0xf1ff
	v_add_co_ci_u32_e64 v4, null, 0, v4, s2
	global_load_b64 v[14:15], v[14:15], off
	v_add_co_u32 v9, s2, 0x800, v9
	s_wait_alu 0xf1ff
	v_add_co_ci_u32_e64 v10, null, 0, v10, s2
	s_wait_alu 0xfffe
	v_cmp_le_i64_e64 s2, s[10:11], v[3:4]
	s_or_b32 s38, s2, s38
	s_wait_loadcnt 0x0
	v_fma_f64 v[1:2], v[16:17], v[14:15], v[1:2]
	s_wait_alu 0xfffe
	s_and_not1_b32 exec_lo, exec_lo, s38
	s_cbranch_execnz .LBB18_41
; %bb.42:
	s_or_b32 exec_lo, exec_lo, s38
.LBB18_43:
	s_delay_alu instid0(SALU_CYCLE_1)
	s_or_b32 exec_lo, exec_lo, s35
	v_lshlrev_b32_e32 v3, 3, v0
	s_mov_b32 s3, exec_lo
	ds_store_b64 v3, v[1:2]
	s_wait_storecnt 0x0
	s_wait_loadcnt_dscnt 0x0
	s_barrier_signal -1
	s_barrier_wait -1
	global_inv scope:SCOPE_SE
	v_cmpx_gt_u32_e32 0x80, v0
	s_cbranch_execz .LBB18_45
; %bb.44:
	ds_load_2addr_stride64_b64 v[9:12], v3 offset1:2
	s_wait_dscnt 0x0
	v_add_f64_e32 v[1:2], v[9:10], v[11:12]
	ds_store_b64 v3, v[1:2]
.LBB18_45:
	s_wait_alu 0xfffe
	s_or_b32 exec_lo, exec_lo, s3
	s_delay_alu instid0(SALU_CYCLE_1)
	s_mov_b32 s3, exec_lo
	s_wait_loadcnt_dscnt 0x0
	s_barrier_signal -1
	s_barrier_wait -1
	global_inv scope:SCOPE_SE
	v_cmpx_gt_u32_e32 64, v0
	s_cbranch_execz .LBB18_47
; %bb.46:
	ds_load_2addr_stride64_b64 v[9:12], v3 offset1:1
	s_wait_dscnt 0x0
	v_add_f64_e32 v[1:2], v[9:10], v[11:12]
	ds_store_b64 v3, v[1:2]
.LBB18_47:
	s_wait_alu 0xfffe
	s_or_b32 exec_lo, exec_lo, s3
	s_delay_alu instid0(SALU_CYCLE_1)
	s_mov_b32 s3, exec_lo
	s_wait_loadcnt_dscnt 0x0
	s_barrier_signal -1
	s_barrier_wait -1
	global_inv scope:SCOPE_SE
	v_cmpx_gt_u32_e32 32, v0
	s_cbranch_execz .LBB18_49
; %bb.48:
	ds_load_2addr_b64 v[9:12], v3 offset1:32
	s_wait_dscnt 0x0
	v_add_f64_e32 v[1:2], v[9:10], v[11:12]
	ds_store_b64 v3, v[1:2]
.LBB18_49:
	s_wait_alu 0xfffe
	s_or_b32 exec_lo, exec_lo, s3
	s_delay_alu instid0(SALU_CYCLE_1)
	s_mov_b32 s3, exec_lo
	s_wait_loadcnt_dscnt 0x0
	s_barrier_signal -1
	s_barrier_wait -1
	global_inv scope:SCOPE_SE
	v_cmpx_gt_u32_e32 16, v0
	s_cbranch_execz .LBB18_51
; %bb.50:
	ds_load_2addr_b64 v[9:12], v3 offset1:16
	s_wait_dscnt 0x0
	v_add_f64_e32 v[1:2], v[9:10], v[11:12]
	ds_store_b64 v3, v[1:2]
.LBB18_51:
	s_wait_alu 0xfffe
	s_or_b32 exec_lo, exec_lo, s3
	s_delay_alu instid0(SALU_CYCLE_1)
	s_mov_b32 s3, exec_lo
	s_wait_loadcnt_dscnt 0x0
	s_barrier_signal -1
	s_barrier_wait -1
	global_inv scope:SCOPE_SE
	v_cmpx_gt_u32_e32 8, v0
	s_cbranch_execz .LBB18_53
; %bb.52:
	ds_load_2addr_b64 v[9:12], v3 offset1:8
	s_wait_dscnt 0x0
	v_add_f64_e32 v[1:2], v[9:10], v[11:12]
	ds_store_b64 v3, v[1:2]
.LBB18_53:
	s_wait_alu 0xfffe
	s_or_b32 exec_lo, exec_lo, s3
	s_delay_alu instid0(SALU_CYCLE_1)
	s_mov_b32 s3, exec_lo
	s_wait_loadcnt_dscnt 0x0
	s_barrier_signal -1
	s_barrier_wait -1
	global_inv scope:SCOPE_SE
	v_cmpx_gt_u32_e32 4, v0
	s_cbranch_execz .LBB18_55
; %bb.54:
	ds_load_2addr_b64 v[9:12], v3 offset1:4
	s_wait_dscnt 0x0
	v_add_f64_e32 v[1:2], v[9:10], v[11:12]
	ds_store_b64 v3, v[1:2]
.LBB18_55:
	s_wait_alu 0xfffe
	s_or_b32 exec_lo, exec_lo, s3
	s_delay_alu instid0(SALU_CYCLE_1)
	s_mov_b32 s3, exec_lo
	s_wait_loadcnt_dscnt 0x0
	s_barrier_signal -1
	s_barrier_wait -1
	global_inv scope:SCOPE_SE
	v_cmpx_gt_u32_e32 2, v0
	s_cbranch_execz .LBB18_57
; %bb.56:
	ds_load_2addr_b64 v[9:12], v3 offset1:2
	s_wait_dscnt 0x0
	v_add_f64_e32 v[1:2], v[9:10], v[11:12]
	ds_store_b64 v3, v[1:2]
.LBB18_57:
	s_wait_alu 0xfffe
	s_or_b32 exec_lo, exec_lo, s3
	s_wait_loadcnt_dscnt 0x0
	s_barrier_signal -1
	s_barrier_wait -1
	global_inv scope:SCOPE_SE
	s_and_saveexec_b32 s2, vcc_lo
	s_cbranch_execz .LBB18_59
; %bb.58:
	v_mov_b32_e32 v9, 0
	ds_load_b128 v[1:4], v9
	s_wait_dscnt 0x0
	v_add_f64_e32 v[1:2], v[1:2], v[3:4]
	ds_store_b64 v9, v[1:2]
.LBB18_59:
	s_wait_alu 0xfffe
	s_or_b32 exec_lo, exec_lo, s2
	s_wait_loadcnt_dscnt 0x0
	s_barrier_signal -1
	s_barrier_wait -1
	global_inv scope:SCOPE_SE
	s_and_saveexec_b32 s10, vcc_lo
	s_cbranch_execz .LBB18_69
; %bb.60:
	s_and_not1_b32 vcc_lo, exec_lo, s33
	s_wait_alu 0xfffe
	s_cbranch_vccnz .LBB18_66
; %bb.61:
	v_mov_b32_e32 v1, 0
	s_lshl_b64 s[2:3], s[8:9], 2
	s_wait_alu 0xfffe
	s_add_nc_u64 s[2:3], s[6:7], s[2:3]
	s_branch .LBB18_63
.LBB18_62:                              ;   in Loop: Header=BB18_63 Depth=1
	s_wait_alu 0xfffe
	s_or_b32 exec_lo, exec_lo, s6
	s_wait_loadcnt 0x0
	v_readfirstlane_b32 s6, v2
	s_wait_alu 0xf1ff
	s_delay_alu instid0(VALU_DEP_1)
	v_cmp_eq_u32_e32 vcc_lo, s6, v13
	s_cbranch_vccz .LBB18_65
.LBB18_63:                              ; =>This Inner Loop Header: Depth=1
	v_mbcnt_lo_u32_b32 v2, exec_lo, 0
	s_delay_alu instid0(VALU_DEP_1)
	v_cmp_eq_u32_e32 vcc_lo, 0, v2
                                        ; implicit-def: $vgpr2
	s_and_saveexec_b32 s6, vcc_lo
	s_cbranch_execz .LBB18_62
; %bb.64:                               ;   in Loop: Header=BB18_63 Depth=1
	global_load_b32 v2, v1, s[2:3] scope:SCOPE_DEV
	s_branch .LBB18_62
.LBB18_65:
	v_mov_b32_e32 v1, 0
	global_load_u16 v2, v1, s[4:5]
	s_wait_loadcnt 0x0
	v_xor_b32_e32 v2, 1, v2
	global_store_b16 v1, v2, s[4:5]
.LBB18_66:
	s_mov_b32 s5, exec_lo
	s_mov_b32 s4, 0
	s_wait_alu 0xfffe
	v_mbcnt_lo_u32_b32 v1, s5, 0
	s_delay_alu instid0(VALU_DEP_1)
	v_cmp_eq_u32_e32 vcc_lo, 0, v1
	s_and_b32 s2, exec_lo, vcc_lo
	s_wait_alu 0xfffe
	s_mov_b32 exec_lo, s2
	s_cbranch_execz .LBB18_69
; %bb.67:
	v_mov_b32_e32 v11, 0
	s_add_nc_u64 s[2:3], s[24:25], s[36:37]
	s_bcnt1_i32_b32 s5, s5
	s_wait_alu 0xfffe
	v_cvt_f64_u32_e32 v[1:2], s5
	global_load_b64 v[3:4], v11, s[2:3]
	ds_load_b64 v[9:10], v11
	s_wait_dscnt 0x0
	v_mul_f64_e32 v[9:10], v[9:10], v[1:2]
.LBB18_68:                              ; =>This Inner Loop Header: Depth=1
	s_wait_loadcnt 0x0
	s_delay_alu instid0(VALU_DEP_1)
	v_add_f64_e32 v[1:2], v[3:4], v[9:10]
	global_atomic_cmpswap_b64 v[1:2], v11, v[1:4], s[2:3] th:TH_ATOMIC_RETURN scope:SCOPE_DEV
	s_wait_loadcnt 0x0
	v_cmp_eq_u64_e32 vcc_lo, v[1:2], v[3:4]
	v_dual_mov_b32 v4, v2 :: v_dual_mov_b32 v3, v1
	s_or_b32 s4, vcc_lo, s4
	s_wait_alu 0xfffe
	s_and_not1_b32 exec_lo, exec_lo, s4
	s_cbranch_execnz .LBB18_68
.LBB18_69:
	s_wait_alu 0xfffe
	s_or_b32 exec_lo, exec_lo, s10
.LBB18_70:
	s_mov_b32 s4, 0
.LBB18_71:
	s_wait_alu 0xfffe
	s_and_not1_b32 vcc_lo, exec_lo, s4
	s_wait_alu 0xfffe
	s_cbranch_vccnz .LBB18_115
; %bb.72:
	s_load_b64 s[0:1], s[0:1], 0x8
	v_sub_co_u32 v1, s2, v0, s34
	s_wait_alu 0xf1ff
	v_sub_co_ci_u32_e64 v2, null, 0, 0, s2
	s_mov_b32 s35, 0
	s_wait_kmcnt 0x0
	v_add_co_u32 v1, vcc_lo, s28, v1
	s_wait_alu 0xfffd
	v_add_co_ci_u32_e64 v2, null, s29, v2, vcc_lo
	s_delay_alu instid0(VALU_DEP_2) | instskip(SKIP_1) | instid1(VALU_DEP_2)
	v_add_co_u32 v3, vcc_lo, 0x300, v1
	s_wait_alu 0xfffd
	v_add_co_ci_u32_e64 v4, null, 0, v2, vcc_lo
	s_delay_alu instid0(VALU_DEP_1)
	v_cmp_le_i64_e32 vcc_lo, s[0:1], v[3:4]
	s_and_saveexec_b32 s0, vcc_lo
	s_wait_alu 0xfffe
	s_xor_b32 s1, exec_lo, s0
	s_cbranch_execz .LBB18_77
; %bb.73:
	s_lshl_b64 s[2:3], s[22:23], 3
	s_mov_b32 s4, exec_lo
	s_wait_alu 0xfffe
	s_add_nc_u64 s[2:3], s[12:13], s[2:3]
	s_load_b64 s[2:3], s[2:3], 0x0
	s_wait_kmcnt 0x0
	s_sub_nc_u64 s[2:3], s[2:3], s[34:35]
	s_wait_alu 0xfffe
	v_cmpx_gt_i64_e64 s[2:3], v[1:2]
	s_cbranch_execz .LBB18_76
; %bb.74:
	v_lshlrev_b64_e32 v[9:10], 3, v[1:2]
	v_lshlrev_b32_e32 v11, 3, v0
	s_mov_b32 s5, 0
	s_delay_alu instid0(VALU_DEP_2) | instskip(SKIP_1) | instid1(VALU_DEP_3)
	v_add_co_u32 v3, vcc_lo, s16, v9
	s_wait_alu 0xfffd
	v_add_co_ci_u32_e64 v4, null, s17, v10, vcc_lo
	v_add_co_u32 v9, vcc_lo, s14, v9
	s_wait_alu 0xfffd
	v_add_co_ci_u32_e64 v10, null, s15, v10, vcc_lo
.LBB18_75:                              ; =>This Inner Loop Header: Depth=1
	global_load_b64 v[12:13], v[9:10], off
	global_load_b64 v[14:15], v[3:4], off
	s_wait_loadcnt 0x1
	v_sub_co_u32 v12, vcc_lo, v12, s34
	s_wait_alu 0xfffd
	v_subrev_co_ci_u32_e64 v13, null, 0, v13, vcc_lo
	s_wait_loadcnt 0x0
	v_mul_f64_e32 v[14:15], v[7:8], v[14:15]
	s_delay_alu instid0(VALU_DEP_2) | instskip(NEXT) | instid1(VALU_DEP_1)
	v_lshlrev_b64_e32 v[12:13], 3, v[12:13]
	v_add_co_u32 v12, vcc_lo, s18, v12
	s_wait_alu 0xfffd
	s_delay_alu instid0(VALU_DEP_2)
	v_add_co_ci_u32_e64 v13, null, s19, v13, vcc_lo
	v_add_co_u32 v1, vcc_lo, 0x100, v1
	s_wait_alu 0xfffd
	v_add_co_ci_u32_e64 v2, null, 0, v2, vcc_lo
	global_load_b64 v[12:13], v[12:13], off
	v_add_co_u32 v3, vcc_lo, 0x800, v3
	v_cmp_le_i64_e64 s0, s[2:3], v[1:2]
	s_wait_alu 0xfffd
	v_add_co_ci_u32_e64 v4, null, 0, v4, vcc_lo
	v_add_co_u32 v9, vcc_lo, 0x800, v9
	s_wait_alu 0xfffd
	v_add_co_ci_u32_e64 v10, null, 0, v10, vcc_lo
	s_wait_alu 0xfffe
	s_or_b32 s5, s0, s5
	s_wait_loadcnt 0x0
	v_mul_f64_e32 v[12:13], v[14:15], v[12:13]
	ds_store_b64 v11, v[12:13]
	v_add_nc_u32_e32 v11, 0x800, v11
	s_wait_alu 0xfffe
	s_and_not1_b32 exec_lo, exec_lo, s5
	s_cbranch_execnz .LBB18_75
.LBB18_76:
	s_or_b32 exec_lo, exec_lo, s4
                                        ; implicit-def: $vgpr1_vgpr2
                                        ; implicit-def: $vgpr7_vgpr8
.LBB18_77:
	s_wait_alu 0xfffe
	s_or_saveexec_b32 s0, s1
	v_lshlrev_b32_e32 v15, 3, v0
	s_wait_alu 0xfffe
	s_xor_b32 exec_lo, exec_lo, s0
	s_cbranch_execz .LBB18_79
; %bb.78:
	v_lshlrev_b64_e32 v[1:2], 3, v[1:2]
	s_delay_alu instid0(VALU_DEP_1) | instskip(SKIP_1) | instid1(VALU_DEP_2)
	v_add_co_u32 v3, vcc_lo, s14, v1
	s_wait_alu 0xfffd
	v_add_co_ci_u32_e64 v4, null, s15, v2, vcc_lo
	v_add_co_u32 v1, vcc_lo, s16, v1
	s_wait_alu 0xfffd
	v_add_co_ci_u32_e64 v2, null, s17, v2, vcc_lo
	s_clause 0x3
	global_load_b64 v[9:10], v[3:4], off
	global_load_b64 v[11:12], v[3:4], off offset:2048
	global_load_b64 v[13:14], v[3:4], off offset:4096
	;; [unrolled: 1-line block ×3, first 2 shown]
	s_clause 0x3
	global_load_b64 v[16:17], v[1:2], off
	global_load_b64 v[18:19], v[1:2], off offset:2048
	global_load_b64 v[20:21], v[1:2], off offset:4096
	;; [unrolled: 1-line block ×3, first 2 shown]
	s_wait_loadcnt 0x7
	v_sub_co_u32 v9, vcc_lo, v9, s34
	s_wait_alu 0xfffd
	v_subrev_co_ci_u32_e64 v10, null, 0, v10, vcc_lo
	s_wait_loadcnt 0x6
	v_sub_co_u32 v11, vcc_lo, v11, s34
	s_wait_alu 0xfffd
	v_subrev_co_ci_u32_e64 v12, null, 0, v12, vcc_lo
	;; [unrolled: 4-line block ×3, first 2 shown]
	s_wait_loadcnt 0x4
	v_sub_co_u32 v3, vcc_lo, v3, s34
	v_lshlrev_b64_e32 v[9:10], 3, v[9:10]
	s_wait_alu 0xfffd
	v_subrev_co_ci_u32_e64 v4, null, 0, v4, vcc_lo
	v_lshlrev_b64_e32 v[11:12], 3, v[11:12]
	v_lshlrev_b64_e32 v[13:14], 3, v[13:14]
	s_wait_loadcnt 0x3
	v_mul_f64_e32 v[16:17], v[7:8], v[16:17]
	v_lshlrev_b64_e32 v[3:4], 3, v[3:4]
	v_add_co_u32 v9, vcc_lo, s18, v9
	s_wait_alu 0xfffd
	v_add_co_ci_u32_e64 v10, null, s19, v10, vcc_lo
	v_add_co_u32 v11, vcc_lo, s18, v11
	s_wait_alu 0xfffd
	v_add_co_ci_u32_e64 v12, null, s19, v12, vcc_lo
	;; [unrolled: 3-line block ×4, first 2 shown]
	s_clause 0x3
	global_load_b64 v[9:10], v[9:10], off
	global_load_b64 v[11:12], v[11:12], off
	global_load_b64 v[13:14], v[13:14], off
	global_load_b64 v[3:4], v[3:4], off
	s_wait_loadcnt 0x6
	v_mul_f64_e32 v[18:19], v[7:8], v[18:19]
	s_wait_loadcnt 0x5
	v_mul_f64_e32 v[20:21], v[7:8], v[20:21]
	;; [unrolled: 2-line block ×4, first 2 shown]
	s_wait_loadcnt 0x2
	s_delay_alu instid0(VALU_DEP_4) | instskip(SKIP_1) | instid1(VALU_DEP_4)
	v_mul_f64_e32 v[9:10], v[18:19], v[11:12]
	s_wait_loadcnt 0x1
	v_mul_f64_e32 v[11:12], v[20:21], v[13:14]
	s_wait_loadcnt 0x0
	s_delay_alu instid0(VALU_DEP_4)
	v_mul_f64_e32 v[1:2], v[1:2], v[3:4]
	ds_store_2addr_stride64_b64 v15, v[7:8], v[9:10] offset1:4
	ds_store_2addr_stride64_b64 v15, v[11:12], v[1:2] offset0:8 offset1:12
.LBB18_79:
	s_or_b32 exec_lo, exec_lo, s0
	v_cmp_lt_i64_e64 s0, s[26:27], 2
	s_wait_storecnt 0x0
	s_wait_loadcnt_dscnt 0x0
	s_barrier_signal -1
	s_barrier_wait -1
	global_inv scope:SCOPE_SE
	s_and_b32 vcc_lo, exec_lo, s0
	s_mov_b32 s0, -1
	s_wait_alu 0xfffe
	s_cbranch_vccz .LBB18_90
; %bb.80:
	v_add_co_u32 v7, s0, s20, v0
	s_wait_alu 0xf1ff
	v_add_co_ci_u32_e64 v8, null, s21, 0, s0
	s_mov_b32 s2, exec_lo
	v_cmpx_gt_i64_e64 s[22:23], v[7:8]
	s_cbranch_execz .LBB18_89
; %bb.81:
	s_lshl_b32 s0, s28, 3
	s_mov_b32 s3, 0
	s_wait_alu 0xfffe
	s_sub_co_i32 s4, 0, s0
	v_cmp_neq_f64_e32 vcc_lo, 0, v[5:6]
	s_branch .LBB18_83
.LBB18_82:                              ;   in Loop: Header=BB18_83 Depth=1
	s_wait_alu 0xfffe
	s_or_b32 exec_lo, exec_lo, s1
	v_add_co_u32 v7, s0, 0x100, v7
	s_wait_alu 0xf1ff
	v_add_co_ci_u32_e64 v8, null, 0, v8, s0
	v_add_co_u32 v1, s1, s24, v9
	s_wait_alu 0xf1ff
	v_add_co_ci_u32_e64 v2, null, s25, v10, s1
	s_delay_alu instid0(VALU_DEP_3)
	v_cmp_le_i64_e64 s0, s[22:23], v[7:8]
	global_store_b64 v[1:2], v[11:12], off
	s_or_b32 s3, s0, s3
	s_wait_alu 0xfffe
	s_and_not1_b32 exec_lo, exec_lo, s3
	s_cbranch_execz .LBB18_89
.LBB18_83:                              ; =>This Loop Header: Depth=1
                                        ;     Child Loop BB18_85 Depth 2
	v_lshlrev_b64_e32 v[9:10], 3, v[7:8]
	v_mov_b32_e32 v11, 0
	v_mov_b32_e32 v12, 0
	s_mov_b32 s1, exec_lo
	s_delay_alu instid0(VALU_DEP_3)
	v_add_co_u32 v1, s0, s12, v9
	s_wait_alu 0xf1ff
	v_add_co_ci_u32_e64 v2, null, s13, v10, s0
	global_load_b128 v[1:4], v[1:2], off
	s_wait_loadcnt 0x0
	v_cmpx_lt_i64_e64 v[1:2], v[3:4]
	s_cbranch_execz .LBB18_87
; %bb.84:                               ;   in Loop: Header=BB18_83 Depth=1
	v_sub_co_u32 v3, s0, v3, s28
	s_wait_alu 0xf1ff
	v_subrev_co_ci_u32_e64 v4, null, s29, v4, s0
	v_sub_co_u32 v13, s0, v1, s28
	v_mov_b32_e32 v11, 0
	s_wait_alu 0xf1ff
	v_subrev_co_ci_u32_e64 v14, null, s29, v2, s0
	v_mov_b32_e32 v12, 0
	s_wait_alu 0xfffe
	v_lshl_add_u32 v1, v1, 3, s4
	s_mov_b32 s5, 0
.LBB18_85:                              ;   Parent Loop BB18_83 Depth=1
                                        ; =>  This Inner Loop Header: Depth=2
	ds_load_b64 v[16:17], v1
	v_add_co_u32 v13, s0, v13, 1
	s_wait_alu 0xf1ff
	v_add_co_ci_u32_e64 v14, null, 0, v14, s0
	v_add_nc_u32_e32 v1, 8, v1
	s_delay_alu instid0(VALU_DEP_2)
	v_cmp_ge_i64_e64 s0, v[13:14], v[3:4]
	s_wait_alu 0xfffe
	s_or_b32 s5, s0, s5
	s_wait_dscnt 0x0
	v_add_f64_e32 v[11:12], v[11:12], v[16:17]
	s_wait_alu 0xfffe
	s_and_not1_b32 exec_lo, exec_lo, s5
	s_cbranch_execnz .LBB18_85
; %bb.86:                               ;   in Loop: Header=BB18_83 Depth=1
	s_or_b32 exec_lo, exec_lo, s5
.LBB18_87:                              ;   in Loop: Header=BB18_83 Depth=1
	s_wait_alu 0xfffe
	s_or_b32 exec_lo, exec_lo, s1
	s_and_saveexec_b32 s1, vcc_lo
	s_cbranch_execz .LBB18_82
; %bb.88:                               ;   in Loop: Header=BB18_83 Depth=1
	v_add_co_u32 v1, s0, s24, v9
	s_wait_alu 0xf1ff
	v_add_co_ci_u32_e64 v2, null, s25, v10, s0
	global_load_b64 v[1:2], v[1:2], off
	s_wait_loadcnt 0x0
	v_fma_f64 v[11:12], v[5:6], v[1:2], v[11:12]
	s_branch .LBB18_82
.LBB18_89:
	s_wait_alu 0xfffe
	s_or_b32 exec_lo, exec_lo, s2
	s_mov_b32 s0, 0
.LBB18_90:
	s_wait_alu 0xfffe
	s_and_not1_b32 vcc_lo, exec_lo, s0
	s_wait_alu 0xfffe
	s_cbranch_vccnz .LBB18_115
; %bb.91:
	s_clz_i32_u32 s0, s26
	s_add_co_i32 s1, s26, -1
	s_wait_alu 0xfffe
	s_min_u32 s0, s0, 32
	v_dual_mov_b32 v4, 0 :: v_dual_mov_b32 v7, 0
	s_wait_alu 0xfffe
	s_sub_co_i32 s0, 31, s0
	v_dual_mov_b32 v8, 0 :: v_dual_and_b32 v3, s1, v0
	s_wait_alu 0xfffe
	v_lshrrev_b32_e32 v9, s0, v0
	s_mov_b32 s1, exec_lo
	s_delay_alu instid0(VALU_DEP_1) | instskip(SKIP_2) | instid1(VALU_DEP_1)
	v_add_co_u32 v1, s0, s20, v9
	s_wait_alu 0xf1ff
	v_add_co_ci_u32_e64 v2, null, s21, 0, s0
	v_cmp_le_i64_e64 s0, s[22:23], v[1:2]
	v_cmpx_gt_i64_e64 s[22:23], v[1:2]
	s_cbranch_execz .LBB18_97
; %bb.92:
	v_lshlrev_b32_e32 v0, 3, v9
	global_load_b128 v[7:10], v0, s[30:31]
	v_sub_co_u32 v0, s2, v3, s28
	s_wait_alu 0xf1ff
	v_sub_co_ci_u32_e64 v12, null, 0, s29, s2
	s_mov_b32 s2, exec_lo
	s_wait_loadcnt 0x0
	v_sub_co_u32 v9, vcc_lo, v9, s28
	s_wait_alu 0xfffd
	v_subrev_co_ci_u32_e64 v10, null, s29, v10, vcc_lo
	v_add_co_u32 v11, vcc_lo, v7, v0
	s_wait_alu 0xfffd
	v_add_co_ci_u32_e64 v12, null, v8, v12, vcc_lo
	v_mov_b32_e32 v7, 0
	v_mov_b32_e32 v8, 0
	s_delay_alu instid0(VALU_DEP_3)
	v_cmpx_lt_i64_e64 v[11:12], v[9:10]
	s_cbranch_execz .LBB18_96
; %bb.93:
	v_dual_mov_b32 v7, 0 :: v_dual_lshlrev_b32 v0, 3, v11
	v_mov_b32_e32 v8, 0
	s_lshl_b32 s4, s26, 3
	s_mov_b32 s3, 0
.LBB18_94:                              ; =>This Inner Loop Header: Depth=1
	ds_load_b64 v[13:14], v0
	v_add_co_u32 v11, vcc_lo, v11, s26
	s_wait_alu 0xfffd
	v_add_co_ci_u32_e64 v12, null, s27, v12, vcc_lo
	s_wait_alu 0xfffe
	v_add_nc_u32_e32 v0, s4, v0
	s_delay_alu instid0(VALU_DEP_2)
	v_cmp_ge_i64_e32 vcc_lo, v[11:12], v[9:10]
	s_or_b32 s3, vcc_lo, s3
	s_wait_dscnt 0x0
	v_add_f64_e32 v[7:8], v[7:8], v[13:14]
	s_wait_alu 0xfffe
	s_and_not1_b32 exec_lo, exec_lo, s3
	s_cbranch_execnz .LBB18_94
; %bb.95:
	s_or_b32 exec_lo, exec_lo, s3
.LBB18_96:
	s_wait_alu 0xfffe
	s_or_b32 exec_lo, exec_lo, s2
.LBB18_97:
	s_wait_alu 0xfffe
	s_or_b32 exec_lo, exec_lo, s1
	v_cmp_gt_u64_e64 s1, 0x81, s[26:27]
	s_wait_loadcnt 0x0
	s_wait_storecnt 0x0
	s_barrier_signal -1
	s_barrier_wait -1
	global_inv scope:SCOPE_SE
	ds_store_b64 v15, v[7:8]
	s_and_b32 vcc_lo, exec_lo, s1
	s_wait_loadcnt_dscnt 0x0
	s_barrier_signal -1
	s_barrier_wait -1
	global_inv scope:SCOPE_SE
	s_wait_alu 0xfffe
	s_cbranch_vccnz .LBB18_99
; %bb.98:
	ds_load_b64 v[9:10], v15 offset:1024
	s_wait_loadcnt_dscnt 0x0
	s_barrier_signal -1
	s_barrier_wait -1
	global_inv scope:SCOPE_SE
	v_add_f64_e32 v[7:8], v[7:8], v[9:10]
	ds_store_b64 v15, v[7:8]
.LBB18_99:
	v_cmp_gt_u64_e64 s1, 0x41, s[26:27]
	s_wait_loadcnt_dscnt 0x0
	s_barrier_signal -1
	s_barrier_wait -1
	global_inv scope:SCOPE_SE
	s_and_b32 vcc_lo, exec_lo, s1
	s_wait_alu 0xfffe
	s_cbranch_vccnz .LBB18_101
; %bb.100:
	ds_load_b64 v[9:10], v15 offset:512
	s_wait_loadcnt_dscnt 0x0
	s_barrier_signal -1
	s_barrier_wait -1
	global_inv scope:SCOPE_SE
	v_add_f64_e32 v[7:8], v[7:8], v[9:10]
	ds_store_b64 v15, v[7:8]
.LBB18_101:
	v_cmp_lt_u64_e64 s1, s[26:27], 33
	s_wait_loadcnt_dscnt 0x0
	s_barrier_signal -1
	s_barrier_wait -1
	global_inv scope:SCOPE_SE
	s_and_b32 vcc_lo, exec_lo, s1
	s_wait_alu 0xfffe
	s_cbranch_vccnz .LBB18_103
; %bb.102:
	ds_load_b64 v[9:10], v15 offset:256
	s_wait_loadcnt_dscnt 0x0
	s_barrier_signal -1
	s_barrier_wait -1
	global_inv scope:SCOPE_SE
	v_add_f64_e32 v[7:8], v[7:8], v[9:10]
	ds_store_b64 v15, v[7:8]
.LBB18_103:
	v_cmp_lt_u64_e64 s1, s[26:27], 17
	;; [unrolled: 17-line block ×4, first 2 shown]
	s_wait_loadcnt_dscnt 0x0
	s_barrier_signal -1
	s_barrier_wait -1
	global_inv scope:SCOPE_SE
	s_and_b32 vcc_lo, exec_lo, s1
	s_wait_alu 0xfffe
	s_cbranch_vccnz .LBB18_109
; %bb.108:
	ds_load_b64 v[9:10], v15 offset:32
	s_wait_loadcnt_dscnt 0x0
	s_barrier_signal -1
	s_barrier_wait -1
	global_inv scope:SCOPE_SE
	v_add_f64_e32 v[7:8], v[7:8], v[9:10]
	ds_store_b64 v15, v[7:8]
.LBB18_109:
	s_cmp_eq_u64 s[26:27], 2
	s_wait_loadcnt_dscnt 0x0
	s_barrier_signal -1
	s_barrier_wait -1
	global_inv scope:SCOPE_SE
	s_cbranch_scc1 .LBB18_111
; %bb.110:
	ds_load_b64 v[9:10], v15 offset:16
	s_wait_loadcnt_dscnt 0x0
	s_barrier_signal -1
	s_barrier_wait -1
	global_inv scope:SCOPE_SE
	v_add_f64_e32 v[7:8], v[7:8], v[9:10]
	ds_store_b64 v15, v[7:8]
.LBB18_111:
	s_wait_loadcnt_dscnt 0x0
	s_barrier_signal -1
	s_barrier_wait -1
	global_inv scope:SCOPE_SE
	ds_load_b64 v[9:10], v15 offset:8
	v_cmp_eq_u64_e32 vcc_lo, 0, v[3:4]
	s_xor_b32 s0, s0, -1
	s_wait_loadcnt_dscnt 0x0
	s_barrier_signal -1
	s_barrier_wait -1
	global_inv scope:SCOPE_SE
	s_wait_alu 0xfffe
	s_and_b32 s0, vcc_lo, s0
	v_add_f64_e32 v[7:8], v[7:8], v[9:10]
	ds_store_b64 v15, v[7:8]
	s_wait_alu 0xfffe
	s_and_b32 exec_lo, exec_lo, s0
	s_cbranch_execz .LBB18_115
; %bb.112:
	v_lshlrev_b64_e32 v[0:1], 3, v[1:2]
	s_mov_b32 s0, exec_lo
	v_cmpx_neq_f64_e32 0, v[5:6]
	s_cbranch_execz .LBB18_114
; %bb.113:
	s_delay_alu instid0(VALU_DEP_2)
	v_add_co_u32 v2, vcc_lo, s24, v0
	s_wait_alu 0xfffd
	v_add_co_ci_u32_e64 v3, null, s25, v1, vcc_lo
	global_load_b64 v[2:3], v[2:3], off
	s_wait_loadcnt 0x0
	v_fma_f64 v[7:8], v[5:6], v[2:3], v[7:8]
.LBB18_114:
	s_wait_alu 0xfffe
	s_or_b32 exec_lo, exec_lo, s0
	v_add_co_u32 v0, vcc_lo, s24, v0
	s_wait_alu 0xfffd
	v_add_co_ci_u32_e64 v1, null, s25, v1, vcc_lo
	global_store_b64 v[0:1], v[7:8], off
.LBB18_115:
	s_endpgm
	.section	.rodata,"a",@progbits
	.p2align	6, 0x0
	.amdhsa_kernel _ZN9rocsparseL22csrmvn_adaptive_kernelIllddddEEvbT_PKS1_PjPKT0_NS_24const_host_device_scalarIT4_EES3_S7_PKT1_PKT2_SA_PT3_21rocsparse_index_base_b
		.amdhsa_group_segment_fixed_size 8192
		.amdhsa_private_segment_fixed_size 0
		.amdhsa_kernarg_size 104
		.amdhsa_user_sgpr_count 2
		.amdhsa_user_sgpr_dispatch_ptr 0
		.amdhsa_user_sgpr_queue_ptr 0
		.amdhsa_user_sgpr_kernarg_segment_ptr 1
		.amdhsa_user_sgpr_dispatch_id 0
		.amdhsa_user_sgpr_private_segment_size 0
		.amdhsa_wavefront_size32 1
		.amdhsa_uses_dynamic_stack 0
		.amdhsa_enable_private_segment 0
		.amdhsa_system_sgpr_workgroup_id_x 1
		.amdhsa_system_sgpr_workgroup_id_y 0
		.amdhsa_system_sgpr_workgroup_id_z 0
		.amdhsa_system_sgpr_workgroup_info 0
		.amdhsa_system_vgpr_workitem_id 0
		.amdhsa_next_free_vgpr 22
		.amdhsa_next_free_sgpr 48
		.amdhsa_reserve_vcc 1
		.amdhsa_float_round_mode_32 0
		.amdhsa_float_round_mode_16_64 0
		.amdhsa_float_denorm_mode_32 3
		.amdhsa_float_denorm_mode_16_64 3
		.amdhsa_fp16_overflow 0
		.amdhsa_workgroup_processor_mode 1
		.amdhsa_memory_ordered 1
		.amdhsa_forward_progress 1
		.amdhsa_inst_pref_size 45
		.amdhsa_round_robin_scheduling 0
		.amdhsa_exception_fp_ieee_invalid_op 0
		.amdhsa_exception_fp_denorm_src 0
		.amdhsa_exception_fp_ieee_div_zero 0
		.amdhsa_exception_fp_ieee_overflow 0
		.amdhsa_exception_fp_ieee_underflow 0
		.amdhsa_exception_fp_ieee_inexact 0
		.amdhsa_exception_int_div_zero 0
	.end_amdhsa_kernel
	.section	.text._ZN9rocsparseL22csrmvn_adaptive_kernelIllddddEEvbT_PKS1_PjPKT0_NS_24const_host_device_scalarIT4_EES3_S7_PKT1_PKT2_SA_PT3_21rocsparse_index_base_b,"axG",@progbits,_ZN9rocsparseL22csrmvn_adaptive_kernelIllddddEEvbT_PKS1_PjPKT0_NS_24const_host_device_scalarIT4_EES3_S7_PKT1_PKT2_SA_PT3_21rocsparse_index_base_b,comdat
.Lfunc_end18:
	.size	_ZN9rocsparseL22csrmvn_adaptive_kernelIllddddEEvbT_PKS1_PjPKT0_NS_24const_host_device_scalarIT4_EES3_S7_PKT1_PKT2_SA_PT3_21rocsparse_index_base_b, .Lfunc_end18-_ZN9rocsparseL22csrmvn_adaptive_kernelIllddddEEvbT_PKS1_PjPKT0_NS_24const_host_device_scalarIT4_EES3_S7_PKT1_PKT2_SA_PT3_21rocsparse_index_base_b
                                        ; -- End function
	.set _ZN9rocsparseL22csrmvn_adaptive_kernelIllddddEEvbT_PKS1_PjPKT0_NS_24const_host_device_scalarIT4_EES3_S7_PKT1_PKT2_SA_PT3_21rocsparse_index_base_b.num_vgpr, 22
	.set _ZN9rocsparseL22csrmvn_adaptive_kernelIllddddEEvbT_PKS1_PjPKT0_NS_24const_host_device_scalarIT4_EES3_S7_PKT1_PKT2_SA_PT3_21rocsparse_index_base_b.num_agpr, 0
	.set _ZN9rocsparseL22csrmvn_adaptive_kernelIllddddEEvbT_PKS1_PjPKT0_NS_24const_host_device_scalarIT4_EES3_S7_PKT1_PKT2_SA_PT3_21rocsparse_index_base_b.numbered_sgpr, 48
	.set _ZN9rocsparseL22csrmvn_adaptive_kernelIllddddEEvbT_PKS1_PjPKT0_NS_24const_host_device_scalarIT4_EES3_S7_PKT1_PKT2_SA_PT3_21rocsparse_index_base_b.num_named_barrier, 0
	.set _ZN9rocsparseL22csrmvn_adaptive_kernelIllddddEEvbT_PKS1_PjPKT0_NS_24const_host_device_scalarIT4_EES3_S7_PKT1_PKT2_SA_PT3_21rocsparse_index_base_b.private_seg_size, 0
	.set _ZN9rocsparseL22csrmvn_adaptive_kernelIllddddEEvbT_PKS1_PjPKT0_NS_24const_host_device_scalarIT4_EES3_S7_PKT1_PKT2_SA_PT3_21rocsparse_index_base_b.uses_vcc, 1
	.set _ZN9rocsparseL22csrmvn_adaptive_kernelIllddddEEvbT_PKS1_PjPKT0_NS_24const_host_device_scalarIT4_EES3_S7_PKT1_PKT2_SA_PT3_21rocsparse_index_base_b.uses_flat_scratch, 0
	.set _ZN9rocsparseL22csrmvn_adaptive_kernelIllddddEEvbT_PKS1_PjPKT0_NS_24const_host_device_scalarIT4_EES3_S7_PKT1_PKT2_SA_PT3_21rocsparse_index_base_b.has_dyn_sized_stack, 0
	.set _ZN9rocsparseL22csrmvn_adaptive_kernelIllddddEEvbT_PKS1_PjPKT0_NS_24const_host_device_scalarIT4_EES3_S7_PKT1_PKT2_SA_PT3_21rocsparse_index_base_b.has_recursion, 0
	.set _ZN9rocsparseL22csrmvn_adaptive_kernelIllddddEEvbT_PKS1_PjPKT0_NS_24const_host_device_scalarIT4_EES3_S7_PKT1_PKT2_SA_PT3_21rocsparse_index_base_b.has_indirect_call, 0
	.section	.AMDGPU.csdata,"",@progbits
; Kernel info:
; codeLenInByte = 5640
; TotalNumSgprs: 50
; NumVgprs: 22
; ScratchSize: 0
; MemoryBound: 1
; FloatMode: 240
; IeeeMode: 1
; LDSByteSize: 8192 bytes/workgroup (compile time only)
; SGPRBlocks: 0
; VGPRBlocks: 2
; NumSGPRsForWavesPerEU: 50
; NumVGPRsForWavesPerEU: 22
; Occupancy: 16
; WaveLimiterHint : 1
; COMPUTE_PGM_RSRC2:SCRATCH_EN: 0
; COMPUTE_PGM_RSRC2:USER_SGPR: 2
; COMPUTE_PGM_RSRC2:TRAP_HANDLER: 0
; COMPUTE_PGM_RSRC2:TGID_X_EN: 1
; COMPUTE_PGM_RSRC2:TGID_Y_EN: 0
; COMPUTE_PGM_RSRC2:TGID_Z_EN: 0
; COMPUTE_PGM_RSRC2:TIDIG_COMP_CNT: 0
	.section	.text._ZN9rocsparseL22partial_scale_y_kernelIlddEEvT_S1_S1_NS_24const_host_device_scalarIT1_EEPT0_b,"axG",@progbits,_ZN9rocsparseL22partial_scale_y_kernelIlddEEvT_S1_S1_NS_24const_host_device_scalarIT1_EEPT0_b,comdat
	.globl	_ZN9rocsparseL22partial_scale_y_kernelIlddEEvT_S1_S1_NS_24const_host_device_scalarIT1_EEPT0_b ; -- Begin function _ZN9rocsparseL22partial_scale_y_kernelIlddEEvT_S1_S1_NS_24const_host_device_scalarIT1_EEPT0_b
	.p2align	8
	.type	_ZN9rocsparseL22partial_scale_y_kernelIlddEEvT_S1_S1_NS_24const_host_device_scalarIT1_EEPT0_b,@function
_ZN9rocsparseL22partial_scale_y_kernelIlddEEvT_S1_S1_NS_24const_host_device_scalarIT1_EEPT0_b: ; @_ZN9rocsparseL22partial_scale_y_kernelIlddEEvT_S1_S1_NS_24const_host_device_scalarIT1_EEPT0_b
; %bb.0:
	s_clause 0x1
	s_load_b32 s2, s[0:1], 0x28
	s_load_b256 s[4:11], s[0:1], 0x0
	s_wait_kmcnt 0x0
	s_bitcmp1_b32 s2, 0
	v_dual_mov_b32 v1, s10 :: v_dual_mov_b32 v2, s11
	s_cselect_b32 s2, -1, 0
	s_delay_alu instid0(SALU_CYCLE_1)
	s_and_b32 vcc_lo, exec_lo, s2
	s_cbranch_vccnz .LBB19_2
; %bb.1:
	v_dual_mov_b32 v1, s10 :: v_dual_mov_b32 v2, s11
	flat_load_b64 v[1:2], v[1:2]
.LBB19_2:
	s_mov_b32 s2, exec_lo
	s_wait_loadcnt_dscnt 0x0
	v_cmpx_neq_f64_e32 1.0, v[1:2]
	s_cbranch_execz .LBB19_15
; %bb.3:
	v_lshl_or_b32 v3, ttmp9, 8, v0
	v_mov_b32_e32 v4, 0
	s_add_nc_u64 s[2:3], s[6:7], s[4:5]
	s_delay_alu instid0(SALU_CYCLE_1)
	s_sub_nc_u64 s[2:3], s[2:3], s[8:9]
	s_delay_alu instid0(VALU_DEP_1) | instid1(SALU_CYCLE_1)
	v_cmp_gt_i64_e32 vcc_lo, s[2:3], v[3:4]
	s_and_b32 exec_lo, exec_lo, vcc_lo
	s_cbranch_execz .LBB19_15
; %bb.4:
	s_load_b64 s[2:3], s[0:1], 0x20
	s_mov_b32 s1, exec_lo
	v_cmp_neq_f64_e32 vcc_lo, 0, v[1:2]
	v_cmpx_le_i64_e64 s[6:7], v[3:4]
	s_wait_alu 0xfffe
	s_xor_b32 s1, exec_lo, s1
	s_cbranch_execz .LBB19_10
; %bb.5:
	v_sub_co_u32 v3, s0, v3, s6
	s_wait_alu 0xf1ff
	v_sub_co_ci_u32_e64 v4, null, 0, s7, s0
	s_lshl_b64 s[4:5], s[8:9], 3
	s_wait_kmcnt 0x0
	s_add_nc_u64 s[4:5], s[2:3], s[4:5]
	v_lshlrev_b64_e32 v[3:4], 3, v[3:4]
	s_delay_alu instid0(VALU_DEP_1) | instskip(SKIP_1) | instid1(VALU_DEP_2)
	v_add_co_u32 v3, s0, s4, v3
	s_wait_alu 0xf1ff
	v_add_co_ci_u32_e64 v4, null, s5, v4, s0
	s_and_saveexec_b32 s0, vcc_lo
	s_wait_alu 0xfffe
	s_xor_b32 s0, exec_lo, s0
	s_cbranch_execz .LBB19_7
; %bb.6:
	global_load_b64 v[5:6], v[3:4], off
	s_wait_loadcnt 0x0
	v_mul_f64_e32 v[0:1], v[1:2], v[5:6]
	global_store_b64 v[3:4], v[0:1], off
                                        ; implicit-def: $vgpr3_vgpr4
.LBB19_7:
	s_wait_alu 0xfffe
	s_and_not1_saveexec_b32 s0, s0
	s_cbranch_execz .LBB19_9
; %bb.8:
	v_mov_b32_e32 v0, 0
	s_delay_alu instid0(VALU_DEP_1)
	v_mov_b32_e32 v1, v0
	global_store_b64 v[3:4], v[0:1], off
.LBB19_9:
	s_wait_alu 0xfffe
	s_or_b32 exec_lo, exec_lo, s0
                                        ; implicit-def: $vgpr3_vgpr4
                                        ; implicit-def: $vgpr1_vgpr2
.LBB19_10:
	s_wait_alu 0xfffe
	s_and_not1_saveexec_b32 s0, s1
	s_cbranch_execz .LBB19_15
; %bb.11:
	v_lshlrev_b64_e32 v[3:4], 3, v[3:4]
	s_wait_kmcnt 0x0
	s_delay_alu instid0(VALU_DEP_1) | instskip(SKIP_1) | instid1(VALU_DEP_2)
	v_add_co_u32 v3, s0, s2, v3
	s_wait_alu 0xf1fe
	v_add_co_ci_u32_e64 v4, null, s3, v4, s0
	s_and_saveexec_b32 s0, vcc_lo
	s_wait_alu 0xfffe
	s_xor_b32 s0, exec_lo, s0
	s_cbranch_execz .LBB19_13
; %bb.12:
	global_load_b64 v[5:6], v[3:4], off
	s_wait_loadcnt 0x0
	v_mul_f64_e32 v[0:1], v[1:2], v[5:6]
	global_store_b64 v[3:4], v[0:1], off
                                        ; implicit-def: $vgpr3_vgpr4
.LBB19_13:
	s_wait_alu 0xfffe
	s_and_not1_saveexec_b32 s0, s0
	s_cbranch_execz .LBB19_15
; %bb.14:
	v_mov_b32_e32 v0, 0
	s_delay_alu instid0(VALU_DEP_1)
	v_mov_b32_e32 v1, v0
	global_store_b64 v[3:4], v[0:1], off
.LBB19_15:
	s_endpgm
	.section	.rodata,"a",@progbits
	.p2align	6, 0x0
	.amdhsa_kernel _ZN9rocsparseL22partial_scale_y_kernelIlddEEvT_S1_S1_NS_24const_host_device_scalarIT1_EEPT0_b
		.amdhsa_group_segment_fixed_size 0
		.amdhsa_private_segment_fixed_size 0
		.amdhsa_kernarg_size 44
		.amdhsa_user_sgpr_count 2
		.amdhsa_user_sgpr_dispatch_ptr 0
		.amdhsa_user_sgpr_queue_ptr 0
		.amdhsa_user_sgpr_kernarg_segment_ptr 1
		.amdhsa_user_sgpr_dispatch_id 0
		.amdhsa_user_sgpr_private_segment_size 0
		.amdhsa_wavefront_size32 1
		.amdhsa_uses_dynamic_stack 0
		.amdhsa_enable_private_segment 0
		.amdhsa_system_sgpr_workgroup_id_x 1
		.amdhsa_system_sgpr_workgroup_id_y 0
		.amdhsa_system_sgpr_workgroup_id_z 0
		.amdhsa_system_sgpr_workgroup_info 0
		.amdhsa_system_vgpr_workitem_id 0
		.amdhsa_next_free_vgpr 7
		.amdhsa_next_free_sgpr 12
		.amdhsa_reserve_vcc 1
		.amdhsa_float_round_mode_32 0
		.amdhsa_float_round_mode_16_64 0
		.amdhsa_float_denorm_mode_32 3
		.amdhsa_float_denorm_mode_16_64 3
		.amdhsa_fp16_overflow 0
		.amdhsa_workgroup_processor_mode 1
		.amdhsa_memory_ordered 1
		.amdhsa_forward_progress 1
		.amdhsa_inst_pref_size 4
		.amdhsa_round_robin_scheduling 0
		.amdhsa_exception_fp_ieee_invalid_op 0
		.amdhsa_exception_fp_denorm_src 0
		.amdhsa_exception_fp_ieee_div_zero 0
		.amdhsa_exception_fp_ieee_overflow 0
		.amdhsa_exception_fp_ieee_underflow 0
		.amdhsa_exception_fp_ieee_inexact 0
		.amdhsa_exception_int_div_zero 0
	.end_amdhsa_kernel
	.section	.text._ZN9rocsparseL22partial_scale_y_kernelIlddEEvT_S1_S1_NS_24const_host_device_scalarIT1_EEPT0_b,"axG",@progbits,_ZN9rocsparseL22partial_scale_y_kernelIlddEEvT_S1_S1_NS_24const_host_device_scalarIT1_EEPT0_b,comdat
.Lfunc_end19:
	.size	_ZN9rocsparseL22partial_scale_y_kernelIlddEEvT_S1_S1_NS_24const_host_device_scalarIT1_EEPT0_b, .Lfunc_end19-_ZN9rocsparseL22partial_scale_y_kernelIlddEEvT_S1_S1_NS_24const_host_device_scalarIT1_EEPT0_b
                                        ; -- End function
	.set _ZN9rocsparseL22partial_scale_y_kernelIlddEEvT_S1_S1_NS_24const_host_device_scalarIT1_EEPT0_b.num_vgpr, 7
	.set _ZN9rocsparseL22partial_scale_y_kernelIlddEEvT_S1_S1_NS_24const_host_device_scalarIT1_EEPT0_b.num_agpr, 0
	.set _ZN9rocsparseL22partial_scale_y_kernelIlddEEvT_S1_S1_NS_24const_host_device_scalarIT1_EEPT0_b.numbered_sgpr, 12
	.set _ZN9rocsparseL22partial_scale_y_kernelIlddEEvT_S1_S1_NS_24const_host_device_scalarIT1_EEPT0_b.num_named_barrier, 0
	.set _ZN9rocsparseL22partial_scale_y_kernelIlddEEvT_S1_S1_NS_24const_host_device_scalarIT1_EEPT0_b.private_seg_size, 0
	.set _ZN9rocsparseL22partial_scale_y_kernelIlddEEvT_S1_S1_NS_24const_host_device_scalarIT1_EEPT0_b.uses_vcc, 1
	.set _ZN9rocsparseL22partial_scale_y_kernelIlddEEvT_S1_S1_NS_24const_host_device_scalarIT1_EEPT0_b.uses_flat_scratch, 0
	.set _ZN9rocsparseL22partial_scale_y_kernelIlddEEvT_S1_S1_NS_24const_host_device_scalarIT1_EEPT0_b.has_dyn_sized_stack, 0
	.set _ZN9rocsparseL22partial_scale_y_kernelIlddEEvT_S1_S1_NS_24const_host_device_scalarIT1_EEPT0_b.has_recursion, 0
	.set _ZN9rocsparseL22partial_scale_y_kernelIlddEEvT_S1_S1_NS_24const_host_device_scalarIT1_EEPT0_b.has_indirect_call, 0
	.section	.AMDGPU.csdata,"",@progbits
; Kernel info:
; codeLenInByte = 448
; TotalNumSgprs: 14
; NumVgprs: 7
; ScratchSize: 0
; MemoryBound: 0
; FloatMode: 240
; IeeeMode: 1
; LDSByteSize: 0 bytes/workgroup (compile time only)
; SGPRBlocks: 0
; VGPRBlocks: 0
; NumSGPRsForWavesPerEU: 14
; NumVGPRsForWavesPerEU: 7
; Occupancy: 16
; WaveLimiterHint : 0
; COMPUTE_PGM_RSRC2:SCRATCH_EN: 0
; COMPUTE_PGM_RSRC2:USER_SGPR: 2
; COMPUTE_PGM_RSRC2:TRAP_HANDLER: 0
; COMPUTE_PGM_RSRC2:TGID_X_EN: 1
; COMPUTE_PGM_RSRC2:TGID_Y_EN: 0
; COMPUTE_PGM_RSRC2:TGID_Z_EN: 0
; COMPUTE_PGM_RSRC2:TIDIG_COMP_CNT: 0
	.section	.text._ZN9rocsparseL27csrmvn_symm_adaptive_kernelIllddddEEvbT_S1_PKS1_NS_24const_host_device_scalarIT4_EES3_PKT0_PKT1_PKT2_S6_PT3_21rocsparse_index_base_b,"axG",@progbits,_ZN9rocsparseL27csrmvn_symm_adaptive_kernelIllddddEEvbT_S1_PKS1_NS_24const_host_device_scalarIT4_EES3_PKT0_PKT1_PKT2_S6_PT3_21rocsparse_index_base_b,comdat
	.globl	_ZN9rocsparseL27csrmvn_symm_adaptive_kernelIllddddEEvbT_S1_PKS1_NS_24const_host_device_scalarIT4_EES3_PKT0_PKT1_PKT2_S6_PT3_21rocsparse_index_base_b ; -- Begin function _ZN9rocsparseL27csrmvn_symm_adaptive_kernelIllddddEEvbT_S1_PKS1_NS_24const_host_device_scalarIT4_EES3_PKT0_PKT1_PKT2_S6_PT3_21rocsparse_index_base_b
	.p2align	8
	.type	_ZN9rocsparseL27csrmvn_symm_adaptive_kernelIllddddEEvbT_S1_PKS1_NS_24const_host_device_scalarIT4_EES3_PKT0_PKT1_PKT2_S6_PT3_21rocsparse_index_base_b,@function
_ZN9rocsparseL27csrmvn_symm_adaptive_kernelIllddddEEvbT_S1_PKS1_NS_24const_host_device_scalarIT4_EES3_PKT0_PKT1_PKT2_S6_PT3_21rocsparse_index_base_b: ; @_ZN9rocsparseL27csrmvn_symm_adaptive_kernelIllddddEEvbT_S1_PKS1_NS_24const_host_device_scalarIT4_EES3_PKT0_PKT1_PKT2_S6_PT3_21rocsparse_index_base_b
; %bb.0:
	s_clause 0x2
	s_load_b64 s[24:25], s[0:1], 0x58
	s_load_b64 s[4:5], s[0:1], 0x20
	;; [unrolled: 1-line block ×3, first 2 shown]
	s_wait_kmcnt 0x0
	s_bitcmp1_b32 s25, 0
	v_dual_mov_b32 v11, s5 :: v_dual_mov_b32 v10, s4
	s_cselect_b32 s6, -1, 0
	s_delay_alu instid0(SALU_CYCLE_1)
	s_and_b32 vcc_lo, exec_lo, s6
	s_xor_b32 s6, s6, -1
	s_cbranch_vccnz .LBB20_2
; %bb.1:
	v_dual_mov_b32 v1, s4 :: v_dual_mov_b32 v2, s5
	flat_load_b64 v[10:11], v[1:2]
.LBB20_2:
	v_dual_mov_b32 v1, s2 :: v_dual_mov_b32 v2, s3
	s_and_not1_b32 vcc_lo, exec_lo, s6
	s_cbranch_vccnz .LBB20_4
; %bb.3:
	v_dual_mov_b32 v1, s2 :: v_dual_mov_b32 v2, s3
	flat_load_b64 v[1:2], v[1:2]
.LBB20_4:
	s_wait_loadcnt_dscnt 0x0
	v_cmp_neq_f64_e32 vcc_lo, 0, v[10:11]
	v_cmp_neq_f64_e64 s2, 1.0, v[1:2]
	s_or_b32 s2, vcc_lo, s2
	s_wait_alu 0xfffe
	s_and_saveexec_b32 s3, s2
	s_cbranch_execz .LBB20_167
; %bb.5:
	s_load_b64 s[4:5], s[0:1], 0x18
	s_mov_b32 s25, 0
	s_mov_b32 s2, ttmp9
	s_mov_b32 s6, s25
	s_mov_b32 s7, s25
	v_dual_mov_b32 v1, s6 :: v_dual_lshlrev_b32 v18, 3, v0
	s_ashr_i32 s3, ttmp9, 31
	v_mov_b32_e32 v2, s7
	s_wait_alu 0xfffe
	s_lshl_b64 s[2:3], s[2:3], 3
	ds_store_2addr_stride64_b64 v18, v[1:2], v[1:2] offset1:4
	ds_store_2addr_stride64_b64 v18, v[1:2], v[1:2] offset0:8 offset1:12
	s_wait_dscnt 0x0
	s_barrier_signal -1
	s_barrier_wait -1
	global_inv scope:SCOPE_SE
	s_wait_kmcnt 0x0
	s_wait_alu 0xfffe
	s_add_nc_u64 s[2:3], s[4:5], s[2:3]
	s_load_b128 s[16:19], s[2:3], 0x0
	s_clause 0x1
	s_load_b256 s[8:15], s[0:1], 0x28
	s_load_b64 s[20:21], s[0:1], 0x50
	s_wait_kmcnt 0x0
	s_sub_nc_u64 s[22:23], s[18:19], s[16:17]
	s_delay_alu instid0(SALU_CYCLE_1)
	v_cmp_gt_i64_e64 s2, s[22:23], 2
	s_and_b32 vcc_lo, exec_lo, s2
	s_mov_b32 s2, -1
	s_cbranch_vccnz .LBB20_41
; %bb.6:
	v_cmp_le_i64_e64 s2, s[18:19], s[16:17]
	v_sub_co_u32 v9, s3, v0, s24
	v_mov_b32_e32 v13, 0
	s_wait_alu 0xf1ff
	v_sub_co_ci_u32_e64 v12, null, 0, 0, s3
	s_wait_alu 0xfffe
	s_and_b32 vcc_lo, exec_lo, s2
	s_cbranch_vccnz .LBB20_30
; %bb.7:
	v_cmp_gt_u32_e64 s2, 0x100, v0
	v_cmp_gt_u32_e64 s3, 64, v0
	;; [unrolled: 1-line block ×4, first 2 shown]
	v_cmp_eq_u32_e64 s6, 0, v0
	s_mov_b64 s[26:27], s[16:17]
	s_branch .LBB20_9
.LBB20_8:                               ;   in Loop: Header=BB20_9 Depth=1
	s_wait_alu 0xfffe
	s_or_b32 exec_lo, exec_lo, s7
	s_add_nc_u64 s[26:27], s[26:27], 1
	s_wait_alu 0xfffe
	v_cmp_ge_i64_e64 s7, s[26:27], s[18:19]
	s_and_b32 vcc_lo, exec_lo, s7
	s_wait_alu 0xfffe
	s_cbranch_vccnz .LBB20_30
.LBB20_9:                               ; =>This Loop Header: Depth=1
                                        ;     Child Loop BB20_11 Depth 2
                                        ;     Child Loop BB20_25 Depth 2
	;; [unrolled: 1-line block ×3, first 2 shown]
	s_lshl_b64 s[28:29], s[26:27], 3
	v_mov_b32_e32 v3, 0
	s_add_nc_u64 s[30:31], s[8:9], s[28:29]
	v_mov_b32_e32 v4, 0
	s_load_b128 s[36:39], s[30:31], 0x0
	s_mov_b32 s33, exec_lo
	s_wait_kmcnt 0x0
	v_add_co_u32 v1, vcc_lo, s36, v9
	s_wait_alu 0xfffd
	v_add_co_ci_u32_e64 v2, null, s37, v12, vcc_lo
	s_sub_nc_u64 s[30:31], s[38:39], s[24:25]
	s_wait_alu 0xfffe
	v_cmpx_gt_i64_e64 s[30:31], v[1:2]
	s_cbranch_execz .LBB20_13
; %bb.10:                               ;   in Loop: Header=BB20_9 Depth=1
	v_lshlrev_b64_e32 v[7:8], 3, v[1:2]
	v_mov_b32_e32 v3, 0
	v_mov_b32_e32 v4, 0
	s_mov_b32 s34, 0
	s_delay_alu instid0(VALU_DEP_3)
	v_add_co_u32 v5, vcc_lo, s10, v7
	s_wait_alu 0xfffd
	v_add_co_ci_u32_e64 v6, null, s11, v8, vcc_lo
	v_add_co_u32 v7, vcc_lo, s12, v7
	s_wait_alu 0xfffd
	v_add_co_ci_u32_e64 v8, null, s13, v8, vcc_lo
.LBB20_11:                              ;   Parent Loop BB20_9 Depth=1
                                        ; =>  This Inner Loop Header: Depth=2
	global_load_b64 v[14:15], v[5:6], off
	s_wait_loadcnt 0x0
	v_sub_co_u32 v14, vcc_lo, v14, s24
	s_wait_alu 0xfffd
	v_subrev_co_ci_u32_e64 v15, null, 0, v15, vcc_lo
	s_delay_alu instid0(VALU_DEP_1) | instskip(NEXT) | instid1(VALU_DEP_1)
	v_lshlrev_b64_e32 v[14:15], 3, v[14:15]
	v_add_co_u32 v14, vcc_lo, s14, v14
	s_wait_alu 0xfffd
	s_delay_alu instid0(VALU_DEP_2)
	v_add_co_ci_u32_e64 v15, null, s15, v15, vcc_lo
	v_add_co_u32 v1, vcc_lo, 0x100, v1
	global_load_b64 v[16:17], v[7:8], off
	global_load_b64 v[14:15], v[14:15], off
	s_wait_alu 0xfffd
	v_add_co_ci_u32_e64 v2, null, 0, v2, vcc_lo
	v_add_co_u32 v5, vcc_lo, 0x800, v5
	s_wait_alu 0xfffd
	v_add_co_ci_u32_e64 v6, null, 0, v6, vcc_lo
	s_delay_alu instid0(VALU_DEP_3)
	v_cmp_le_i64_e32 vcc_lo, s[30:31], v[1:2]
	v_add_co_u32 v7, s7, 0x800, v7
	s_wait_alu 0xf1ff
	v_add_co_ci_u32_e64 v8, null, 0, v8, s7
	s_wait_alu 0xfffe
	s_or_b32 s34, vcc_lo, s34
	s_wait_loadcnt 0x0
	v_fma_f64 v[3:4], v[16:17], v[14:15], v[3:4]
	s_wait_alu 0xfffe
	s_and_not1_b32 exec_lo, exec_lo, s34
	s_cbranch_execnz .LBB20_11
; %bb.12:                               ;   in Loop: Header=BB20_9 Depth=1
	s_or_b32 exec_lo, exec_lo, s34
.LBB20_13:                              ;   in Loop: Header=BB20_9 Depth=1
	s_delay_alu instid0(SALU_CYCLE_1)
	s_or_b32 exec_lo, exec_lo, s33
	ds_store_b64 v18, v[3:4]
	s_wait_loadcnt_dscnt 0x0
	s_barrier_signal -1
	s_barrier_wait -1
	global_inv scope:SCOPE_SE
	s_and_saveexec_b32 s7, s2
	s_cbranch_execz .LBB20_15
; %bb.14:                               ;   in Loop: Header=BB20_9 Depth=1
	ds_load_2addr_stride64_b64 v[1:4], v18 offset1:4
	ds_load_2addr_stride64_b64 v[5:8], v18 offset0:8 offset1:12
	s_wait_dscnt 0x0
	v_add_f64_e32 v[3:4], v[3:4], v[5:6]
	s_delay_alu instid0(VALU_DEP_1) | instskip(NEXT) | instid1(VALU_DEP_1)
	v_add_f64_e32 v[3:4], v[3:4], v[7:8]
	v_add_f64_e32 v[1:2], v[1:2], v[3:4]
	ds_store_b64 v18, v[1:2]
.LBB20_15:                              ;   in Loop: Header=BB20_9 Depth=1
	s_wait_alu 0xfffe
	s_or_b32 exec_lo, exec_lo, s7
	s_wait_loadcnt_dscnt 0x0
	s_barrier_signal -1
	s_barrier_wait -1
	global_inv scope:SCOPE_SE
	s_and_saveexec_b32 s7, s3
	s_cbranch_execz .LBB20_17
; %bb.16:                               ;   in Loop: Header=BB20_9 Depth=1
	ds_load_2addr_stride64_b64 v[1:4], v18 offset1:1
	ds_load_2addr_stride64_b64 v[5:8], v18 offset0:2 offset1:3
	s_wait_dscnt 0x0
	v_add_f64_e32 v[3:4], v[3:4], v[5:6]
	s_delay_alu instid0(VALU_DEP_1) | instskip(NEXT) | instid1(VALU_DEP_1)
	v_add_f64_e32 v[3:4], v[3:4], v[7:8]
	v_add_f64_e32 v[1:2], v[1:2], v[3:4]
	ds_store_b64 v18, v[1:2]
.LBB20_17:                              ;   in Loop: Header=BB20_9 Depth=1
	s_wait_alu 0xfffe
	s_or_b32 exec_lo, exec_lo, s7
	s_wait_loadcnt_dscnt 0x0
	s_barrier_signal -1
	s_barrier_wait -1
	global_inv scope:SCOPE_SE
	s_and_saveexec_b32 s7, s4
	s_cbranch_execz .LBB20_19
; %bb.18:                               ;   in Loop: Header=BB20_9 Depth=1
	ds_load_2addr_b64 v[1:4], v18 offset1:16
	ds_load_2addr_b64 v[5:8], v18 offset0:32 offset1:48
	s_wait_dscnt 0x0
	v_add_f64_e32 v[3:4], v[3:4], v[5:6]
	s_delay_alu instid0(VALU_DEP_1) | instskip(NEXT) | instid1(VALU_DEP_1)
	v_add_f64_e32 v[3:4], v[3:4], v[7:8]
	v_add_f64_e32 v[1:2], v[1:2], v[3:4]
	ds_store_b64 v18, v[1:2]
.LBB20_19:                              ;   in Loop: Header=BB20_9 Depth=1
	s_wait_alu 0xfffe
	s_or_b32 exec_lo, exec_lo, s7
	s_wait_loadcnt_dscnt 0x0
	s_barrier_signal -1
	s_barrier_wait -1
	global_inv scope:SCOPE_SE
	s_and_saveexec_b32 s7, s5
	s_cbranch_execz .LBB20_21
; %bb.20:                               ;   in Loop: Header=BB20_9 Depth=1
	ds_load_2addr_b64 v[1:4], v18 offset1:4
	ds_load_2addr_b64 v[5:8], v18 offset0:8 offset1:12
	s_wait_dscnt 0x0
	v_add_f64_e32 v[3:4], v[3:4], v[5:6]
	s_delay_alu instid0(VALU_DEP_1) | instskip(NEXT) | instid1(VALU_DEP_1)
	v_add_f64_e32 v[3:4], v[3:4], v[7:8]
	v_add_f64_e32 v[1:2], v[1:2], v[3:4]
	ds_store_b64 v18, v[1:2]
.LBB20_21:                              ;   in Loop: Header=BB20_9 Depth=1
	s_wait_alu 0xfffe
	s_or_b32 exec_lo, exec_lo, s7
	s_wait_loadcnt_dscnt 0x0
	s_barrier_signal -1
	s_barrier_wait -1
	global_inv scope:SCOPE_SE
	s_and_saveexec_b32 s7, s6
	s_cbranch_execz .LBB20_23
; %bb.22:                               ;   in Loop: Header=BB20_9 Depth=1
	ds_load_2addr_b64 v[1:4], v13 offset0:1 offset1:2
	ds_load_b64 v[5:6], v18
	s_wait_dscnt 0x1
	v_add_f64_e32 v[1:2], v[1:2], v[3:4]
	ds_load_b64 v[3:4], v13 offset:24
	s_wait_dscnt 0x0
	v_add_f64_e32 v[1:2], v[1:2], v[3:4]
	s_delay_alu instid0(VALU_DEP_1)
	v_add_f64_e32 v[1:2], v[5:6], v[1:2]
	ds_store_b64 v18, v[1:2]
.LBB20_23:                              ;   in Loop: Header=BB20_9 Depth=1
	s_wait_alu 0xfffe
	s_or_b32 exec_lo, exec_lo, s7
	s_wait_loadcnt_dscnt 0x0
	s_barrier_signal -1
	s_barrier_wait -1
	global_inv scope:SCOPE_SE
	s_and_saveexec_b32 s7, s6
	s_cbranch_execz .LBB20_8
; %bb.24:                               ;   in Loop: Header=BB20_9 Depth=1
	ds_load_b64 v[1:2], v13
	v_mov_b32_e32 v5, 0
	v_bfrev_b32_e32 v6, 1
	s_mov_b32 s30, exec_lo
	s_wait_dscnt 0x0
	v_mul_f64_e32 v[1:2], v[10:11], v[1:2]
.LBB20_25:                              ;   Parent Loop BB20_9 Depth=1
                                        ; =>  This Inner Loop Header: Depth=2
	s_wait_alu 0xfffe
	s_ctz_i32_b32 s31, s30
	s_wait_alu 0xfffe
	s_delay_alu instid0(VALU_DEP_1) | instskip(NEXT) | instid1(VALU_DEP_2)
	v_readlane_b32 s35, v2, s31
	v_readlane_b32 s34, v1, s31
	s_lshl_b32 s31, 1, s31
	s_wait_alu 0xfffe
	s_and_not1_b32 s30, s30, s31
	v_add_f64_e32 v[5:6], s[34:35], v[5:6]
	s_wait_alu 0xfffe
	s_cmp_lg_u32 s30, 0
	s_cbranch_scc1 .LBB20_25
; %bb.26:                               ;   in Loop: Header=BB20_9 Depth=1
	v_mbcnt_lo_u32_b32 v1, exec_lo, 0
	s_mov_b32 s30, exec_lo
	s_delay_alu instid0(VALU_DEP_1)
	v_cmpx_eq_u32_e32 0, v1
	s_wait_alu 0xfffe
	s_xor_b32 s30, exec_lo, s30
	s_cbranch_execz .LBB20_8
; %bb.27:                               ;   in Loop: Header=BB20_9 Depth=1
	s_add_nc_u64 s[28:29], s[20:21], s[28:29]
	s_mov_b32 s30, 0
	global_load_b64 v[3:4], v13, s[28:29]
.LBB20_28:                              ;   Parent Loop BB20_9 Depth=1
                                        ; =>  This Inner Loop Header: Depth=2
	s_wait_loadcnt 0x0
	v_add_f64_e32 v[1:2], v[3:4], v[5:6]
	global_atomic_cmpswap_b64 v[1:2], v13, v[1:4], s[28:29] th:TH_ATOMIC_RETURN scope:SCOPE_DEV
	s_wait_loadcnt 0x0
	v_cmp_eq_u64_e32 vcc_lo, v[1:2], v[3:4]
	v_dual_mov_b32 v4, v2 :: v_dual_mov_b32 v3, v1
	s_wait_alu 0xfffe
	s_or_b32 s30, vcc_lo, s30
	s_wait_alu 0xfffe
	s_and_not1_b32 exec_lo, exec_lo, s30
	s_cbranch_execnz .LBB20_28
; %bb.29:                               ;   in Loop: Header=BB20_9 Depth=1
	s_or_b32 exec_lo, exec_lo, s30
	s_branch .LBB20_8
.LBB20_30:
	s_lshl_b64 s[2:3], s[16:17], 3
	s_lshl_b64 s[4:5], s[18:19], 3
	s_wait_alu 0xfffe
	s_add_nc_u64 s[2:3], s[8:9], s[2:3]
	s_add_nc_u64 s[4:5], s[8:9], s[4:5]
	s_clause 0x1
	s_load_b64 s[2:3], s[2:3], 0x0
	s_load_b64 s[4:5], s[4:5], 0x0
	s_wait_kmcnt 0x0
	v_add_co_u32 v5, vcc_lo, s2, v9
	s_wait_alu 0xfffd
	v_add_co_ci_u32_e64 v6, null, s3, v12, vcc_lo
	s_sub_nc_u64 s[4:5], s[4:5], s[24:25]
	s_mov_b32 s3, exec_lo
	s_wait_alu 0xfffe
	v_cmpx_gt_i64_e64 s[4:5], v[5:6]
	s_cbranch_execz .LBB20_40
; %bb.31:
	s_add_nc_u64 s[6:7], s[18:19], -1
	s_add_nc_u64 s[26:27], s[18:19], -2
	s_wait_alu 0xfffe
	v_cmp_lt_i64_e64 s2, s[16:17], s[6:7]
	s_cmp_lg_u64 s[16:17], s[26:27]
	s_mov_b32 s26, 0
	s_cselect_b32 s25, -1, 0
	s_wait_alu 0xfffe
	s_and_b32 s25, s2, s25
	s_branch .LBB20_33
.LBB20_32:                              ;   in Loop: Header=BB20_33 Depth=1
	s_wait_alu 0xfffe
	s_or_b32 exec_lo, exec_lo, s2
	v_add_co_u32 v5, vcc_lo, 0x100, v5
	s_wait_alu 0xfffd
	v_add_co_ci_u32_e64 v6, null, 0, v6, vcc_lo
	s_delay_alu instid0(VALU_DEP_1)
	v_cmp_le_i64_e32 vcc_lo, s[4:5], v[5:6]
	s_or_b32 s26, vcc_lo, s26
	s_wait_alu 0xfffe
	s_and_not1_b32 exec_lo, exec_lo, s26
	s_cbranch_execz .LBB20_40
.LBB20_33:                              ; =>This Loop Header: Depth=1
                                        ;     Child Loop BB20_35 Depth 2
                                        ;     Child Loop BB20_39 Depth 2
	v_dual_mov_b32 v1, s16 :: v_dual_mov_b32 v2, s17
	v_dual_mov_b32 v3, s6 :: v_dual_mov_b32 v4, s7
	s_wait_alu 0xfffe
	s_and_not1_b32 vcc_lo, exec_lo, s25
	s_wait_alu 0xfffe
	s_cbranch_vccnz .LBB20_37
; %bb.34:                               ;   in Loop: Header=BB20_33 Depth=1
	v_dual_mov_b32 v1, s16 :: v_dual_mov_b32 v2, s17
	v_dual_mov_b32 v3, s6 :: v_dual_mov_b32 v4, s7
	s_mov_b32 s27, 0
.LBB20_35:                              ;   Parent Loop BB20_33 Depth=1
                                        ; =>  This Inner Loop Header: Depth=2
	s_delay_alu instid0(VALU_DEP_1) | instskip(SKIP_1) | instid1(VALU_DEP_2)
	v_add_co_u32 v7, vcc_lo, v3, v1
	s_wait_alu 0xfffd
	v_add_co_ci_u32_e64 v8, null, v4, v2, vcc_lo
	s_delay_alu instid0(VALU_DEP_1) | instskip(NEXT) | instid1(VALU_DEP_1)
	v_lshrrev_b32_e32 v9, 31, v8
	v_add_co_u32 v7, vcc_lo, v7, v9
	s_wait_alu 0xfffd
	v_add_co_ci_u32_e64 v8, null, 0, v8, vcc_lo
	s_delay_alu instid0(VALU_DEP_1) | instskip(NEXT) | instid1(VALU_DEP_1)
	v_ashrrev_i64 v[7:8], 1, v[7:8]
	v_lshlrev_b64_e32 v[12:13], 3, v[7:8]
	s_delay_alu instid0(VALU_DEP_1) | instskip(SKIP_1) | instid1(VALU_DEP_2)
	v_add_co_u32 v12, vcc_lo, s8, v12
	s_wait_alu 0xfffd
	v_add_co_ci_u32_e64 v13, null, s9, v13, vcc_lo
	global_load_b64 v[12:13], v[12:13], off
	s_wait_loadcnt 0x0
	v_sub_co_u32 v12, vcc_lo, v12, s24
	s_wait_alu 0xfffd
	v_subrev_co_ci_u32_e64 v13, null, 0, v13, vcc_lo
	s_delay_alu instid0(VALU_DEP_1) | instskip(SKIP_3) | instid1(VALU_DEP_2)
	v_cmp_lt_i64_e32 vcc_lo, v[5:6], v[12:13]
	s_wait_alu 0xfffd
	v_dual_cndmask_b32 v4, v4, v8 :: v_dual_cndmask_b32 v3, v3, v7
	v_dual_cndmask_b32 v2, v8, v2 :: v_dual_cndmask_b32 v1, v7, v1
	v_add_co_u32 v7, vcc_lo, v3, -1
	s_wait_alu 0xfffd
	s_delay_alu instid0(VALU_DEP_3) | instskip(NEXT) | instid1(VALU_DEP_3)
	v_add_co_ci_u32_e64 v8, null, -1, v4, vcc_lo
	v_cmp_ge_i64_e32 vcc_lo, v[1:2], v[3:4]
	s_delay_alu instid0(VALU_DEP_2)
	v_cmp_eq_u64_e64 s2, v[1:2], v[7:8]
	s_or_b32 s2, vcc_lo, s2
	s_wait_alu 0xfffe
	s_and_b32 s2, exec_lo, s2
	s_wait_alu 0xfffe
	s_or_b32 s27, s2, s27
	s_wait_alu 0xfffe
	s_and_not1_b32 exec_lo, exec_lo, s27
	s_cbranch_execnz .LBB20_35
; %bb.36:                               ;   in Loop: Header=BB20_33 Depth=1
	s_or_b32 exec_lo, exec_lo, s27
.LBB20_37:                              ;   in Loop: Header=BB20_33 Depth=1
	v_lshlrev_b64_e32 v[7:8], 3, v[3:4]
	s_mov_b32 s2, exec_lo
	s_delay_alu instid0(VALU_DEP_1) | instskip(SKIP_1) | instid1(VALU_DEP_2)
	v_add_co_u32 v7, vcc_lo, s8, v7
	s_wait_alu 0xfffd
	v_add_co_ci_u32_e64 v8, null, s9, v8, vcc_lo
	global_load_b64 v[12:13], v[7:8], off
	v_lshlrev_b64_e32 v[7:8], 3, v[5:6]
	s_delay_alu instid0(VALU_DEP_1) | instskip(SKIP_1) | instid1(VALU_DEP_2)
	v_add_co_u32 v14, vcc_lo, s10, v7
	s_wait_alu 0xfffd
	v_add_co_ci_u32_e64 v15, null, s11, v8, vcc_lo
	global_load_b64 v[14:15], v[14:15], off
	s_wait_loadcnt 0x1
	v_sub_co_u32 v12, vcc_lo, v12, s24
	s_wait_alu 0xfffd
	v_subrev_co_ci_u32_e64 v13, null, 0, v13, vcc_lo
	s_delay_alu instid0(VALU_DEP_1)
	v_cmp_lt_i64_e32 vcc_lo, v[5:6], v[12:13]
	s_wait_alu 0xfffd
	v_dual_cndmask_b32 v4, v4, v2 :: v_dual_cndmask_b32 v3, v3, v1
	s_wait_loadcnt 0x0
	v_sub_co_u32 v1, vcc_lo, v14, s24
	s_wait_alu 0xfffd
	v_subrev_co_ci_u32_e64 v2, null, 0, v15, vcc_lo
	s_delay_alu instid0(VALU_DEP_1)
	v_cmpx_ne_u64_e64 v[1:2], v[3:4]
	s_cbranch_execz .LBB20_32
; %bb.38:                               ;   in Loop: Header=BB20_33 Depth=1
	v_add_co_u32 v7, vcc_lo, s12, v7
	s_wait_alu 0xfffd
	v_add_co_ci_u32_e64 v8, null, s13, v8, vcc_lo
	v_lshlrev_b64_e32 v[3:4], 3, v[3:4]
	v_lshlrev_b64_e32 v[1:2], 3, v[1:2]
	s_mov_b32 s27, 0
	global_load_b64 v[12:13], v[7:8], off
	v_add_co_u32 v3, vcc_lo, s14, v3
	s_wait_alu 0xfffd
	v_add_co_ci_u32_e64 v4, null, s15, v4, vcc_lo
	v_add_co_u32 v7, vcc_lo, s20, v1
	s_wait_alu 0xfffd
	v_add_co_ci_u32_e64 v8, null, s21, v2, vcc_lo
	global_load_b64 v[14:15], v[3:4], off
	global_load_b64 v[3:4], v[7:8], off
	s_wait_loadcnt 0x2
	v_mul_f64_e32 v[1:2], v[10:11], v[12:13]
	s_wait_loadcnt 0x1
	s_delay_alu instid0(VALU_DEP_1)
	v_mul_f64_e32 v[12:13], v[1:2], v[14:15]
.LBB20_39:                              ;   Parent Loop BB20_33 Depth=1
                                        ; =>  This Inner Loop Header: Depth=2
	s_wait_loadcnt 0x0
	s_delay_alu instid0(VALU_DEP_1)
	v_add_f64_e32 v[1:2], v[3:4], v[12:13]
	global_atomic_cmpswap_b64 v[1:2], v[7:8], v[1:4], off th:TH_ATOMIC_RETURN scope:SCOPE_DEV
	s_wait_loadcnt 0x0
	v_cmp_eq_u64_e32 vcc_lo, v[1:2], v[3:4]
	v_dual_mov_b32 v4, v2 :: v_dual_mov_b32 v3, v1
	s_wait_alu 0xfffe
	s_or_b32 s27, vcc_lo, s27
	s_wait_alu 0xfffe
	s_and_not1_b32 exec_lo, exec_lo, s27
	s_cbranch_execnz .LBB20_39
	s_branch .LBB20_32
.LBB20_40:
	s_or_b32 exec_lo, exec_lo, s3
	s_mov_b32 s2, 0
.LBB20_41:
	s_wait_alu 0xfffe
	s_and_b32 vcc_lo, exec_lo, s2
	s_wait_alu 0xfffe
	s_cbranch_vccz .LBB20_167
; %bb.42:
	s_load_b32 s2, s[0:1], 0x6c
	s_mov_b32 s25, 0
	s_mov_b64 s[28:29], 0
	s_wait_alu 0xfffe
	s_mov_b32 s7, s25
	s_wait_kmcnt 0x0
	s_and_b32 s6, s2, 0xffff
	s_wait_alu 0xfffe
	v_cmp_lt_u64_e64 s2, s[6:7], s[22:23]
	s_and_b32 vcc_lo, exec_lo, s2
	s_wait_alu 0xfffe
	s_cbranch_vccnz .LBB20_44
; %bb.43:
	v_cvt_f32_u32_e32 v1, s22
	s_sub_co_i32 s3, 0, s22
	s_delay_alu instid0(VALU_DEP_1) | instskip(NEXT) | instid1(TRANS32_DEP_1)
	v_rcp_iflag_f32_e32 v1, v1
	v_mul_f32_e32 v1, 0x4f7ffffe, v1
	s_delay_alu instid0(VALU_DEP_1) | instskip(NEXT) | instid1(VALU_DEP_1)
	v_cvt_u32_f32_e32 v1, v1
	v_readfirstlane_b32 s2, v1
	s_wait_alu 0xfffe
	s_mul_i32 s3, s3, s2
	s_wait_alu 0xfffe
	s_mul_hi_u32 s3, s2, s3
	s_wait_alu 0xfffe
	s_add_co_i32 s2, s2, s3
	s_wait_alu 0xfffe
	s_mul_hi_u32 s2, s6, s2
	s_wait_alu 0xfffe
	s_mul_i32 s3, s2, s22
	s_add_co_i32 s4, s2, 1
	s_wait_alu 0xfffe
	s_sub_co_i32 s3, s6, s3
	s_wait_alu 0xfffe
	s_sub_co_i32 s5, s3, s22
	s_cmp_ge_u32 s3, s22
	s_cselect_b32 s2, s4, s2
	s_wait_alu 0xfffe
	s_cselect_b32 s3, s5, s3
	s_add_co_i32 s4, s2, 1
	s_wait_alu 0xfffe
	s_cmp_ge_u32 s3, s22
	s_cselect_b32 s28, s4, s2
.LBB20_44:
	s_lshl_b64 s[2:3], s[16:17], 3
	v_sub_co_u32 v1, s7, v0, s24
	s_wait_alu 0xfffe
	s_add_nc_u64 s[26:27], s[8:9], s[2:3]
	s_load_b64 s[4:5], s[26:27], 0x0
	s_load_b128 s[0:3], s[0:1], 0x8
	v_sub_co_ci_u32_e64 v2, null, 0, 0, s7
	s_wait_kmcnt 0x0
	v_add_co_u32 v6, vcc_lo, s4, v1
	s_wait_alu 0xfffd
	s_delay_alu instid0(VALU_DEP_2) | instskip(SKIP_1) | instid1(VALU_DEP_3)
	v_add_co_ci_u32_e64 v7, null, s5, v2, vcc_lo
	v_mov_b32_e32 v1, 0
	v_add_co_u32 v8, vcc_lo, 0x300, v6
	s_wait_alu 0xfffd
	s_delay_alu instid0(VALU_DEP_3) | instskip(NEXT) | instid1(VALU_DEP_1)
	v_add_co_ci_u32_e64 v9, null, 0, v7, vcc_lo
	v_cmp_le_i64_e32 vcc_lo, s[0:1], v[8:9]
	s_and_saveexec_b32 s0, vcc_lo
	s_wait_alu 0xfffe
	s_xor_b32 s7, exec_lo, s0
	s_cbranch_execnz .LBB20_47
; %bb.45:
	s_wait_alu 0xfffe
	s_or_saveexec_b32 s1, s7
	v_lshlrev_b64_e32 v[2:3], 3, v[6:7]
	s_wait_alu 0xfffe
	s_xor_b32 exec_lo, exec_lo, s1
	s_cbranch_execnz .LBB20_51
.LBB20_46:
	s_or_b32 exec_lo, exec_lo, s1
	s_delay_alu instid0(SALU_CYCLE_1)
	s_mov_b32 s1, exec_lo
	v_cmpx_gt_i64_e64 s[2:3], v[0:1]
	s_cbranch_execnz .LBB20_52
	s_branch .LBB20_54
.LBB20_47:
	s_lshl_b64 s[0:1], s[18:19], 3
	s_mov_b32 s29, exec_lo
	s_wait_alu 0xfffe
	s_add_nc_u64 s[0:1], s[8:9], s[0:1]
	s_load_b64 s[0:1], s[0:1], 0x0
	s_wait_kmcnt 0x0
	s_sub_nc_u64 s[30:31], s[0:1], s[4:5]
	s_wait_alu 0xfffe
	v_cmpx_gt_i64_e64 s[30:31], v[0:1]
	s_cbranch_execz .LBB20_50
; %bb.48:
	v_lshlrev_b64_e32 v[2:3], 3, v[6:7]
	v_dual_mov_b32 v12, v18 :: v_dual_mov_b32 v5, v1
	v_mov_b32_e32 v4, v0
	s_mov_b32 s33, 0
	s_delay_alu instid0(VALU_DEP_3)
	v_add_co_u32 v2, s0, s12, v2
	s_wait_alu 0xf1ff
	v_add_co_ci_u32_e64 v3, null, s13, v3, s0
.LBB20_49:                              ; =>This Inner Loop Header: Depth=1
	global_load_b64 v[13:14], v[2:3], off
	v_add_co_u32 v4, s0, 0x100, v4
	s_wait_alu 0xf1ff
	v_add_co_ci_u32_e64 v5, null, 0, v5, s0
	v_add_co_u32 v2, s0, 0x800, v2
	s_wait_alu 0xf1ff
	v_add_co_ci_u32_e64 v3, null, 0, v3, s0
	s_delay_alu instid0(VALU_DEP_3)
	v_cmp_le_i64_e64 s1, s[30:31], v[4:5]
	s_or_b32 s33, s1, s33
	s_wait_loadcnt 0x0
	v_mul_f64_e32 v[13:14], v[10:11], v[13:14]
	ds_store_b64 v12, v[13:14]
	v_add_nc_u32_e32 v12, 0x800, v12
	s_and_not1_b32 exec_lo, exec_lo, s33
	s_cbranch_execnz .LBB20_49
.LBB20_50:
	s_or_b32 exec_lo, exec_lo, s29
                                        ; implicit-def: $vgpr10_vgpr11
	s_or_saveexec_b32 s1, s7
	v_lshlrev_b64_e32 v[2:3], 3, v[6:7]
	s_wait_alu 0xfffe
	s_xor_b32 exec_lo, exec_lo, s1
	s_cbranch_execz .LBB20_46
.LBB20_51:
	s_delay_alu instid0(VALU_DEP_1)
	v_add_co_u32 v4, s0, s12, v2
	s_wait_alu 0xf1ff
	v_add_co_ci_u32_e64 v5, null, s13, v3, s0
	s_clause 0x3
	global_load_b64 v[12:13], v[4:5], off
	global_load_b64 v[14:15], v[4:5], off offset:2048
	global_load_b64 v[16:17], v[4:5], off offset:4096
	;; [unrolled: 1-line block ×3, first 2 shown]
	s_wait_loadcnt 0x3
	v_mul_f64_e32 v[12:13], v[10:11], v[12:13]
	s_wait_loadcnt 0x2
	v_mul_f64_e32 v[14:15], v[10:11], v[14:15]
	;; [unrolled: 2-line block ×4, first 2 shown]
	ds_store_2addr_stride64_b64 v18, v[12:13], v[14:15] offset1:4
	ds_store_2addr_stride64_b64 v18, v[16:17], v[4:5] offset0:8 offset1:12
	s_or_b32 exec_lo, exec_lo, s1
	s_delay_alu instid0(SALU_CYCLE_1)
	s_mov_b32 s1, exec_lo
	v_cmpx_gt_i64_e64 s[2:3], v[0:1]
	s_cbranch_execz .LBB20_54
.LBB20_52:
	v_dual_mov_b32 v4, 0 :: v_dual_mov_b32 v11, v1
	v_lshl_add_u32 v12, v0, 3, 0x2000
	s_mov_b32 s7, 0
	s_delay_alu instid0(VALU_DEP_2)
	v_dual_mov_b32 v10, v0 :: v_dual_mov_b32 v5, v4
.LBB20_53:                              ; =>This Inner Loop Header: Depth=1
	s_delay_alu instid0(VALU_DEP_1)
	v_add_co_u32 v10, s0, 0x100, v10
	s_wait_alu 0xf1ff
	v_add_co_ci_u32_e64 v11, null, 0, v11, s0
	ds_store_b64 v12, v[4:5]
	v_add_nc_u32_e32 v12, 0x800, v12
	v_cmp_le_i64_e64 s0, s[2:3], v[10:11]
	s_wait_alu 0xfffe
	s_or_b32 s7, s0, s7
	s_wait_alu 0xfffe
	s_and_not1_b32 exec_lo, exec_lo, s7
	s_cbranch_execnz .LBB20_53
.LBB20_54:
	s_wait_alu 0xfffe
	s_or_b32 exec_lo, exec_lo, s1
	v_cmp_ge_i64_e64 s7, s[18:19], s[2:3]
	s_sub_nc_u64 s[0:1], s[18:19], s[2:3]
	s_wait_loadcnt_dscnt 0x0
	s_barrier_signal -1
	s_barrier_wait -1
	global_inv scope:SCOPE_SE
	s_and_b32 s7, s7, exec_lo
	s_wait_alu 0xfffe
	s_cselect_b32 s13, s1, 0
	s_cselect_b32 s12, s0, 0
	s_and_saveexec_b32 s0, vcc_lo
	s_wait_alu 0xfffe
	s_xor_b32 s7, exec_lo, s0
	s_cbranch_execz .LBB20_75
; %bb.55:
	s_lshl_b64 s[0:1], s[18:19], 3
	s_mov_b32 s29, exec_lo
	s_wait_alu 0xfffe
	s_add_nc_u64 s[0:1], s[8:9], s[0:1]
	s_load_b64 s[0:1], s[0:1], 0x0
	s_wait_kmcnt 0x0
	s_sub_nc_u64 s[30:31], s[0:1], s[4:5]
	s_wait_alu 0xfffe
	v_cmpx_gt_i64_e64 s[30:31], v[0:1]
	s_cbranch_execz .LBB20_74
; %bb.56:
	s_add_nc_u64 s[34:35], s[18:19], -2
	s_sub_nc_u64 s[36:37], s[0:1], s[24:25]
	s_wait_alu 0xfffe
	s_cmp_lg_u64 s[16:17], s[34:35]
	s_add_nc_u64 s[34:35], s[18:19], -1
	s_cselect_b32 s33, -1, 0
	s_mov_b64 s[38:39], 0
	s_mov_b32 s1, 0
	s_branch .LBB20_59
.LBB20_57:                              ;   in Loop: Header=BB20_59 Depth=1
	s_wait_alu 0xfffe
	s_or_b32 exec_lo, exec_lo, s0
.LBB20_58:                              ;   in Loop: Header=BB20_59 Depth=1
	s_delay_alu instid0(SALU_CYCLE_1)
	s_or_b32 exec_lo, exec_lo, s40
	v_lshlrev_b64_e32 v[2:3], 3, v[8:9]
	s_add_nc_u64 s[38:39], s[38:39], 0x100
	s_wait_alu 0xfffe
	v_add_co_u32 v4, s0, s38, v0
	s_wait_alu 0xf1ff
	v_add_co_ci_u32_e64 v5, null, s39, 0, s0
	v_add_co_u32 v2, vcc_lo, s14, v2
	s_wait_alu 0xfffd
	v_add_co_ci_u32_e64 v3, null, s15, v3, vcc_lo
	s_delay_alu instid0(VALU_DEP_3)
	v_cmp_le_i64_e32 vcc_lo, s[30:31], v[4:5]
	v_lshlrev_b32_e32 v4, 3, v16
	global_load_b64 v[2:3], v[2:3], off
	s_or_b32 s1, vcc_lo, s1
	s_wait_loadcnt_dscnt 0x0
	v_mul_f64_e32 v[2:3], v[2:3], v[10:11]
	ds_store_b64 v4, v[2:3]
	s_wait_alu 0xfffe
	s_and_not1_b32 exec_lo, exec_lo, s1
	s_cbranch_execz .LBB20_74
.LBB20_59:                              ; =>This Loop Header: Depth=1
                                        ;     Child Loop BB20_61 Depth 2
                                        ;     Child Loop BB20_68 Depth 2
	;; [unrolled: 1-line block ×3, first 2 shown]
	v_add_co_u32 v2, vcc_lo, s38, v6
	s_wait_alu 0xfffd
	v_add_co_ci_u32_e64 v3, null, s39, v7, vcc_lo
	v_dual_mov_b32 v4, s16 :: v_dual_mov_b32 v5, s17
	s_wait_alu 0xfffe
	v_dual_mov_b32 v10, s34 :: v_dual_mov_b32 v11, s35
	s_and_not1_b32 vcc_lo, exec_lo, s33
	s_wait_alu 0xfffe
	s_cbranch_vccnz .LBB20_63
; %bb.60:                               ;   in Loop: Header=BB20_59 Depth=1
	v_dual_mov_b32 v4, s16 :: v_dual_mov_b32 v5, s17
	v_dual_mov_b32 v10, s34 :: v_dual_mov_b32 v11, s35
	s_mov_b32 s40, 0
.LBB20_61:                              ;   Parent Loop BB20_59 Depth=1
                                        ; =>  This Inner Loop Header: Depth=2
	s_delay_alu instid0(VALU_DEP_1) | instskip(SKIP_1) | instid1(VALU_DEP_2)
	v_add_co_u32 v8, vcc_lo, v10, v4
	s_wait_alu 0xfffd
	v_add_co_ci_u32_e64 v9, null, v11, v5, vcc_lo
	s_delay_alu instid0(VALU_DEP_1) | instskip(NEXT) | instid1(VALU_DEP_1)
	v_lshrrev_b32_e32 v12, 31, v9
	v_add_co_u32 v8, vcc_lo, v8, v12
	s_wait_alu 0xfffd
	v_add_co_ci_u32_e64 v9, null, 0, v9, vcc_lo
	s_delay_alu instid0(VALU_DEP_1) | instskip(NEXT) | instid1(VALU_DEP_1)
	v_ashrrev_i64 v[8:9], 1, v[8:9]
	v_lshlrev_b64_e32 v[12:13], 3, v[8:9]
	s_delay_alu instid0(VALU_DEP_1) | instskip(SKIP_1) | instid1(VALU_DEP_2)
	v_add_co_u32 v12, vcc_lo, s8, v12
	s_wait_alu 0xfffd
	v_add_co_ci_u32_e64 v13, null, s9, v13, vcc_lo
	global_load_b64 v[12:13], v[12:13], off
	s_wait_loadcnt 0x0
	v_sub_co_u32 v12, vcc_lo, v12, s24
	s_wait_alu 0xfffd
	v_subrev_co_ci_u32_e64 v13, null, 0, v13, vcc_lo
	s_delay_alu instid0(VALU_DEP_1) | instskip(SKIP_3) | instid1(VALU_DEP_2)
	v_cmp_lt_i64_e32 vcc_lo, v[2:3], v[12:13]
	s_wait_alu 0xfffd
	v_dual_cndmask_b32 v11, v11, v9 :: v_dual_cndmask_b32 v10, v10, v8
	v_dual_cndmask_b32 v5, v9, v5 :: v_dual_cndmask_b32 v4, v8, v4
	v_add_co_u32 v8, vcc_lo, v10, -1
	s_wait_alu 0xfffd
	s_delay_alu instid0(VALU_DEP_3) | instskip(NEXT) | instid1(VALU_DEP_3)
	v_add_co_ci_u32_e64 v9, null, -1, v11, vcc_lo
	v_cmp_ge_i64_e32 vcc_lo, v[4:5], v[10:11]
	s_delay_alu instid0(VALU_DEP_2)
	v_cmp_eq_u64_e64 s0, v[4:5], v[8:9]
	s_or_b32 s0, vcc_lo, s0
	s_wait_alu 0xfffe
	s_and_b32 s0, exec_lo, s0
	s_wait_alu 0xfffe
	s_or_b32 s40, s0, s40
	s_delay_alu instid0(SALU_CYCLE_1)
	s_and_not1_b32 exec_lo, exec_lo, s40
	s_cbranch_execnz .LBB20_61
; %bb.62:                               ;   in Loop: Header=BB20_59 Depth=1
	s_or_b32 exec_lo, exec_lo, s40
.LBB20_63:                              ;   in Loop: Header=BB20_59 Depth=1
	s_delay_alu instid0(VALU_DEP_1) | instskip(SKIP_2) | instid1(VALU_DEP_3)
	v_lshlrev_b64_e32 v[8:9], 3, v[10:11]
	v_lshlrev_b64_e32 v[12:13], 3, v[2:3]
	v_add_co_u32 v16, null, s38, v0
	v_add_co_u32 v8, vcc_lo, s8, v8
	s_wait_alu 0xfffd
	s_delay_alu instid0(VALU_DEP_4) | instskip(NEXT) | instid1(VALU_DEP_4)
	v_add_co_ci_u32_e64 v9, null, s9, v9, vcc_lo
	v_add_co_u32 v12, vcc_lo, s10, v12
	s_wait_alu 0xfffd
	v_add_co_ci_u32_e64 v13, null, s11, v13, vcc_lo
	global_load_b64 v[8:9], v[8:9], off
	v_lshlrev_b32_e32 v14, 3, v16
	global_load_b64 v[12:13], v[12:13], off
	s_wait_loadcnt 0x1
	v_sub_co_u32 v8, vcc_lo, v8, s24
	s_wait_alu 0xfffd
	v_subrev_co_ci_u32_e64 v9, null, 0, v9, vcc_lo
	s_delay_alu instid0(VALU_DEP_1)
	v_cmp_lt_i64_e32 vcc_lo, v[2:3], v[8:9]
	s_wait_loadcnt 0x0
	v_sub_co_u32 v8, s0, v12, s24
	s_wait_alu 0xf1ff
	v_subrev_co_ci_u32_e64 v9, null, 0, v13, s0
	v_cmp_le_i64_e64 s0, s[36:37], v[2:3]
	s_wait_alu 0xfffd
	v_dual_cndmask_b32 v5, v11, v5 :: v_dual_cndmask_b32 v4, v10, v4
                                        ; implicit-def: $vgpr10_vgpr11
	s_delay_alu instid0(VALU_DEP_1) | instskip(SKIP_3) | instid1(SALU_CYCLE_1)
	v_cmp_eq_u64_e32 vcc_lo, v[8:9], v[4:5]
	s_or_b32 s0, vcc_lo, s0
	s_wait_alu 0xfffe
	s_and_saveexec_b32 s40, s0
	s_xor_b32 s0, exec_lo, s40
; %bb.64:                               ;   in Loop: Header=BB20_59 Depth=1
	ds_load_b64 v[10:11], v14
                                        ; implicit-def: $vgpr4_vgpr5
                                        ; implicit-def: $vgpr14
; %bb.65:                               ;   in Loop: Header=BB20_59 Depth=1
	s_wait_alu 0xfffe
	s_and_not1_saveexec_b32 s40, s0
	s_cbranch_execz .LBB20_58
; %bb.66:                               ;   in Loop: Header=BB20_59 Depth=1
	v_cmp_gt_i64_e32 vcc_lo, s[12:13], v[8:9]
	v_cmp_le_i64_e64 s0, s[18:19], v[8:9]
	v_lshlrev_b64_e32 v[2:3], 3, v[4:5]
                                        ; implicit-def: $vgpr10_vgpr11
	s_or_b32 s0, vcc_lo, s0
	s_wait_alu 0xfffe
	s_and_saveexec_b32 s41, s0
	s_delay_alu instid0(SALU_CYCLE_1)
	s_xor_b32 s0, exec_lo, s41
	s_cbranch_execz .LBB20_70
; %bb.67:                               ;   in Loop: Header=BB20_59 Depth=1
	v_add_co_u32 v2, vcc_lo, s14, v2
	s_wait_alu 0xfffd
	v_add_co_ci_u32_e64 v3, null, s15, v3, vcc_lo
	v_lshlrev_b64_e32 v[4:5], 3, v[8:9]
	s_wait_dscnt 0x0
	ds_load_b64 v[10:11], v14
	s_mov_b32 s41, 0
	global_load_b64 v[2:3], v[2:3], off
	v_add_co_u32 v12, vcc_lo, s20, v4
	s_wait_alu 0xfffd
	v_add_co_ci_u32_e64 v13, null, s21, v5, vcc_lo
	global_load_b64 v[4:5], v[12:13], off
	s_wait_loadcnt_dscnt 0x100
	v_mul_f64_e32 v[14:15], v[10:11], v[2:3]
.LBB20_68:                              ;   Parent Loop BB20_59 Depth=1
                                        ; =>  This Inner Loop Header: Depth=2
	s_wait_loadcnt 0x0
	s_delay_alu instid0(VALU_DEP_1)
	v_add_f64_e32 v[2:3], v[4:5], v[14:15]
	global_atomic_cmpswap_b64 v[2:3], v[12:13], v[2:5], off th:TH_ATOMIC_RETURN scope:SCOPE_DEV
	s_wait_loadcnt 0x0
	v_cmp_eq_u64_e32 vcc_lo, v[2:3], v[4:5]
	v_dual_mov_b32 v5, v3 :: v_dual_mov_b32 v4, v2
	s_or_b32 s41, vcc_lo, s41
	s_delay_alu instid0(SALU_CYCLE_1)
	s_and_not1_b32 exec_lo, exec_lo, s41
	s_cbranch_execnz .LBB20_68
; %bb.69:                               ;   in Loop: Header=BB20_59 Depth=1
	s_or_b32 exec_lo, exec_lo, s41
                                        ; implicit-def: $vgpr14
                                        ; implicit-def: $vgpr2_vgpr3
.LBB20_70:                              ;   in Loop: Header=BB20_59 Depth=1
	s_wait_alu 0xfffe
	s_and_not1_saveexec_b32 s0, s0
	s_cbranch_execz .LBB20_57
; %bb.71:                               ;   in Loop: Header=BB20_59 Depth=1
	v_add_co_u32 v2, vcc_lo, s14, v2
	s_wait_alu 0xfffd
	v_add_co_ci_u32_e64 v3, null, s15, v3, vcc_lo
	s_wait_dscnt 0x0
	ds_load_b64 v[10:11], v14
	v_subrev_nc_u32_e32 v4, s12, v8
	s_mov_b32 s41, 0
	global_load_b64 v[2:3], v[2:3], off
	v_lshl_add_u32 v12, v4, 3, 0x2000
	ds_load_b64 v[4:5], v12
	s_wait_loadcnt_dscnt 0x1
	v_mul_f64_e32 v[2:3], v[10:11], v[2:3]
.LBB20_72:                              ;   Parent Loop BB20_59 Depth=1
                                        ; =>  This Inner Loop Header: Depth=2
	s_wait_dscnt 0x0
	s_delay_alu instid0(VALU_DEP_1)
	v_add_f64_e32 v[13:14], v[4:5], v[2:3]
	ds_cmpstore_rtn_b64 v[13:14], v12, v[13:14], v[4:5]
	s_wait_dscnt 0x0
	v_cmp_eq_u64_e32 vcc_lo, v[13:14], v[4:5]
	v_dual_mov_b32 v4, v13 :: v_dual_mov_b32 v5, v14
	s_or_b32 s41, vcc_lo, s41
	s_delay_alu instid0(SALU_CYCLE_1)
	s_and_not1_b32 exec_lo, exec_lo, s41
	s_cbranch_execnz .LBB20_72
; %bb.73:                               ;   in Loop: Header=BB20_59 Depth=1
	s_or_b32 exec_lo, exec_lo, s41
	s_branch .LBB20_57
.LBB20_74:
	s_or_b32 exec_lo, exec_lo, s29
                                        ; implicit-def: $vgpr8_vgpr9
                                        ; implicit-def: $vgpr6
                                        ; implicit-def: $vgpr2_vgpr3
.LBB20_75:
	s_wait_alu 0xfffe
	s_and_not1_saveexec_b32 s1, s7
	s_cbranch_execz .LBB20_133
; %bb.76:
	s_add_nc_u64 s[30:31], s[18:19], -1
	s_add_nc_u64 s[34:35], s[18:19], -2
	v_dual_mov_b32 v4, s16 :: v_dual_mov_b32 v5, s17
	s_wait_alu 0xfffe
	v_dual_mov_b32 v12, s30 :: v_dual_mov_b32 v13, s31
	s_cmp_lg_u64 s[16:17], s[34:35]
	s_cselect_b32 s7, -1, 0
	s_cmp_eq_u64 s[16:17], s[34:35]
	s_cbranch_scc1 .LBB20_80
; %bb.77:
	v_dual_mov_b32 v4, s16 :: v_dual_mov_b32 v5, s17
	v_dual_mov_b32 v12, s30 :: v_dual_mov_b32 v13, s31
	s_mov_b32 s29, 0
.LBB20_78:                              ; =>This Inner Loop Header: Depth=1
	s_delay_alu instid0(VALU_DEP_1) | instskip(SKIP_1) | instid1(VALU_DEP_2)
	v_add_co_u32 v10, vcc_lo, v12, v4
	s_wait_alu 0xfffd
	v_add_co_ci_u32_e64 v11, null, v13, v5, vcc_lo
	s_delay_alu instid0(VALU_DEP_1) | instskip(NEXT) | instid1(VALU_DEP_1)
	v_lshrrev_b32_e32 v14, 31, v11
	v_add_co_u32 v10, vcc_lo, v10, v14
	s_wait_alu 0xfffd
	v_add_co_ci_u32_e64 v11, null, 0, v11, vcc_lo
	s_delay_alu instid0(VALU_DEP_1) | instskip(NEXT) | instid1(VALU_DEP_1)
	v_ashrrev_i64 v[10:11], 1, v[10:11]
	v_lshlrev_b64_e32 v[14:15], 3, v[10:11]
	s_delay_alu instid0(VALU_DEP_1) | instskip(SKIP_1) | instid1(VALU_DEP_2)
	v_add_co_u32 v14, vcc_lo, s8, v14
	s_wait_alu 0xfffd
	v_add_co_ci_u32_e64 v15, null, s9, v15, vcc_lo
	global_load_b64 v[14:15], v[14:15], off
	s_wait_loadcnt 0x0
	v_sub_co_u32 v14, vcc_lo, v14, s24
	s_wait_alu 0xfffd
	v_subrev_co_ci_u32_e64 v15, null, 0, v15, vcc_lo
	s_delay_alu instid0(VALU_DEP_1) | instskip(SKIP_3) | instid1(VALU_DEP_2)
	v_cmp_lt_i64_e32 vcc_lo, v[6:7], v[14:15]
	s_wait_alu 0xfffd
	v_dual_cndmask_b32 v13, v13, v11 :: v_dual_cndmask_b32 v12, v12, v10
	v_dual_cndmask_b32 v5, v11, v5 :: v_dual_cndmask_b32 v4, v10, v4
	v_add_co_u32 v10, vcc_lo, v12, -1
	s_wait_alu 0xfffd
	s_delay_alu instid0(VALU_DEP_3) | instskip(NEXT) | instid1(VALU_DEP_3)
	v_add_co_ci_u32_e64 v11, null, -1, v13, vcc_lo
	v_cmp_ge_i64_e32 vcc_lo, v[4:5], v[12:13]
	s_delay_alu instid0(VALU_DEP_2)
	v_cmp_eq_u64_e64 s0, v[4:5], v[10:11]
	s_or_b32 s0, vcc_lo, s0
	s_wait_alu 0xfffe
	s_and_b32 s0, exec_lo, s0
	s_wait_alu 0xfffe
	s_or_b32 s29, s0, s29
	s_delay_alu instid0(SALU_CYCLE_1)
	s_and_not1_b32 exec_lo, exec_lo, s29
	s_cbranch_execnz .LBB20_78
; %bb.79:
	s_or_b32 exec_lo, exec_lo, s29
.LBB20_80:
	v_lshlrev_b64_e32 v[10:11], 3, v[12:13]
	s_mov_b32 s29, exec_lo
	s_delay_alu instid0(VALU_DEP_1) | instskip(SKIP_1) | instid1(VALU_DEP_2)
	v_add_co_u32 v10, vcc_lo, s8, v10
	s_wait_alu 0xfffd
	v_add_co_ci_u32_e64 v11, null, s9, v11, vcc_lo
	global_load_b64 v[14:15], v[10:11], off
	v_add_co_u32 v10, vcc_lo, s10, v2
	s_wait_alu 0xfffd
	v_add_co_ci_u32_e64 v11, null, s11, v3, vcc_lo
	s_lshl_b64 s[10:11], s[18:19], 3
	s_wait_alu 0xfffe
	s_add_nc_u64 s[10:11], s[8:9], s[10:11]
	global_load_b64 v[16:17], v[10:11], off
	s_wait_loadcnt 0x1
	v_sub_co_u32 v2, vcc_lo, v14, s24
	s_wait_alu 0xfffd
	v_subrev_co_ci_u32_e64 v3, null, 0, v15, vcc_lo
	s_delay_alu instid0(VALU_DEP_1)
	v_cmp_lt_i64_e32 vcc_lo, v[6:7], v[2:3]
	s_wait_alu 0xfffd
	v_dual_cndmask_b32 v3, v13, v5 :: v_dual_cndmask_b32 v2, v12, v4
	s_wait_loadcnt 0x0
	v_sub_co_u32 v12, vcc_lo, v16, s24
	s_wait_alu 0xfffd
	v_subrev_co_ci_u32_e64 v13, null, 0, v17, vcc_lo
	s_delay_alu instid0(VALU_DEP_1)
	v_cmpx_ne_u64_e64 v[12:13], v[2:3]
	s_cbranch_execz .LBB20_90
; %bb.81:
	s_load_b64 s[34:35], s[10:11], 0x0
	s_wait_kmcnt 0x0
	s_sub_nc_u64 s[34:35], s[34:35], s[24:25]
	s_wait_alu 0xfffe
	v_cmp_gt_i64_e32 vcc_lo, s[34:35], v[6:7]
	s_and_b32 exec_lo, exec_lo, vcc_lo
	s_cbranch_execz .LBB20_90
; %bb.82:
	v_cmp_gt_i64_e32 vcc_lo, s[12:13], v[12:13]
	v_cmp_le_i64_e64 s0, s[18:19], v[12:13]
	v_lshlrev_b64_e32 v[2:3], 3, v[2:3]
	s_or_b32 s0, vcc_lo, s0
	s_wait_alu 0xfffe
	s_and_saveexec_b32 s33, s0
	s_delay_alu instid0(SALU_CYCLE_1)
	s_xor_b32 s0, exec_lo, s33
	s_cbranch_execz .LBB20_86
; %bb.83:
	v_add_co_u32 v2, vcc_lo, s14, v2
	s_wait_alu 0xfffd
	v_add_co_ci_u32_e64 v3, null, s15, v3, vcc_lo
	v_lshlrev_b64_e32 v[4:5], 3, v[12:13]
	ds_load_b64 v[16:17], v18
	s_mov_b32 s33, 0
	global_load_b64 v[2:3], v[2:3], off
	v_add_co_u32 v14, vcc_lo, s20, v4
	s_wait_alu 0xfffd
	v_add_co_ci_u32_e64 v15, null, s21, v5, vcc_lo
	global_load_b64 v[4:5], v[14:15], off
	s_wait_loadcnt_dscnt 0x100
	v_mul_f64_e32 v[16:17], v[16:17], v[2:3]
.LBB20_84:                              ; =>This Inner Loop Header: Depth=1
	s_wait_loadcnt 0x0
	s_delay_alu instid0(VALU_DEP_1)
	v_add_f64_e32 v[2:3], v[4:5], v[16:17]
	global_atomic_cmpswap_b64 v[2:3], v[14:15], v[2:5], off th:TH_ATOMIC_RETURN scope:SCOPE_DEV
	s_wait_loadcnt 0x0
	v_cmp_eq_u64_e32 vcc_lo, v[2:3], v[4:5]
	v_dual_mov_b32 v5, v3 :: v_dual_mov_b32 v4, v2
	s_or_b32 s33, vcc_lo, s33
	s_delay_alu instid0(SALU_CYCLE_1)
	s_and_not1_b32 exec_lo, exec_lo, s33
	s_cbranch_execnz .LBB20_84
; %bb.85:
	s_or_b32 exec_lo, exec_lo, s33
                                        ; implicit-def: $vgpr2_vgpr3
.LBB20_86:
	s_wait_alu 0xfffe
	s_and_not1_saveexec_b32 s0, s0
	s_cbranch_execz .LBB20_90
; %bb.87:
	v_add_co_u32 v2, vcc_lo, s14, v2
	s_wait_alu 0xfffd
	v_add_co_ci_u32_e64 v3, null, s15, v3, vcc_lo
	ds_load_b64 v[4:5], v18
	s_mov_b32 s0, 0
	global_load_b64 v[2:3], v[2:3], off
	s_wait_loadcnt_dscnt 0x0
	v_mul_f64_e32 v[2:3], v[4:5], v[2:3]
	v_subrev_nc_u32_e32 v4, s12, v12
	s_delay_alu instid0(VALU_DEP_1)
	v_lshl_add_u32 v14, v4, 3, 0x2000
	ds_load_b64 v[4:5], v14
.LBB20_88:                              ; =>This Inner Loop Header: Depth=1
	s_wait_dscnt 0x0
	v_add_f64_e32 v[15:16], v[4:5], v[2:3]
	ds_cmpstore_rtn_b64 v[15:16], v14, v[15:16], v[4:5]
	s_wait_dscnt 0x0
	v_cmp_eq_u64_e32 vcc_lo, v[15:16], v[4:5]
	v_dual_mov_b32 v4, v15 :: v_dual_mov_b32 v5, v16
	s_wait_alu 0xfffe
	s_or_b32 s0, vcc_lo, s0
	s_wait_alu 0xfffe
	s_and_not1_b32 exec_lo, exec_lo, s0
	s_cbranch_execnz .LBB20_88
; %bb.89:
	s_or_b32 exec_lo, exec_lo, s0
.LBB20_90:
	s_delay_alu instid0(SALU_CYCLE_1)
	s_or_b32 exec_lo, exec_lo, s29
	v_lshlrev_b64_e32 v[2:3], 3, v[12:13]
	ds_load_b64 v[4:5], v18
	v_cndmask_b32_e64 v19, 0, 1, s7
	v_dual_mov_b32 v12, s30 :: v_dual_mov_b32 v13, s31
	v_add_co_u32 v2, vcc_lo, s14, v2
	s_wait_alu 0xfffd
	v_add_co_ci_u32_e64 v3, null, s15, v3, vcc_lo
	global_load_b64 v[2:3], v[2:3], off
	s_wait_loadcnt_dscnt 0x0
	v_mul_f64_e32 v[14:15], v[2:3], v[4:5]
	v_add_co_u32 v2, vcc_lo, 0x100, v6
	s_wait_alu 0xfffd
	v_add_co_ci_u32_e64 v3, null, 0, v7, vcc_lo
	v_dual_mov_b32 v4, s16 :: v_dual_mov_b32 v5, s17
	s_and_not1_b32 vcc_lo, exec_lo, s7
	ds_store_b64 v18, v[14:15]
	s_wait_alu 0xfffe
	s_cbranch_vccnz .LBB20_94
; %bb.91:
	v_dual_mov_b32 v4, s16 :: v_dual_mov_b32 v5, s17
	v_dual_mov_b32 v12, s30 :: v_dual_mov_b32 v13, s31
	s_mov_b32 s7, 0
.LBB20_92:                              ; =>This Inner Loop Header: Depth=1
	s_delay_alu instid0(VALU_DEP_1) | instskip(SKIP_1) | instid1(VALU_DEP_2)
	v_add_co_u32 v14, vcc_lo, v12, v4
	s_wait_alu 0xfffd
	v_add_co_ci_u32_e64 v15, null, v13, v5, vcc_lo
	s_delay_alu instid0(VALU_DEP_1) | instskip(NEXT) | instid1(VALU_DEP_1)
	v_lshrrev_b32_e32 v16, 31, v15
	v_add_co_u32 v14, vcc_lo, v14, v16
	s_wait_alu 0xfffd
	v_add_co_ci_u32_e64 v15, null, 0, v15, vcc_lo
	s_delay_alu instid0(VALU_DEP_1) | instskip(NEXT) | instid1(VALU_DEP_1)
	v_ashrrev_i64 v[14:15], 1, v[14:15]
	v_lshlrev_b64_e32 v[16:17], 3, v[14:15]
	s_delay_alu instid0(VALU_DEP_1) | instskip(SKIP_1) | instid1(VALU_DEP_2)
	v_add_co_u32 v16, vcc_lo, s8, v16
	s_wait_alu 0xfffd
	v_add_co_ci_u32_e64 v17, null, s9, v17, vcc_lo
	global_load_b64 v[16:17], v[16:17], off
	s_wait_loadcnt 0x0
	v_sub_co_u32 v16, vcc_lo, v16, s24
	s_wait_alu 0xfffd
	v_subrev_co_ci_u32_e64 v17, null, 0, v17, vcc_lo
	s_delay_alu instid0(VALU_DEP_1) | instskip(SKIP_3) | instid1(VALU_DEP_2)
	v_cmp_lt_i64_e32 vcc_lo, v[2:3], v[16:17]
	s_wait_alu 0xfffd
	v_dual_cndmask_b32 v13, v13, v15 :: v_dual_cndmask_b32 v12, v12, v14
	v_dual_cndmask_b32 v5, v15, v5 :: v_dual_cndmask_b32 v4, v14, v4
	v_add_co_u32 v14, vcc_lo, v12, -1
	s_wait_alu 0xfffd
	s_delay_alu instid0(VALU_DEP_3) | instskip(NEXT) | instid1(VALU_DEP_3)
	v_add_co_ci_u32_e64 v15, null, -1, v13, vcc_lo
	v_cmp_ge_i64_e32 vcc_lo, v[4:5], v[12:13]
	s_delay_alu instid0(VALU_DEP_2)
	v_cmp_eq_u64_e64 s0, v[4:5], v[14:15]
	s_or_b32 s0, vcc_lo, s0
	s_wait_alu 0xfffe
	s_and_b32 s0, exec_lo, s0
	s_wait_alu 0xfffe
	s_or_b32 s7, s0, s7
	s_wait_alu 0xfffe
	s_and_not1_b32 exec_lo, exec_lo, s7
	s_cbranch_execnz .LBB20_92
; %bb.93:
	s_or_b32 exec_lo, exec_lo, s7
.LBB20_94:
	v_lshlrev_b64_e32 v[14:15], 3, v[12:13]
	s_mov_b32 s7, exec_lo
	s_delay_alu instid0(VALU_DEP_1) | instskip(SKIP_1) | instid1(VALU_DEP_2)
	v_add_co_u32 v14, vcc_lo, s8, v14
	s_wait_alu 0xfffd
	v_add_co_ci_u32_e64 v15, null, s9, v15, vcc_lo
	global_load_b64 v[14:15], v[14:15], off
	global_load_b64 v[16:17], v[10:11], off offset:2048
	s_wait_loadcnt 0x1
	v_sub_co_u32 v14, vcc_lo, v14, s24
	s_wait_alu 0xfffd
	v_subrev_co_ci_u32_e64 v15, null, 0, v15, vcc_lo
	s_delay_alu instid0(VALU_DEP_1)
	v_cmp_lt_i64_e32 vcc_lo, v[2:3], v[14:15]
	s_wait_alu 0xfffd
	v_dual_cndmask_b32 v5, v13, v5 :: v_dual_cndmask_b32 v4, v12, v4
	s_wait_loadcnt 0x0
	v_sub_co_u32 v12, vcc_lo, v16, s24
	s_wait_alu 0xfffd
	v_subrev_co_ci_u32_e64 v13, null, 0, v17, vcc_lo
	s_delay_alu instid0(VALU_DEP_1)
	v_cmpx_ne_u64_e64 v[12:13], v[4:5]
	s_cbranch_execz .LBB20_104
; %bb.95:
	s_load_b64 s[34:35], s[10:11], 0x0
	s_wait_kmcnt 0x0
	s_sub_nc_u64 s[34:35], s[34:35], s[24:25]
	s_wait_alu 0xfffe
	v_cmp_gt_i64_e32 vcc_lo, s[34:35], v[2:3]
	s_and_b32 exec_lo, exec_lo, vcc_lo
	s_cbranch_execz .LBB20_104
; %bb.96:
	v_cmp_gt_i64_e32 vcc_lo, s[12:13], v[12:13]
	v_cmp_le_i64_e64 s0, s[18:19], v[12:13]
	v_lshlrev_b64_e32 v[2:3], 3, v[4:5]
	s_or_b32 s0, vcc_lo, s0
	s_wait_alu 0xfffe
	s_and_saveexec_b32 s29, s0
	s_delay_alu instid0(SALU_CYCLE_1)
	s_xor_b32 s0, exec_lo, s29
	s_cbranch_execz .LBB20_100
; %bb.97:
	v_add_co_u32 v2, vcc_lo, s14, v2
	s_wait_alu 0xfffd
	v_add_co_ci_u32_e64 v3, null, s15, v3, vcc_lo
	v_lshlrev_b64_e32 v[4:5], 3, v[12:13]
	ds_load_b64 v[16:17], v18 offset:2048
	s_mov_b32 s29, 0
	global_load_b64 v[2:3], v[2:3], off
	v_add_co_u32 v14, vcc_lo, s20, v4
	s_wait_alu 0xfffd
	v_add_co_ci_u32_e64 v15, null, s21, v5, vcc_lo
	global_load_b64 v[4:5], v[14:15], off
	s_wait_loadcnt_dscnt 0x100
	v_mul_f64_e32 v[16:17], v[16:17], v[2:3]
.LBB20_98:                              ; =>This Inner Loop Header: Depth=1
	s_wait_loadcnt 0x0
	s_delay_alu instid0(VALU_DEP_1)
	v_add_f64_e32 v[2:3], v[4:5], v[16:17]
	global_atomic_cmpswap_b64 v[2:3], v[14:15], v[2:5], off th:TH_ATOMIC_RETURN scope:SCOPE_DEV
	s_wait_loadcnt 0x0
	v_cmp_eq_u64_e32 vcc_lo, v[2:3], v[4:5]
	v_dual_mov_b32 v5, v3 :: v_dual_mov_b32 v4, v2
	s_or_b32 s29, vcc_lo, s29
	s_delay_alu instid0(SALU_CYCLE_1)
	s_and_not1_b32 exec_lo, exec_lo, s29
	s_cbranch_execnz .LBB20_98
; %bb.99:
	s_or_b32 exec_lo, exec_lo, s29
                                        ; implicit-def: $vgpr2_vgpr3
.LBB20_100:
	s_wait_alu 0xfffe
	s_and_not1_saveexec_b32 s0, s0
	s_cbranch_execz .LBB20_104
; %bb.101:
	v_add_co_u32 v2, vcc_lo, s14, v2
	s_wait_alu 0xfffd
	v_add_co_ci_u32_e64 v3, null, s15, v3, vcc_lo
	ds_load_b64 v[4:5], v18 offset:2048
	s_mov_b32 s0, 0
	global_load_b64 v[2:3], v[2:3], off
	s_wait_loadcnt_dscnt 0x0
	v_mul_f64_e32 v[2:3], v[4:5], v[2:3]
	v_subrev_nc_u32_e32 v4, s12, v12
	s_delay_alu instid0(VALU_DEP_1)
	v_lshl_add_u32 v14, v4, 3, 0x2000
	ds_load_b64 v[4:5], v14
.LBB20_102:                             ; =>This Inner Loop Header: Depth=1
	s_wait_dscnt 0x0
	v_add_f64_e32 v[15:16], v[4:5], v[2:3]
	ds_cmpstore_rtn_b64 v[15:16], v14, v[15:16], v[4:5]
	s_wait_dscnt 0x0
	v_cmp_eq_u64_e32 vcc_lo, v[15:16], v[4:5]
	v_dual_mov_b32 v4, v15 :: v_dual_mov_b32 v5, v16
	s_wait_alu 0xfffe
	s_or_b32 s0, vcc_lo, s0
	s_wait_alu 0xfffe
	s_and_not1_b32 exec_lo, exec_lo, s0
	s_cbranch_execnz .LBB20_102
; %bb.103:
	s_or_b32 exec_lo, exec_lo, s0
.LBB20_104:
	s_wait_alu 0xfffe
	s_or_b32 exec_lo, exec_lo, s7
	v_lshlrev_b64_e32 v[2:3], 3, v[12:13]
	ds_load_b64 v[4:5], v18 offset:2048
	v_add_co_u32 v2, vcc_lo, s14, v2
	s_wait_alu 0xfffd
	v_add_co_ci_u32_e64 v3, null, s15, v3, vcc_lo
	v_cmp_ne_u32_e32 vcc_lo, 1, v19
	global_load_b64 v[2:3], v[2:3], off
	s_and_b32 vcc_lo, exec_lo, vcc_lo
	s_wait_loadcnt_dscnt 0x0
	v_mul_f64_e32 v[12:13], v[2:3], v[4:5]
	v_add_co_u32 v2, s0, 0x200, v6
	s_wait_alu 0xf1ff
	v_add_co_ci_u32_e64 v3, null, 0, v7, s0
	v_dual_mov_b32 v4, s16 :: v_dual_mov_b32 v5, s17
	v_dual_mov_b32 v6, s30 :: v_dual_mov_b32 v7, s31
	ds_store_b64 v18, v[12:13] offset:2048
	s_wait_alu 0xfffe
	s_cbranch_vccnz .LBB20_108
; %bb.105:
	v_dual_mov_b32 v4, s16 :: v_dual_mov_b32 v5, s17
	v_dual_mov_b32 v6, s30 :: v_dual_mov_b32 v7, s31
	s_mov_b32 s7, 0
.LBB20_106:                             ; =>This Inner Loop Header: Depth=1
	s_delay_alu instid0(VALU_DEP_1) | instskip(SKIP_1) | instid1(VALU_DEP_2)
	v_add_co_u32 v12, vcc_lo, v6, v4
	s_wait_alu 0xfffd
	v_add_co_ci_u32_e64 v13, null, v7, v5, vcc_lo
	s_delay_alu instid0(VALU_DEP_1) | instskip(NEXT) | instid1(VALU_DEP_1)
	v_lshrrev_b32_e32 v14, 31, v13
	v_add_co_u32 v12, vcc_lo, v12, v14
	s_wait_alu 0xfffd
	v_add_co_ci_u32_e64 v13, null, 0, v13, vcc_lo
	s_delay_alu instid0(VALU_DEP_1) | instskip(NEXT) | instid1(VALU_DEP_1)
	v_ashrrev_i64 v[12:13], 1, v[12:13]
	v_lshlrev_b64_e32 v[14:15], 3, v[12:13]
	s_delay_alu instid0(VALU_DEP_1) | instskip(SKIP_1) | instid1(VALU_DEP_2)
	v_add_co_u32 v14, vcc_lo, s8, v14
	s_wait_alu 0xfffd
	v_add_co_ci_u32_e64 v15, null, s9, v15, vcc_lo
	global_load_b64 v[14:15], v[14:15], off
	s_wait_loadcnt 0x0
	v_sub_co_u32 v14, vcc_lo, v14, s24
	s_wait_alu 0xfffd
	v_subrev_co_ci_u32_e64 v15, null, 0, v15, vcc_lo
	s_delay_alu instid0(VALU_DEP_1) | instskip(SKIP_3) | instid1(VALU_DEP_2)
	v_cmp_lt_i64_e32 vcc_lo, v[2:3], v[14:15]
	s_wait_alu 0xfffd
	v_dual_cndmask_b32 v7, v7, v13 :: v_dual_cndmask_b32 v6, v6, v12
	v_dual_cndmask_b32 v5, v13, v5 :: v_dual_cndmask_b32 v4, v12, v4
	v_add_co_u32 v12, vcc_lo, v6, -1
	s_wait_alu 0xfffd
	s_delay_alu instid0(VALU_DEP_3) | instskip(NEXT) | instid1(VALU_DEP_3)
	v_add_co_ci_u32_e64 v13, null, -1, v7, vcc_lo
	v_cmp_ge_i64_e32 vcc_lo, v[4:5], v[6:7]
	s_delay_alu instid0(VALU_DEP_2)
	v_cmp_eq_u64_e64 s0, v[4:5], v[12:13]
	s_or_b32 s0, vcc_lo, s0
	s_wait_alu 0xfffe
	s_and_b32 s0, exec_lo, s0
	s_wait_alu 0xfffe
	s_or_b32 s7, s0, s7
	s_wait_alu 0xfffe
	s_and_not1_b32 exec_lo, exec_lo, s7
	s_cbranch_execnz .LBB20_106
; %bb.107:
	s_or_b32 exec_lo, exec_lo, s7
.LBB20_108:
	v_lshlrev_b64_e32 v[12:13], 3, v[6:7]
	s_mov_b32 s7, exec_lo
	s_delay_alu instid0(VALU_DEP_1) | instskip(SKIP_1) | instid1(VALU_DEP_2)
	v_add_co_u32 v12, vcc_lo, s8, v12
	s_wait_alu 0xfffd
	v_add_co_ci_u32_e64 v13, null, s9, v13, vcc_lo
	global_load_b64 v[12:13], v[12:13], off
	global_load_b64 v[14:15], v[10:11], off offset:4096
	s_wait_loadcnt 0x1
	v_sub_co_u32 v12, vcc_lo, v12, s24
	s_wait_alu 0xfffd
	v_subrev_co_ci_u32_e64 v13, null, 0, v13, vcc_lo
	s_delay_alu instid0(VALU_DEP_1)
	v_cmp_lt_i64_e32 vcc_lo, v[2:3], v[12:13]
	s_wait_alu 0xfffd
	v_dual_cndmask_b32 v5, v7, v5 :: v_dual_cndmask_b32 v4, v6, v4
	s_wait_loadcnt 0x0
	v_sub_co_u32 v6, vcc_lo, v14, s24
	s_wait_alu 0xfffd
	v_subrev_co_ci_u32_e64 v7, null, 0, v15, vcc_lo
	s_delay_alu instid0(VALU_DEP_1)
	v_cmpx_ne_u64_e64 v[6:7], v[4:5]
	s_cbranch_execz .LBB20_118
; %bb.109:
	s_load_b64 s[34:35], s[10:11], 0x0
	s_wait_kmcnt 0x0
	s_sub_nc_u64 s[34:35], s[34:35], s[24:25]
	s_wait_alu 0xfffe
	v_cmp_gt_i64_e32 vcc_lo, s[34:35], v[2:3]
	s_and_b32 exec_lo, exec_lo, vcc_lo
	s_cbranch_execz .LBB20_118
; %bb.110:
	v_cmp_gt_i64_e32 vcc_lo, s[12:13], v[6:7]
	v_cmp_le_i64_e64 s0, s[18:19], v[6:7]
	v_lshlrev_b64_e32 v[2:3], 3, v[4:5]
	s_or_b32 s0, vcc_lo, s0
	s_wait_alu 0xfffe
	s_and_saveexec_b32 s29, s0
	s_delay_alu instid0(SALU_CYCLE_1)
	s_xor_b32 s0, exec_lo, s29
	s_cbranch_execz .LBB20_114
; %bb.111:
	v_add_co_u32 v2, vcc_lo, s14, v2
	s_wait_alu 0xfffd
	v_add_co_ci_u32_e64 v3, null, s15, v3, vcc_lo
	v_lshlrev_b64_e32 v[4:5], 3, v[6:7]
	ds_load_b64 v[14:15], v18 offset:4096
	s_mov_b32 s29, 0
	global_load_b64 v[2:3], v[2:3], off
	v_add_co_u32 v12, vcc_lo, s20, v4
	s_wait_alu 0xfffd
	v_add_co_ci_u32_e64 v13, null, s21, v5, vcc_lo
	global_load_b64 v[4:5], v[12:13], off
	s_wait_loadcnt_dscnt 0x100
	v_mul_f64_e32 v[14:15], v[14:15], v[2:3]
.LBB20_112:                             ; =>This Inner Loop Header: Depth=1
	s_wait_loadcnt 0x0
	s_delay_alu instid0(VALU_DEP_1)
	v_add_f64_e32 v[2:3], v[4:5], v[14:15]
	global_atomic_cmpswap_b64 v[2:3], v[12:13], v[2:5], off th:TH_ATOMIC_RETURN scope:SCOPE_DEV
	s_wait_loadcnt 0x0
	v_cmp_eq_u64_e32 vcc_lo, v[2:3], v[4:5]
	v_dual_mov_b32 v5, v3 :: v_dual_mov_b32 v4, v2
	s_or_b32 s29, vcc_lo, s29
	s_delay_alu instid0(SALU_CYCLE_1)
	s_and_not1_b32 exec_lo, exec_lo, s29
	s_cbranch_execnz .LBB20_112
; %bb.113:
	s_or_b32 exec_lo, exec_lo, s29
                                        ; implicit-def: $vgpr2_vgpr3
.LBB20_114:
	s_wait_alu 0xfffe
	s_and_not1_saveexec_b32 s0, s0
	s_cbranch_execz .LBB20_118
; %bb.115:
	v_add_co_u32 v2, vcc_lo, s14, v2
	s_wait_alu 0xfffd
	v_add_co_ci_u32_e64 v3, null, s15, v3, vcc_lo
	ds_load_b64 v[4:5], v18 offset:4096
	s_mov_b32 s0, 0
	global_load_b64 v[2:3], v[2:3], off
	s_wait_loadcnt_dscnt 0x0
	v_mul_f64_e32 v[2:3], v[4:5], v[2:3]
	v_subrev_nc_u32_e32 v4, s12, v6
	s_delay_alu instid0(VALU_DEP_1)
	v_lshl_add_u32 v12, v4, 3, 0x2000
	ds_load_b64 v[4:5], v12
.LBB20_116:                             ; =>This Inner Loop Header: Depth=1
	s_wait_dscnt 0x0
	v_add_f64_e32 v[13:14], v[4:5], v[2:3]
	ds_cmpstore_rtn_b64 v[13:14], v12, v[13:14], v[4:5]
	s_wait_dscnt 0x0
	v_cmp_eq_u64_e32 vcc_lo, v[13:14], v[4:5]
	v_dual_mov_b32 v4, v13 :: v_dual_mov_b32 v5, v14
	s_wait_alu 0xfffe
	s_or_b32 s0, vcc_lo, s0
	s_wait_alu 0xfffe
	s_and_not1_b32 exec_lo, exec_lo, s0
	s_cbranch_execnz .LBB20_116
; %bb.117:
	s_or_b32 exec_lo, exec_lo, s0
.LBB20_118:
	s_wait_alu 0xfffe
	s_or_b32 exec_lo, exec_lo, s7
	v_lshlrev_b64_e32 v[2:3], 3, v[6:7]
	ds_load_b64 v[4:5], v18 offset:4096
	v_add_co_u32 v2, vcc_lo, s14, v2
	s_wait_alu 0xfffd
	v_add_co_ci_u32_e64 v3, null, s15, v3, vcc_lo
	v_cmp_ne_u32_e32 vcc_lo, 1, v19
	global_load_b64 v[2:3], v[2:3], off
	s_and_b32 vcc_lo, exec_lo, vcc_lo
	s_wait_loadcnt_dscnt 0x0
	v_mul_f64_e32 v[6:7], v[2:3], v[4:5]
	v_dual_mov_b32 v2, s16 :: v_dual_mov_b32 v3, s17
	v_dual_mov_b32 v4, s30 :: v_dual_mov_b32 v5, s31
	ds_store_b64 v18, v[6:7] offset:4096
	s_wait_alu 0xfffe
	s_cbranch_vccnz .LBB20_122
; %bb.119:
	v_dual_mov_b32 v2, s16 :: v_dual_mov_b32 v3, s17
	v_dual_mov_b32 v4, s30 :: v_dual_mov_b32 v5, s31
	s_mov_b32 s7, 0
.LBB20_120:                             ; =>This Inner Loop Header: Depth=1
	s_delay_alu instid0(VALU_DEP_1) | instskip(SKIP_1) | instid1(VALU_DEP_2)
	v_add_co_u32 v6, vcc_lo, v4, v2
	s_wait_alu 0xfffd
	v_add_co_ci_u32_e64 v7, null, v5, v3, vcc_lo
	s_delay_alu instid0(VALU_DEP_1) | instskip(NEXT) | instid1(VALU_DEP_1)
	v_lshrrev_b32_e32 v12, 31, v7
	v_add_co_u32 v6, vcc_lo, v6, v12
	s_wait_alu 0xfffd
	v_add_co_ci_u32_e64 v7, null, 0, v7, vcc_lo
	s_delay_alu instid0(VALU_DEP_1) | instskip(NEXT) | instid1(VALU_DEP_1)
	v_ashrrev_i64 v[6:7], 1, v[6:7]
	v_lshlrev_b64_e32 v[12:13], 3, v[6:7]
	s_delay_alu instid0(VALU_DEP_1) | instskip(SKIP_1) | instid1(VALU_DEP_2)
	v_add_co_u32 v12, vcc_lo, s8, v12
	s_wait_alu 0xfffd
	v_add_co_ci_u32_e64 v13, null, s9, v13, vcc_lo
	global_load_b64 v[12:13], v[12:13], off
	s_wait_loadcnt 0x0
	v_sub_co_u32 v12, vcc_lo, v12, s24
	s_wait_alu 0xfffd
	v_subrev_co_ci_u32_e64 v13, null, 0, v13, vcc_lo
	s_delay_alu instid0(VALU_DEP_1) | instskip(SKIP_3) | instid1(VALU_DEP_2)
	v_cmp_lt_i64_e32 vcc_lo, v[8:9], v[12:13]
	s_wait_alu 0xfffd
	v_dual_cndmask_b32 v5, v5, v7 :: v_dual_cndmask_b32 v4, v4, v6
	v_dual_cndmask_b32 v3, v7, v3 :: v_dual_cndmask_b32 v2, v6, v2
	v_add_co_u32 v6, vcc_lo, v4, -1
	s_wait_alu 0xfffd
	s_delay_alu instid0(VALU_DEP_3) | instskip(NEXT) | instid1(VALU_DEP_3)
	v_add_co_ci_u32_e64 v7, null, -1, v5, vcc_lo
	v_cmp_ge_i64_e32 vcc_lo, v[2:3], v[4:5]
	s_delay_alu instid0(VALU_DEP_2)
	v_cmp_eq_u64_e64 s0, v[2:3], v[6:7]
	s_or_b32 s0, vcc_lo, s0
	s_wait_alu 0xfffe
	s_and_b32 s0, exec_lo, s0
	s_wait_alu 0xfffe
	s_or_b32 s7, s0, s7
	s_wait_alu 0xfffe
	s_and_not1_b32 exec_lo, exec_lo, s7
	s_cbranch_execnz .LBB20_120
; %bb.121:
	s_or_b32 exec_lo, exec_lo, s7
.LBB20_122:
	v_lshlrev_b64_e32 v[6:7], 3, v[4:5]
	s_mov_b32 s7, exec_lo
	s_delay_alu instid0(VALU_DEP_1) | instskip(SKIP_1) | instid1(VALU_DEP_2)
	v_add_co_u32 v6, vcc_lo, s8, v6
	s_wait_alu 0xfffd
	v_add_co_ci_u32_e64 v7, null, s9, v7, vcc_lo
	global_load_b64 v[6:7], v[6:7], off
	global_load_b64 v[10:11], v[10:11], off offset:6144
	s_wait_loadcnt 0x1
	v_sub_co_u32 v6, vcc_lo, v6, s24
	s_wait_alu 0xfffd
	v_subrev_co_ci_u32_e64 v7, null, 0, v7, vcc_lo
	s_delay_alu instid0(VALU_DEP_1)
	v_cmp_lt_i64_e32 vcc_lo, v[8:9], v[6:7]
	s_wait_alu 0xfffd
	v_dual_cndmask_b32 v3, v5, v3 :: v_dual_cndmask_b32 v2, v4, v2
	s_wait_loadcnt 0x0
	v_sub_co_u32 v6, vcc_lo, v10, s24
	s_wait_alu 0xfffd
	v_subrev_co_ci_u32_e64 v7, null, 0, v11, vcc_lo
	s_delay_alu instid0(VALU_DEP_1)
	v_cmpx_ne_u64_e64 v[6:7], v[2:3]
	s_cbranch_execz .LBB20_132
; %bb.123:
	s_load_b64 s[10:11], s[10:11], 0x0
	s_wait_kmcnt 0x0
	s_sub_nc_u64 s[10:11], s[10:11], s[24:25]
	s_wait_alu 0xfffe
	v_cmp_gt_i64_e32 vcc_lo, s[10:11], v[8:9]
	s_and_b32 exec_lo, exec_lo, vcc_lo
	s_cbranch_execz .LBB20_132
; %bb.124:
	v_cmp_gt_i64_e32 vcc_lo, s[12:13], v[6:7]
	v_cmp_le_i64_e64 s0, s[18:19], v[6:7]
	v_lshlrev_b64_e32 v[2:3], 3, v[2:3]
	s_or_b32 s0, vcc_lo, s0
	s_wait_alu 0xfffe
	s_and_saveexec_b32 s10, s0
	s_wait_alu 0xfffe
	s_xor_b32 s0, exec_lo, s10
	s_cbranch_execz .LBB20_128
; %bb.125:
	v_add_co_u32 v2, vcc_lo, s14, v2
	s_wait_alu 0xfffd
	v_add_co_ci_u32_e64 v3, null, s15, v3, vcc_lo
	v_lshlrev_b64_e32 v[4:5], 3, v[6:7]
	ds_load_b64 v[10:11], v18 offset:6144
	s_mov_b32 s10, 0
	global_load_b64 v[2:3], v[2:3], off
	v_add_co_u32 v8, vcc_lo, s20, v4
	s_wait_alu 0xfffd
	v_add_co_ci_u32_e64 v9, null, s21, v5, vcc_lo
	global_load_b64 v[4:5], v[8:9], off
	s_wait_loadcnt_dscnt 0x100
	v_mul_f64_e32 v[10:11], v[10:11], v[2:3]
.LBB20_126:                             ; =>This Inner Loop Header: Depth=1
	s_wait_loadcnt 0x0
	s_delay_alu instid0(VALU_DEP_1)
	v_add_f64_e32 v[2:3], v[4:5], v[10:11]
	global_atomic_cmpswap_b64 v[2:3], v[8:9], v[2:5], off th:TH_ATOMIC_RETURN scope:SCOPE_DEV
	s_wait_loadcnt 0x0
	v_cmp_eq_u64_e32 vcc_lo, v[2:3], v[4:5]
	v_dual_mov_b32 v5, v3 :: v_dual_mov_b32 v4, v2
	s_wait_alu 0xfffe
	s_or_b32 s10, vcc_lo, s10
	s_wait_alu 0xfffe
	s_and_not1_b32 exec_lo, exec_lo, s10
	s_cbranch_execnz .LBB20_126
; %bb.127:
	s_or_b32 exec_lo, exec_lo, s10
                                        ; implicit-def: $vgpr2_vgpr3
.LBB20_128:
	s_wait_alu 0xfffe
	s_and_not1_saveexec_b32 s0, s0
	s_cbranch_execz .LBB20_132
; %bb.129:
	v_add_co_u32 v2, vcc_lo, s14, v2
	s_wait_alu 0xfffd
	v_add_co_ci_u32_e64 v3, null, s15, v3, vcc_lo
	ds_load_b64 v[4:5], v18 offset:6144
	s_mov_b32 s0, 0
	global_load_b64 v[2:3], v[2:3], off
	s_wait_loadcnt_dscnt 0x0
	v_mul_f64_e32 v[2:3], v[4:5], v[2:3]
	v_subrev_nc_u32_e32 v4, s12, v6
	s_delay_alu instid0(VALU_DEP_1)
	v_lshl_add_u32 v8, v4, 3, 0x2000
	ds_load_b64 v[4:5], v8
.LBB20_130:                             ; =>This Inner Loop Header: Depth=1
	s_wait_dscnt 0x0
	v_add_f64_e32 v[9:10], v[4:5], v[2:3]
	ds_cmpstore_rtn_b64 v[9:10], v8, v[9:10], v[4:5]
	s_wait_dscnt 0x0
	v_cmp_eq_u64_e32 vcc_lo, v[9:10], v[4:5]
	v_dual_mov_b32 v4, v9 :: v_dual_mov_b32 v5, v10
	s_wait_alu 0xfffe
	s_or_b32 s0, vcc_lo, s0
	s_wait_alu 0xfffe
	s_and_not1_b32 exec_lo, exec_lo, s0
	s_cbranch_execnz .LBB20_130
; %bb.131:
	s_or_b32 exec_lo, exec_lo, s0
.LBB20_132:
	s_wait_alu 0xfffe
	s_or_b32 exec_lo, exec_lo, s7
	v_lshlrev_b64_e32 v[2:3], 3, v[6:7]
	ds_load_b64 v[4:5], v18 offset:6144
	v_add_co_u32 v2, vcc_lo, s14, v2
	s_wait_alu 0xfffd
	v_add_co_ci_u32_e64 v3, null, s15, v3, vcc_lo
	global_load_b64 v[2:3], v[2:3], off
	s_wait_loadcnt_dscnt 0x0
	v_mul_f64_e32 v[2:3], v[2:3], v[4:5]
	ds_store_b64 v18, v[2:3] offset:6144
.LBB20_133:
	s_wait_alu 0xfffe
	s_or_b32 exec_lo, exec_lo, s1
	v_cmp_lt_i64_e64 s0, s[18:19], s[2:3]
	s_wait_loadcnt_dscnt 0x0
	s_barrier_signal -1
	s_barrier_wait -1
	global_inv scope:SCOPE_SE
	s_and_b32 s0, s0, exec_lo
	s_cselect_b32 s1, s19, s3
	s_cselect_b32 s0, s18, s2
	s_wait_alu 0xfffe
	s_sub_nc_u64 s[2:3], s[0:1], s[22:23]
	s_mov_b32 s1, exec_lo
	s_wait_alu 0xfffe
	v_cmpx_gt_i64_e64 s[2:3], v[0:1]
	s_cbranch_execz .LBB20_138
; %bb.134:
	v_dual_mov_b32 v7, v1 :: v_dual_mov_b32 v6, v0
	s_lshl_b64 s[10:11], s[12:13], 3
	s_mov_b32 s7, 0
	s_wait_alu 0xfffe
	s_add_nc_u64 s[10:11], s[20:21], s[10:11]
.LBB20_135:                             ; =>This Loop Header: Depth=1
                                        ;     Child Loop BB20_136 Depth 2
	v_lshlrev_b64_e32 v[2:3], 3, v[6:7]
	s_mov_b32 s12, 0
	s_wait_alu 0xfffe
	s_delay_alu instid0(VALU_DEP_1) | instskip(SKIP_1) | instid1(VALU_DEP_2)
	v_add_co_u32 v8, vcc_lo, s10, v2
	s_wait_alu 0xfffd
	v_add_co_ci_u32_e64 v9, null, s11, v3, vcc_lo
	v_lshl_add_u32 v2, v6, 3, 0x2000
	global_load_b64 v[4:5], v[8:9], off
	ds_load_b64 v[10:11], v2
.LBB20_136:                             ;   Parent Loop BB20_135 Depth=1
                                        ; =>  This Inner Loop Header: Depth=2
	s_wait_loadcnt_dscnt 0x0
	v_add_f64_e32 v[2:3], v[4:5], v[10:11]
	global_atomic_cmpswap_b64 v[2:3], v[8:9], v[2:5], off th:TH_ATOMIC_RETURN scope:SCOPE_DEV
	s_wait_loadcnt 0x0
	v_cmp_eq_u64_e32 vcc_lo, v[2:3], v[4:5]
	v_dual_mov_b32 v5, v3 :: v_dual_mov_b32 v4, v2
	s_or_b32 s12, vcc_lo, s12
	s_wait_alu 0xfffe
	s_and_not1_b32 exec_lo, exec_lo, s12
	s_cbranch_execnz .LBB20_136
; %bb.137:                              ;   in Loop: Header=BB20_135 Depth=1
	s_or_b32 exec_lo, exec_lo, s12
	v_add_co_u32 v6, vcc_lo, 0x100, v6
	s_wait_alu 0xfffd
	v_add_co_ci_u32_e64 v7, null, 0, v7, vcc_lo
	s_delay_alu instid0(VALU_DEP_1)
	v_cmp_le_i64_e32 vcc_lo, s[2:3], v[6:7]
	s_or_b32 s7, vcc_lo, s7
	s_wait_alu 0xfffe
	s_and_not1_b32 exec_lo, exec_lo, s7
	s_cbranch_execnz .LBB20_135
.LBB20_138:
	s_or_b32 exec_lo, exec_lo, s1
	s_add_co_i32 s1, s28, -1
	v_add_co_u32 v6, s7, s16, v0
	s_wait_alu 0xfffe
	s_ashr_i32 s3, s1, 1
	v_add_co_ci_u32_e64 v7, null, s17, 0, s7
	s_wait_alu 0xfffe
	s_or_b32 s1, s3, s1
	s_wait_loadcnt 0x0
	s_wait_alu 0xfffe
	s_ashr_i32 s3, s1, 2
	s_barrier_signal -1
	s_wait_alu 0xfffe
	s_or_b32 s1, s3, s1
	s_barrier_wait -1
	s_wait_alu 0xfffe
	s_ashr_i32 s3, s1, 4
	global_inv scope:SCOPE_SE
	s_wait_alu 0xfffe
	s_or_b32 s1, s3, s1
	s_wait_alu 0xfffe
	s_ashr_i32 s3, s1, 8
	s_wait_alu 0xfffe
	s_or_b32 s1, s3, s1
	s_wait_alu 0xfffe
	s_ashr_i32 s3, s1, 16
	s_wait_alu 0xfffe
	s_or_b32 s3, s3, s1
	s_mov_b32 s1, -1
	s_wait_alu 0xfffe
	s_add_co_i32 s3, s3, 1
	s_wait_alu 0xfffe
	s_ashr_i32 s10, s3, 1
	s_wait_alu 0xfffe
	s_cmp_gt_i32 s10, 1
	s_cbranch_scc1 .LBB20_149
; %bb.139:
	s_mov_b32 s1, exec_lo
	v_cmpx_gt_i64_e64 s[18:19], v[6:7]
	s_cbranch_execz .LBB20_148
; %bb.140:
	s_sub_co_i32 s0, s0, s18
	v_dual_mov_b32 v9, v7 :: v_dual_mov_b32 v8, v6
	s_lshl_b32 s7, s4, 3
	s_wait_alu 0xfffe
	s_lshl_b32 s0, s0, 3
	s_mov_b32 s3, 0
	s_wait_alu 0xfffe
	s_addk_co_i32 s0, 0x2000
	s_sub_co_i32 s7, 0, s7
.LBB20_141:                             ; =>This Loop Header: Depth=1
                                        ;     Child Loop BB20_143 Depth 2
                                        ;     Child Loop BB20_146 Depth 2
	v_lshlrev_b64_e32 v[10:11], 3, v[8:9]
	v_mov_b32_e32 v12, 0
	v_mov_b32_e32 v13, 0
	s_mov_b32 s11, exec_lo
	s_delay_alu instid0(VALU_DEP_3)
	v_add_co_u32 v2, vcc_lo, s8, v10
	s_wait_alu 0xfffd
	v_add_co_ci_u32_e64 v3, null, s9, v11, vcc_lo
	global_load_b128 v[2:5], v[2:3], off
	s_wait_loadcnt 0x0
	v_cmpx_lt_i64_e64 v[2:3], v[4:5]
	s_cbranch_execz .LBB20_145
; %bb.142:                              ;   in Loop: Header=BB20_141 Depth=1
	v_sub_co_u32 v4, vcc_lo, v4, s4
	s_wait_alu 0xfffd
	v_subrev_co_ci_u32_e64 v5, null, s5, v5, vcc_lo
	v_sub_co_u32 v14, vcc_lo, v2, s4
	v_mov_b32_e32 v12, 0
	s_wait_alu 0xfffd
	v_subrev_co_ci_u32_e64 v15, null, s5, v3, vcc_lo
	v_mov_b32_e32 v13, 0
	s_wait_alu 0xfffe
	v_lshl_add_u32 v2, v2, 3, s7
	s_mov_b32 s12, 0
.LBB20_143:                             ;   Parent Loop BB20_141 Depth=1
                                        ; =>  This Inner Loop Header: Depth=2
	ds_load_b64 v[16:17], v2
	v_add_co_u32 v14, vcc_lo, v14, 1
	s_wait_alu 0xfffd
	v_add_co_ci_u32_e64 v15, null, 0, v15, vcc_lo
	v_add_nc_u32_e32 v2, 8, v2
	s_delay_alu instid0(VALU_DEP_2)
	v_cmp_ge_i64_e32 vcc_lo, v[14:15], v[4:5]
	s_wait_alu 0xfffe
	s_or_b32 s12, vcc_lo, s12
	s_wait_dscnt 0x0
	v_add_f64_e32 v[12:13], v[12:13], v[16:17]
	s_wait_alu 0xfffe
	s_and_not1_b32 exec_lo, exec_lo, s12
	s_cbranch_execnz .LBB20_143
; %bb.144:                              ;   in Loop: Header=BB20_141 Depth=1
	s_or_b32 exec_lo, exec_lo, s12
.LBB20_145:                             ;   in Loop: Header=BB20_141 Depth=1
	s_wait_alu 0xfffe
	s_or_b32 exec_lo, exec_lo, s11
	v_add_co_u32 v10, vcc_lo, s20, v10
	s_wait_alu 0xfffd
	v_add_co_ci_u32_e64 v11, null, s21, v11, vcc_lo
	v_lshl_add_u32 v2, v8, 3, s0
	s_mov_b32 s11, 0
	global_load_b64 v[4:5], v[10:11], off
	ds_load_b64 v[2:3], v2
	s_wait_dscnt 0x0
	v_add_f64_e32 v[12:13], v[12:13], v[2:3]
.LBB20_146:                             ;   Parent Loop BB20_141 Depth=1
                                        ; =>  This Inner Loop Header: Depth=2
	s_wait_loadcnt 0x0
	s_delay_alu instid0(VALU_DEP_1)
	v_add_f64_e32 v[2:3], v[4:5], v[12:13]
	global_atomic_cmpswap_b64 v[2:3], v[10:11], v[2:5], off th:TH_ATOMIC_RETURN scope:SCOPE_DEV
	s_wait_loadcnt 0x0
	v_cmp_eq_u64_e32 vcc_lo, v[2:3], v[4:5]
	v_dual_mov_b32 v5, v3 :: v_dual_mov_b32 v4, v2
	s_wait_alu 0xfffe
	s_or_b32 s11, vcc_lo, s11
	s_wait_alu 0xfffe
	s_and_not1_b32 exec_lo, exec_lo, s11
	s_cbranch_execnz .LBB20_146
; %bb.147:                              ;   in Loop: Header=BB20_141 Depth=1
	s_or_b32 exec_lo, exec_lo, s11
	v_add_co_u32 v8, vcc_lo, v8, s6
	s_wait_alu 0xfffd
	v_add_co_ci_u32_e64 v9, null, 0, v9, vcc_lo
	s_delay_alu instid0(VALU_DEP_1)
	v_cmp_le_i64_e32 vcc_lo, s[18:19], v[8:9]
	s_or_b32 s3, vcc_lo, s3
	s_wait_alu 0xfffe
	s_and_not1_b32 exec_lo, exec_lo, s3
	s_cbranch_execnz .LBB20_141
.LBB20_148:
	s_wait_alu 0xfffe
	s_or_b32 exec_lo, exec_lo, s1
	s_mov_b32 s1, 0
.LBB20_149:
	s_wait_alu 0xfffe
	s_and_not1_b32 vcc_lo, exec_lo, s1
	s_wait_alu 0xfffe
	s_cbranch_vccnz .LBB20_167
; %bb.150:
	s_cvt_f32_u32 s0, s10
	s_sub_co_i32 s1, 0, s10
	s_mov_b32 s11, 0
	s_wait_alu 0xfffe
	v_rcp_iflag_f32_e32 v2, s0
	s_delay_alu instid0(TRANS32_DEP_1) | instskip(SKIP_2) | instid1(SALU_CYCLE_2)
	v_readfirstlane_b32 s0, v2
	s_mul_f32 s0, s0, 0x4f7ffffe
	s_wait_alu 0xfffe
	s_cvt_u32_f32 s0, s0
	s_wait_alu 0xfffe
	s_delay_alu instid0(SALU_CYCLE_2)
	s_mul_i32 s3, s1, s0
	s_wait_alu 0xfffe
	s_mul_hi_u32 s3, s0, s3
	s_wait_alu 0xfffe
	s_add_co_i32 s0, s0, s3
	s_wait_alu 0xfffe
	v_mul_hi_u32 v2, v0, s0
	s_mov_b32 s0, exec_lo
	s_delay_alu instid0(VALU_DEP_1) | instskip(NEXT) | instid1(VALU_DEP_1)
	v_mul_lo_u32 v3, v2, s10
	v_sub_nc_u32_e32 v3, v0, v3
	s_delay_alu instid0(VALU_DEP_1) | instskip(SKIP_2) | instid1(VALU_DEP_2)
	v_subrev_nc_u32_e32 v5, s10, v3
	v_cmp_le_u32_e32 vcc_lo, s10, v3
	s_wait_alu 0xfffd
	v_dual_cndmask_b32 v3, v3, v5 :: v_dual_add_nc_u32 v4, 1, v2
	s_delay_alu instid0(VALU_DEP_1) | instskip(NEXT) | instid1(VALU_DEP_2)
	v_dual_cndmask_b32 v2, v2, v4 :: v_dual_mov_b32 v5, 0
	v_cmp_le_u32_e32 vcc_lo, s10, v3
	s_delay_alu instid0(VALU_DEP_2) | instskip(SKIP_1) | instid1(VALU_DEP_1)
	v_add_nc_u32_e32 v4, 1, v2
	s_wait_alu 0xfffd
	v_cndmask_b32_e32 v4, v2, v4, vcc_lo
	s_delay_alu instid0(VALU_DEP_1) | instskip(NEXT) | instid1(VALU_DEP_1)
	v_lshlrev_b64_e32 v[2:3], 3, v[4:5]
	v_add_co_u32 v2, vcc_lo, s26, v2
	s_wait_alu 0xfffd
	s_delay_alu instid0(VALU_DEP_2)
	v_add_co_ci_u32_e64 v3, null, s27, v3, vcc_lo
	global_load_b128 v[8:11], v[2:3], off
	s_wait_loadcnt 0x0
	v_sub_co_u32 v2, vcc_lo, v8, s4
	s_wait_alu 0xfffd
	v_subrev_co_ci_u32_e64 v3, null, s5, v9, vcc_lo
	v_sub_co_u32 v14, vcc_lo, v10, s4
	s_wait_alu 0xfffd
	v_subrev_co_ci_u32_e64 v15, null, s5, v11, vcc_lo
	v_mov_b32_e32 v8, v5
	s_delay_alu instid0(VALU_DEP_3) | instskip(SKIP_1) | instid1(VALU_DEP_3)
	v_sub_co_u32 v12, vcc_lo, v14, v2
	s_wait_alu 0xfffd
	v_sub_co_ci_u32_e64 v9, null, v15, v3, vcc_lo
                                        ; implicit-def: $vgpr10_vgpr11
	s_delay_alu instid0(VALU_DEP_1)
	v_cmpx_ne_u64_e32 0, v[8:9]
	s_wait_alu 0xfffe
	s_xor_b32 s3, exec_lo, s0
	s_cbranch_execz .LBB20_152
; %bb.151:
	s_add_nc_u64 s[4:5], s[10:11], 0
	s_mov_b32 s13, s11
	s_wait_alu 0xfffe
	s_xor_b64 s[4:5], s[4:5], 0
	s_mov_b32 s17, s11
	s_wait_alu 0xfffe
	s_cvt_f32_u32 s0, s4
	s_cvt_f32_u32 s6, s5
	s_sub_nc_u64 s[8:9], 0, s[4:5]
	v_ashrrev_i32_e32 v16, 31, v9
	s_wait_alu 0xfffe
	s_fmamk_f32 s0, s6, 0x4f800000, s0
	s_delay_alu instid0(VALU_DEP_1) | instskip(SKIP_1) | instid1(SALU_CYCLE_1)
	v_add_co_u32 v8, vcc_lo, v12, v16
	s_wait_alu 0xfffe
	v_s_rcp_f32 s0, s0
	s_wait_alu 0xfffd
	v_add_co_ci_u32_e64 v9, null, v9, v16, vcc_lo
	v_xor_b32_e32 v17, v8, v16
	s_delay_alu instid0(VALU_DEP_2) | instskip(NEXT) | instid1(TRANS32_DEP_1)
	v_xor_b32_e32 v19, v9, v16
	s_mul_f32 s0, s0, 0x5f7ffffc
	s_wait_alu 0xfffe
	s_delay_alu instid0(SALU_CYCLE_2) | instskip(SKIP_1) | instid1(SALU_CYCLE_2)
	s_mul_f32 s6, s0, 0x2f800000
	s_wait_alu 0xfffe
	s_trunc_f32 s6, s6
	s_wait_alu 0xfffe
	s_delay_alu instid0(SALU_CYCLE_2) | instskip(SKIP_2) | instid1(SALU_CYCLE_1)
	s_fmamk_f32 s0, s6, 0xcf800000, s0
	s_cvt_u32_f32 s7, s6
	s_wait_alu 0xfffe
	s_cvt_u32_f32 s6, s0
	s_wait_alu 0xfffe
	s_delay_alu instid0(SALU_CYCLE_2)
	s_mul_u64 s[14:15], s[8:9], s[6:7]
	s_wait_alu 0xfffe
	s_mul_hi_u32 s19, s6, s15
	s_mul_i32 s18, s6, s15
	s_mul_hi_u32 s12, s6, s14
	s_mul_i32 s16, s7, s14
	s_wait_alu 0xfffe
	s_add_nc_u64 s[12:13], s[12:13], s[18:19]
	s_mul_hi_u32 s0, s7, s14
	s_mul_hi_u32 s24, s7, s15
	s_wait_alu 0xfffe
	s_add_co_u32 s12, s12, s16
	s_add_co_ci_u32 s16, s13, s0
	s_mul_i32 s14, s7, s15
	s_add_co_ci_u32 s15, s24, 0
	s_wait_alu 0xfffe
	s_add_nc_u64 s[12:13], s[16:17], s[14:15]
	s_mov_b32 s15, s11
	s_wait_alu 0xfffe
	s_add_co_u32 s6, s6, s12
	s_cselect_b32 s0, -1, 0
	s_wait_alu 0xfffe
	s_cmp_lg_u32 s0, 0
	s_add_co_ci_u32 s7, s7, s13
	s_mov_b32 s13, s11
	s_wait_alu 0xfffe
	s_mul_u64 s[8:9], s[8:9], s[6:7]
	s_wait_alu 0xfffe
	s_mul_hi_u32 s17, s6, s9
	s_mul_i32 s16, s6, s9
	s_mul_hi_u32 s14, s6, s8
	s_mul_i32 s11, s7, s8
	s_wait_alu 0xfffe
	s_add_nc_u64 s[14:15], s[14:15], s[16:17]
	s_mul_hi_u32 s0, s7, s8
	s_mul_hi_u32 s18, s7, s9
	s_mul_i32 s8, s7, s9
	s_wait_alu 0xfffe
	s_add_co_u32 s9, s14, s11
	s_add_co_ci_u32 s12, s15, s0
	s_add_co_ci_u32 s9, s18, 0
	s_wait_alu 0xfffe
	s_add_nc_u64 s[8:9], s[12:13], s[8:9]
	s_wait_alu 0xfffe
	s_add_co_u32 s0, s6, s8
	s_cselect_b32 s6, -1, 0
	s_wait_alu 0xfffe
	v_mul_hi_u32 v20, v17, s0
	s_cmp_lg_u32 s6, 0
	v_mad_co_u64_u32 v[10:11], null, v19, s0, 0
	s_add_co_ci_u32 s6, s7, s9
	s_wait_alu 0xfffe
	v_mad_co_u64_u32 v[8:9], null, v17, s6, 0
	v_mad_co_u64_u32 v[12:13], null, v19, s6, 0
	s_delay_alu instid0(VALU_DEP_2) | instskip(SKIP_1) | instid1(VALU_DEP_3)
	v_add_co_u32 v8, vcc_lo, v20, v8
	s_wait_alu 0xfffd
	v_add_co_ci_u32_e64 v9, null, 0, v9, vcc_lo
	s_delay_alu instid0(VALU_DEP_2) | instskip(SKIP_1) | instid1(VALU_DEP_2)
	v_add_co_u32 v8, vcc_lo, v8, v10
	s_wait_alu 0xfffd
	v_add_co_ci_u32_e32 v8, vcc_lo, v9, v11, vcc_lo
	s_wait_alu 0xfffd
	v_add_co_ci_u32_e32 v9, vcc_lo, 0, v13, vcc_lo
	s_delay_alu instid0(VALU_DEP_2) | instskip(SKIP_1) | instid1(VALU_DEP_2)
	v_add_co_u32 v10, vcc_lo, v8, v12
	s_wait_alu 0xfffd
	v_add_co_ci_u32_e64 v11, null, 0, v9, vcc_lo
	s_delay_alu instid0(VALU_DEP_2) | instskip(SKIP_1) | instid1(VALU_DEP_3)
	v_mul_lo_u32 v12, s5, v10
	v_mad_co_u64_u32 v[8:9], null, s4, v10, 0
	v_mul_lo_u32 v13, s4, v11
	s_delay_alu instid0(VALU_DEP_2) | instskip(NEXT) | instid1(VALU_DEP_2)
	v_sub_co_u32 v8, vcc_lo, v17, v8
	v_add3_u32 v9, v9, v13, v12
	v_add_co_u32 v13, s0, v10, 2
	s_wait_alu 0xf1ff
	v_add_co_ci_u32_e64 v17, null, 0, v11, s0
	s_delay_alu instid0(VALU_DEP_3) | instskip(SKIP_3) | instid1(VALU_DEP_3)
	v_sub_nc_u32_e32 v12, v19, v9
	v_sub_co_u32 v20, s0, v8, s4
	s_wait_alu 0xfffd
	v_sub_co_ci_u32_e64 v9, null, v19, v9, vcc_lo
	v_subrev_co_ci_u32_e64 v12, null, s5, v12, vcc_lo
	s_delay_alu instid0(VALU_DEP_3) | instskip(SKIP_1) | instid1(VALU_DEP_2)
	v_cmp_le_u32_e32 vcc_lo, s4, v20
	s_wait_alu 0xf1ff
	v_subrev_co_ci_u32_e64 v12, null, 0, v12, s0
	s_wait_alu 0xfffd
	v_cndmask_b32_e64 v19, 0, -1, vcc_lo
	v_cmp_eq_u32_e64 s0, s5, v9
	s_delay_alu instid0(VALU_DEP_3)
	v_cmp_le_u32_e32 vcc_lo, s5, v12
	s_wait_alu 0xfffd
	v_cndmask_b32_e64 v20, 0, -1, vcc_lo
	v_cmp_le_u32_e32 vcc_lo, s4, v8
	s_wait_alu 0xfffd
	v_cndmask_b32_e64 v8, 0, -1, vcc_lo
	;; [unrolled: 3-line block ×3, first 2 shown]
	v_cmp_eq_u32_e32 vcc_lo, s5, v12
	s_wait_alu 0xf1ff
	s_delay_alu instid0(VALU_DEP_2)
	v_cndmask_b32_e64 v8, v21, v8, s0
	s_wait_alu 0xfffd
	v_cndmask_b32_e32 v12, v20, v19, vcc_lo
	v_add_co_u32 v19, vcc_lo, v10, 1
	s_wait_alu 0xfffd
	v_add_co_ci_u32_e64 v20, null, 0, v11, vcc_lo
	s_delay_alu instid0(VALU_DEP_3) | instskip(SKIP_1) | instid1(VALU_DEP_2)
	v_cmp_ne_u32_e32 vcc_lo, 0, v12
	s_wait_alu 0xfffd
	v_cndmask_b32_e32 v9, v20, v17, vcc_lo
	v_cndmask_b32_e32 v12, v19, v13, vcc_lo
	v_cmp_ne_u32_e32 vcc_lo, 0, v8
	s_wait_alu 0xfffd
	s_delay_alu instid0(VALU_DEP_2) | instskip(NEXT) | instid1(VALU_DEP_1)
	v_dual_cndmask_b32 v8, v11, v9 :: v_dual_cndmask_b32 v9, v10, v12
                                        ; implicit-def: $vgpr12
	v_xor_b32_e32 v8, v8, v16
	s_delay_alu instid0(VALU_DEP_2) | instskip(NEXT) | instid1(VALU_DEP_1)
	v_xor_b32_e32 v9, v9, v16
	v_sub_co_u32 v10, vcc_lo, v9, v16
	s_wait_alu 0xfffd
	s_delay_alu instid0(VALU_DEP_3)
	v_sub_co_ci_u32_e64 v11, null, v8, v16, vcc_lo
.LBB20_152:
	s_wait_alu 0xfffe
	s_and_not1_saveexec_b32 s0, s3
	s_cbranch_execz .LBB20_154
; %bb.153:
	v_cvt_f32_u32_e32 v8, s10
	s_delay_alu instid0(VALU_DEP_1) | instskip(NEXT) | instid1(TRANS32_DEP_1)
	v_rcp_iflag_f32_e32 v8, v8
	v_mul_f32_e32 v8, 0x4f7ffffe, v8
	s_delay_alu instid0(VALU_DEP_1) | instskip(NEXT) | instid1(VALU_DEP_1)
	v_cvt_u32_f32_e32 v8, v8
	v_mul_lo_u32 v9, s1, v8
	s_delay_alu instid0(VALU_DEP_1) | instskip(NEXT) | instid1(VALU_DEP_1)
	v_mul_hi_u32 v9, v8, v9
	v_add_nc_u32_e32 v8, v8, v9
	s_delay_alu instid0(VALU_DEP_1) | instskip(NEXT) | instid1(VALU_DEP_1)
	v_mul_hi_u32 v8, v12, v8
	v_mul_lo_u32 v9, v8, s10
	v_add_nc_u32_e32 v10, 1, v8
	s_delay_alu instid0(VALU_DEP_2) | instskip(NEXT) | instid1(VALU_DEP_1)
	v_sub_nc_u32_e32 v9, v12, v9
	v_subrev_nc_u32_e32 v11, s10, v9
	v_cmp_le_u32_e32 vcc_lo, s10, v9
	s_wait_alu 0xfffd
	s_delay_alu instid0(VALU_DEP_2) | instskip(SKIP_1) | instid1(VALU_DEP_2)
	v_dual_cndmask_b32 v9, v9, v11 :: v_dual_cndmask_b32 v8, v8, v10
	v_mov_b32_e32 v11, 0
	v_cmp_le_u32_e32 vcc_lo, s10, v9
	s_delay_alu instid0(VALU_DEP_3) | instskip(SKIP_1) | instid1(VALU_DEP_1)
	v_add_nc_u32_e32 v10, 1, v8
	s_wait_alu 0xfffd
	v_cndmask_b32_e32 v10, v8, v10, vcc_lo
.LBB20_154:
	s_wait_alu 0xfffe
	s_or_b32 exec_lo, exec_lo, s0
	v_cmp_gt_i64_e32 vcc_lo, s[22:23], v[4:5]
	v_mov_b32_e32 v4, 0
	v_mov_b32_e32 v5, 0
	s_and_saveexec_b32 s0, vcc_lo
	s_cbranch_execz .LBB20_162
; %bb.155:
	s_add_co_i32 s1, s10, -1
	v_mov_b32_e32 v4, 0
	s_wait_alu 0xfffe
	v_dual_mov_b32 v5, 0 :: v_dual_and_b32 v8, s1, v0
	s_mov_b32 s1, exec_lo
	s_delay_alu instid0(VALU_DEP_1)
	v_lshlrev_b32_e32 v16, 3, v8
	v_cmpx_lt_i64_e32 0, v[10:11]
	s_cbranch_execz .LBB20_159
; %bb.156:
	v_dual_mov_b32 v4, 0 :: v_dual_mov_b32 v13, v11
	s_delay_alu instid0(VALU_DEP_3)
	v_lshl_add_u32 v9, v2, 3, v16
	v_dual_mov_b32 v5, 0 :: v_dual_mov_b32 v12, v10
	s_lshl_b32 s4, s10, 3
	s_mov_b32 s3, 0
.LBB20_157:                             ; =>This Inner Loop Header: Depth=1
	ds_load_b64 v[19:20], v9
	v_add_co_u32 v12, vcc_lo, v12, -1
	s_wait_alu 0xfffd
	v_add_co_ci_u32_e64 v13, null, -1, v13, vcc_lo
	s_wait_alu 0xfffe
	v_add_nc_u32_e32 v9, s4, v9
	s_delay_alu instid0(VALU_DEP_2)
	v_cmp_eq_u64_e32 vcc_lo, 0, v[12:13]
	s_or_b32 s3, vcc_lo, s3
	s_wait_dscnt 0x0
	v_add_f64_e32 v[4:5], v[4:5], v[19:20]
	s_wait_alu 0xfffe
	s_and_not1_b32 exec_lo, exec_lo, s3
	s_cbranch_execnz .LBB20_157
; %bb.158:
	s_or_b32 exec_lo, exec_lo, s3
.LBB20_159:
	s_wait_alu 0xfffe
	s_or_b32 exec_lo, exec_lo, s1
	v_mad_co_u64_u32 v[2:3], null, v10, s10, v[2:3]
	v_mov_b32_e32 v9, 0
	s_mov_b32 s1, exec_lo
	s_delay_alu instid0(VALU_DEP_2) | instskip(NEXT) | instid1(VALU_DEP_3)
	v_mad_co_u64_u32 v[10:11], null, v11, s10, v[3:4]
	v_sub_co_u32 v11, vcc_lo, v14, v2
	s_wait_alu 0xfffd
	s_delay_alu instid0(VALU_DEP_2) | instskip(NEXT) | instid1(VALU_DEP_1)
	v_sub_co_ci_u32_e64 v12, null, v15, v10, vcc_lo
	v_cmpx_gt_i64_e64 v[11:12], v[8:9]
	s_cbranch_execz .LBB20_161
; %bb.160:
	v_lshl_add_u32 v2, v2, 3, v16
	ds_load_b64 v[2:3], v2
	s_wait_dscnt 0x0
	v_add_f64_e32 v[4:5], v[4:5], v[2:3]
.LBB20_161:
	s_wait_alu 0xfffe
	s_or_b32 exec_lo, exec_lo, s1
.LBB20_162:
	s_wait_alu 0xfffe
	s_or_b32 exec_lo, exec_lo, s0
	v_cmp_gt_i64_e32 vcc_lo, s[22:23], v[0:1]
	s_barrier_signal -1
	s_barrier_wait -1
	global_inv scope:SCOPE_SE
	ds_store_b64 v18, v[4:5]
	s_wait_loadcnt_dscnt 0x0
	s_barrier_signal -1
	s_barrier_wait -1
	global_inv scope:SCOPE_SE
	s_and_b32 exec_lo, exec_lo, vcc_lo
	s_cbranch_execz .LBB20_167
; %bb.163:
	v_mul_lo_u32 v1, s10, v0
	v_mov_b32_e32 v4, 0
	v_mov_b32_e32 v5, 0
	s_delay_alu instid0(VALU_DEP_3)
	v_lshlrev_b32_e32 v1, 3, v1
.LBB20_164:                             ; =>This Inner Loop Header: Depth=1
	ds_load_b64 v[2:3], v1
	v_add_nc_u32_e32 v1, 8, v1
	s_add_co_i32 s10, s10, -1
	s_wait_alu 0xfffe
	s_cmp_eq_u32 s10, 0
	s_wait_dscnt 0x0
	v_add_f64_e32 v[4:5], v[4:5], v[2:3]
	s_cbranch_scc0 .LBB20_164
; %bb.165:
	v_lshlrev_b64_e32 v[1:2], 3, v[6:7]
	v_lshlrev_b32_e32 v0, 3, v0
	s_lshl_b32 s0, s2, 3
	s_wait_alu 0xfffe
	s_delay_alu instid0(VALU_DEP_1) | instskip(NEXT) | instid1(VALU_DEP_3)
	v_add3_u32 v0, 0x2000, s0, v0
	v_add_co_u32 v6, vcc_lo, s20, v1
	s_wait_alu 0xfffd
	v_add_co_ci_u32_e64 v7, null, s21, v2, vcc_lo
	ds_load_b64 v[0:1], v0
	s_mov_b32 s0, 0
	global_load_b64 v[2:3], v[6:7], off
	s_wait_dscnt 0x0
	v_add_f64_e32 v[4:5], v[4:5], v[0:1]
.LBB20_166:                             ; =>This Inner Loop Header: Depth=1
	s_wait_loadcnt 0x0
	s_delay_alu instid0(VALU_DEP_1)
	v_add_f64_e32 v[0:1], v[2:3], v[4:5]
	global_atomic_cmpswap_b64 v[0:1], v[6:7], v[0:3], off th:TH_ATOMIC_RETURN scope:SCOPE_DEV
	s_wait_loadcnt 0x0
	v_cmp_eq_u64_e32 vcc_lo, v[0:1], v[2:3]
	v_dual_mov_b32 v3, v1 :: v_dual_mov_b32 v2, v0
	s_wait_alu 0xfffe
	s_or_b32 s0, vcc_lo, s0
	s_wait_alu 0xfffe
	s_and_not1_b32 exec_lo, exec_lo, s0
	s_cbranch_execnz .LBB20_166
.LBB20_167:
	s_endpgm
	.section	.rodata,"a",@progbits
	.p2align	6, 0x0
	.amdhsa_kernel _ZN9rocsparseL27csrmvn_symm_adaptive_kernelIllddddEEvbT_S1_PKS1_NS_24const_host_device_scalarIT4_EES3_PKT0_PKT1_PKT2_S6_PT3_21rocsparse_index_base_b
		.amdhsa_group_segment_fixed_size 8192
		.amdhsa_private_segment_fixed_size 0
		.amdhsa_kernarg_size 352
		.amdhsa_user_sgpr_count 2
		.amdhsa_user_sgpr_dispatch_ptr 0
		.amdhsa_user_sgpr_queue_ptr 0
		.amdhsa_user_sgpr_kernarg_segment_ptr 1
		.amdhsa_user_sgpr_dispatch_id 0
		.amdhsa_user_sgpr_private_segment_size 0
		.amdhsa_wavefront_size32 1
		.amdhsa_uses_dynamic_stack 0
		.amdhsa_enable_private_segment 0
		.amdhsa_system_sgpr_workgroup_id_x 1
		.amdhsa_system_sgpr_workgroup_id_y 0
		.amdhsa_system_sgpr_workgroup_id_z 0
		.amdhsa_system_sgpr_workgroup_info 0
		.amdhsa_system_vgpr_workitem_id 0
		.amdhsa_next_free_vgpr 22
		.amdhsa_next_free_sgpr 42
		.amdhsa_reserve_vcc 1
		.amdhsa_float_round_mode_32 0
		.amdhsa_float_round_mode_16_64 0
		.amdhsa_float_denorm_mode_32 3
		.amdhsa_float_denorm_mode_16_64 3
		.amdhsa_fp16_overflow 0
		.amdhsa_workgroup_processor_mode 1
		.amdhsa_memory_ordered 1
		.amdhsa_forward_progress 1
		.amdhsa_inst_pref_size 83
		.amdhsa_round_robin_scheduling 0
		.amdhsa_exception_fp_ieee_invalid_op 0
		.amdhsa_exception_fp_denorm_src 0
		.amdhsa_exception_fp_ieee_div_zero 0
		.amdhsa_exception_fp_ieee_overflow 0
		.amdhsa_exception_fp_ieee_underflow 0
		.amdhsa_exception_fp_ieee_inexact 0
		.amdhsa_exception_int_div_zero 0
	.end_amdhsa_kernel
	.section	.text._ZN9rocsparseL27csrmvn_symm_adaptive_kernelIllddddEEvbT_S1_PKS1_NS_24const_host_device_scalarIT4_EES3_PKT0_PKT1_PKT2_S6_PT3_21rocsparse_index_base_b,"axG",@progbits,_ZN9rocsparseL27csrmvn_symm_adaptive_kernelIllddddEEvbT_S1_PKS1_NS_24const_host_device_scalarIT4_EES3_PKT0_PKT1_PKT2_S6_PT3_21rocsparse_index_base_b,comdat
.Lfunc_end20:
	.size	_ZN9rocsparseL27csrmvn_symm_adaptive_kernelIllddddEEvbT_S1_PKS1_NS_24const_host_device_scalarIT4_EES3_PKT0_PKT1_PKT2_S6_PT3_21rocsparse_index_base_b, .Lfunc_end20-_ZN9rocsparseL27csrmvn_symm_adaptive_kernelIllddddEEvbT_S1_PKS1_NS_24const_host_device_scalarIT4_EES3_PKT0_PKT1_PKT2_S6_PT3_21rocsparse_index_base_b
                                        ; -- End function
	.set _ZN9rocsparseL27csrmvn_symm_adaptive_kernelIllddddEEvbT_S1_PKS1_NS_24const_host_device_scalarIT4_EES3_PKT0_PKT1_PKT2_S6_PT3_21rocsparse_index_base_b.num_vgpr, 22
	.set _ZN9rocsparseL27csrmvn_symm_adaptive_kernelIllddddEEvbT_S1_PKS1_NS_24const_host_device_scalarIT4_EES3_PKT0_PKT1_PKT2_S6_PT3_21rocsparse_index_base_b.num_agpr, 0
	.set _ZN9rocsparseL27csrmvn_symm_adaptive_kernelIllddddEEvbT_S1_PKS1_NS_24const_host_device_scalarIT4_EES3_PKT0_PKT1_PKT2_S6_PT3_21rocsparse_index_base_b.numbered_sgpr, 42
	.set _ZN9rocsparseL27csrmvn_symm_adaptive_kernelIllddddEEvbT_S1_PKS1_NS_24const_host_device_scalarIT4_EES3_PKT0_PKT1_PKT2_S6_PT3_21rocsparse_index_base_b.num_named_barrier, 0
	.set _ZN9rocsparseL27csrmvn_symm_adaptive_kernelIllddddEEvbT_S1_PKS1_NS_24const_host_device_scalarIT4_EES3_PKT0_PKT1_PKT2_S6_PT3_21rocsparse_index_base_b.private_seg_size, 0
	.set _ZN9rocsparseL27csrmvn_symm_adaptive_kernelIllddddEEvbT_S1_PKS1_NS_24const_host_device_scalarIT4_EES3_PKT0_PKT1_PKT2_S6_PT3_21rocsparse_index_base_b.uses_vcc, 1
	.set _ZN9rocsparseL27csrmvn_symm_adaptive_kernelIllddddEEvbT_S1_PKS1_NS_24const_host_device_scalarIT4_EES3_PKT0_PKT1_PKT2_S6_PT3_21rocsparse_index_base_b.uses_flat_scratch, 0
	.set _ZN9rocsparseL27csrmvn_symm_adaptive_kernelIllddddEEvbT_S1_PKS1_NS_24const_host_device_scalarIT4_EES3_PKT0_PKT1_PKT2_S6_PT3_21rocsparse_index_base_b.has_dyn_sized_stack, 0
	.set _ZN9rocsparseL27csrmvn_symm_adaptive_kernelIllddddEEvbT_S1_PKS1_NS_24const_host_device_scalarIT4_EES3_PKT0_PKT1_PKT2_S6_PT3_21rocsparse_index_base_b.has_recursion, 0
	.set _ZN9rocsparseL27csrmvn_symm_adaptive_kernelIllddddEEvbT_S1_PKS1_NS_24const_host_device_scalarIT4_EES3_PKT0_PKT1_PKT2_S6_PT3_21rocsparse_index_base_b.has_indirect_call, 0
	.section	.AMDGPU.csdata,"",@progbits
; Kernel info:
; codeLenInByte = 10568
; TotalNumSgprs: 44
; NumVgprs: 22
; ScratchSize: 0
; MemoryBound: 0
; FloatMode: 240
; IeeeMode: 1
; LDSByteSize: 8192 bytes/workgroup (compile time only)
; SGPRBlocks: 0
; VGPRBlocks: 2
; NumSGPRsForWavesPerEU: 44
; NumVGPRsForWavesPerEU: 22
; Occupancy: 16
; WaveLimiterHint : 1
; COMPUTE_PGM_RSRC2:SCRATCH_EN: 0
; COMPUTE_PGM_RSRC2:USER_SGPR: 2
; COMPUTE_PGM_RSRC2:TRAP_HANDLER: 0
; COMPUTE_PGM_RSRC2:TGID_X_EN: 1
; COMPUTE_PGM_RSRC2:TGID_Y_EN: 0
; COMPUTE_PGM_RSRC2:TGID_Z_EN: 0
; COMPUTE_PGM_RSRC2:TIDIG_COMP_CNT: 0
	.section	.text._ZL33csrmvn_symm_large_adaptive_kernelIllddddEvbT_PKS0_N9rocsparse24const_host_device_scalarIT4_EES2_PKT0_PKT1_PKT2_S6_PT3_21rocsparse_index_base_b,"axG",@progbits,_ZL33csrmvn_symm_large_adaptive_kernelIllddddEvbT_PKS0_N9rocsparse24const_host_device_scalarIT4_EES2_PKT0_PKT1_PKT2_S6_PT3_21rocsparse_index_base_b,comdat
	.globl	_ZL33csrmvn_symm_large_adaptive_kernelIllddddEvbT_PKS0_N9rocsparse24const_host_device_scalarIT4_EES2_PKT0_PKT1_PKT2_S6_PT3_21rocsparse_index_base_b ; -- Begin function _ZL33csrmvn_symm_large_adaptive_kernelIllddddEvbT_PKS0_N9rocsparse24const_host_device_scalarIT4_EES2_PKT0_PKT1_PKT2_S6_PT3_21rocsparse_index_base_b
	.p2align	8
	.type	_ZL33csrmvn_symm_large_adaptive_kernelIllddddEvbT_PKS0_N9rocsparse24const_host_device_scalarIT4_EES2_PKT0_PKT1_PKT2_S6_PT3_21rocsparse_index_base_b,@function
_ZL33csrmvn_symm_large_adaptive_kernelIllddddEvbT_PKS0_N9rocsparse24const_host_device_scalarIT4_EES2_PKT0_PKT1_PKT2_S6_PT3_21rocsparse_index_base_b: ; @_ZL33csrmvn_symm_large_adaptive_kernelIllddddEvbT_PKS0_N9rocsparse24const_host_device_scalarIT4_EES2_PKT0_PKT1_PKT2_S6_PT3_21rocsparse_index_base_b
; %bb.0:
	s_clause 0x2
	s_load_b64 s[6:7], s[0:1], 0x50
	s_load_b64 s[4:5], s[0:1], 0x18
	;; [unrolled: 1-line block ×3, first 2 shown]
	s_wait_kmcnt 0x0
	s_bitcmp1_b32 s7, 0
	v_dual_mov_b32 v4, s4 :: v_dual_mov_b32 v5, s5
	s_cselect_b32 s7, -1, 0
	s_delay_alu instid0(SALU_CYCLE_1)
	s_and_b32 vcc_lo, exec_lo, s7
	s_xor_b32 s7, s7, -1
	s_cbranch_vccnz .LBB21_2
; %bb.1:
	v_dual_mov_b32 v1, s4 :: v_dual_mov_b32 v2, s5
	flat_load_b64 v[4:5], v[1:2]
.LBB21_2:
	v_dual_mov_b32 v1, s2 :: v_dual_mov_b32 v2, s3
	s_and_not1_b32 vcc_lo, exec_lo, s7
	s_cbranch_vccnz .LBB21_4
; %bb.3:
	v_dual_mov_b32 v1, s2 :: v_dual_mov_b32 v2, s3
	flat_load_b64 v[1:2], v[1:2]
.LBB21_4:
	s_wait_loadcnt_dscnt 0x0
	v_cmp_neq_f64_e32 vcc_lo, 0, v[4:5]
	v_cmp_neq_f64_e64 s2, 1.0, v[1:2]
	s_or_b32 s2, vcc_lo, s2
	s_wait_alu 0xfffe
	s_and_saveexec_b32 s3, s2
	s_cbranch_execz .LBB21_39
; %bb.5:
	s_load_b64 s[4:5], s[0:1], 0x10
	s_mov_b32 s22, 0
	s_mov_b32 s2, ttmp9
	s_mov_b32 s23, s22
	v_dual_mov_b32 v1, s22 :: v_dual_lshlrev_b32 v10, 3, v0
	s_ashr_i32 s3, ttmp9, 31
	v_dual_mov_b32 v2, s23 :: v_dual_mov_b32 v13, 0
	s_wait_alu 0xfffe
	s_lshl_b64 s[2:3], s[2:3], 3
	ds_store_2addr_stride64_b64 v10, v[1:2], v[1:2] offset1:4
	ds_store_2addr_stride64_b64 v10, v[1:2], v[1:2] offset0:8 offset1:12
	s_wait_dscnt 0x0
	s_barrier_signal -1
	s_barrier_wait -1
	global_inv scope:SCOPE_SE
	s_mov_b32 s7, s22
	s_wait_kmcnt 0x0
	s_wait_alu 0xfffe
	s_add_nc_u64 s[2:3], s[4:5], s[2:3]
	s_load_b128 s[16:19], s[2:3], 0x0
	s_clause 0x1
	s_load_b256 s[8:15], s[0:1], 0x20
	s_load_b64 s[20:21], s[0:1], 0x48
	v_sub_co_u32 v11, s1, v0, s6
	s_delay_alu instid0(VALU_DEP_1)
	v_sub_co_ci_u32_e64 v12, null, 0, 0, s1
	s_wait_kmcnt 0x0
	v_cmp_ge_i64_e64 s0, s[16:17], s[18:19]
	s_and_b32 vcc_lo, exec_lo, s0
	s_cbranch_vccnz .LBB21_29
; %bb.6:
	v_cmp_gt_u32_e64 s0, 0x100, v0
	v_cmp_gt_u32_e64 s1, 64, v0
	;; [unrolled: 1-line block ×4, first 2 shown]
	v_cmp_eq_u32_e64 s4, 0, v0
	s_mov_b64 s[22:23], s[16:17]
	s_branch .LBB21_8
.LBB21_7:                               ;   in Loop: Header=BB21_8 Depth=1
	s_wait_alu 0xfffe
	s_or_b32 exec_lo, exec_lo, s5
	s_add_nc_u64 s[22:23], s[22:23], 1
	s_wait_alu 0xfffe
	v_cmp_ge_i64_e64 s5, s[22:23], s[18:19]
	s_and_b32 vcc_lo, exec_lo, s5
	s_wait_alu 0xfffe
	s_cbranch_vccnz .LBB21_29
.LBB21_8:                               ; =>This Loop Header: Depth=1
                                        ;     Child Loop BB21_10 Depth 2
                                        ;     Child Loop BB21_24 Depth 2
	;; [unrolled: 1-line block ×3, first 2 shown]
	s_wait_alu 0xfffe
	s_lshl_b64 s[24:25], s[22:23], 3
	v_mov_b32_e32 v2, 0
	s_add_nc_u64 s[26:27], s[8:9], s[24:25]
	v_mov_b32_e32 v3, 0
	s_load_b128 s[28:31], s[26:27], 0x0
	s_wait_kmcnt 0x0
	v_add_co_u32 v0, vcc_lo, s28, v11
	s_wait_alu 0xfffd
	v_add_co_ci_u32_e64 v1, null, s29, v12, vcc_lo
	s_sub_nc_u64 s[26:27], s[30:31], s[6:7]
	s_mov_b32 s28, exec_lo
	s_wait_alu 0xfffe
	v_cmpx_gt_i64_e64 s[26:27], v[0:1]
	s_cbranch_execz .LBB21_12
; %bb.9:                                ;   in Loop: Header=BB21_8 Depth=1
	v_lshlrev_b64_e32 v[8:9], 3, v[0:1]
	v_mov_b32_e32 v2, 0
	v_mov_b32_e32 v3, 0
	s_mov_b32 s29, 0
	s_delay_alu instid0(VALU_DEP_3)
	v_add_co_u32 v6, vcc_lo, s10, v8
	s_wait_alu 0xfffd
	v_add_co_ci_u32_e64 v7, null, s11, v9, vcc_lo
	v_add_co_u32 v8, vcc_lo, s12, v8
	s_wait_alu 0xfffd
	v_add_co_ci_u32_e64 v9, null, s13, v9, vcc_lo
.LBB21_10:                              ;   Parent Loop BB21_8 Depth=1
                                        ; =>  This Inner Loop Header: Depth=2
	global_load_b64 v[14:15], v[6:7], off
	s_wait_loadcnt 0x0
	v_sub_co_u32 v14, vcc_lo, v14, s6
	s_wait_alu 0xfffd
	v_subrev_co_ci_u32_e64 v15, null, 0, v15, vcc_lo
	s_delay_alu instid0(VALU_DEP_1) | instskip(NEXT) | instid1(VALU_DEP_1)
	v_lshlrev_b64_e32 v[14:15], 3, v[14:15]
	v_add_co_u32 v14, vcc_lo, s14, v14
	s_wait_alu 0xfffd
	s_delay_alu instid0(VALU_DEP_2)
	v_add_co_ci_u32_e64 v15, null, s15, v15, vcc_lo
	v_add_co_u32 v0, vcc_lo, 0x100, v0
	global_load_b64 v[16:17], v[8:9], off
	global_load_b64 v[14:15], v[14:15], off
	s_wait_alu 0xfffd
	v_add_co_ci_u32_e64 v1, null, 0, v1, vcc_lo
	v_add_co_u32 v6, vcc_lo, 0x800, v6
	s_wait_alu 0xfffd
	v_add_co_ci_u32_e64 v7, null, 0, v7, vcc_lo
	s_delay_alu instid0(VALU_DEP_3)
	v_cmp_le_i64_e32 vcc_lo, s[26:27], v[0:1]
	v_add_co_u32 v8, s5, 0x800, v8
	s_wait_alu 0xf1ff
	v_add_co_ci_u32_e64 v9, null, 0, v9, s5
	s_wait_alu 0xfffe
	s_or_b32 s29, vcc_lo, s29
	s_wait_loadcnt 0x0
	v_fma_f64 v[2:3], v[16:17], v[14:15], v[2:3]
	s_wait_alu 0xfffe
	s_and_not1_b32 exec_lo, exec_lo, s29
	s_cbranch_execnz .LBB21_10
; %bb.11:                               ;   in Loop: Header=BB21_8 Depth=1
	s_or_b32 exec_lo, exec_lo, s29
.LBB21_12:                              ;   in Loop: Header=BB21_8 Depth=1
	s_wait_alu 0xfffe
	s_or_b32 exec_lo, exec_lo, s28
	ds_store_b64 v10, v[2:3]
	s_wait_loadcnt_dscnt 0x0
	s_barrier_signal -1
	s_barrier_wait -1
	global_inv scope:SCOPE_SE
	s_and_saveexec_b32 s5, s0
	s_cbranch_execz .LBB21_14
; %bb.13:                               ;   in Loop: Header=BB21_8 Depth=1
	ds_load_2addr_stride64_b64 v[0:3], v10 offset1:4
	ds_load_2addr_stride64_b64 v[6:9], v10 offset0:8 offset1:12
	s_wait_dscnt 0x0
	v_add_f64_e32 v[2:3], v[2:3], v[6:7]
	s_delay_alu instid0(VALU_DEP_1) | instskip(NEXT) | instid1(VALU_DEP_1)
	v_add_f64_e32 v[2:3], v[2:3], v[8:9]
	v_add_f64_e32 v[0:1], v[0:1], v[2:3]
	ds_store_b64 v10, v[0:1]
.LBB21_14:                              ;   in Loop: Header=BB21_8 Depth=1
	s_wait_alu 0xfffe
	s_or_b32 exec_lo, exec_lo, s5
	s_wait_loadcnt_dscnt 0x0
	s_barrier_signal -1
	s_barrier_wait -1
	global_inv scope:SCOPE_SE
	s_and_saveexec_b32 s5, s1
	s_cbranch_execz .LBB21_16
; %bb.15:                               ;   in Loop: Header=BB21_8 Depth=1
	ds_load_2addr_stride64_b64 v[0:3], v10 offset1:1
	ds_load_2addr_stride64_b64 v[6:9], v10 offset0:2 offset1:3
	s_wait_dscnt 0x0
	v_add_f64_e32 v[2:3], v[2:3], v[6:7]
	s_delay_alu instid0(VALU_DEP_1) | instskip(NEXT) | instid1(VALU_DEP_1)
	v_add_f64_e32 v[2:3], v[2:3], v[8:9]
	v_add_f64_e32 v[0:1], v[0:1], v[2:3]
	ds_store_b64 v10, v[0:1]
.LBB21_16:                              ;   in Loop: Header=BB21_8 Depth=1
	s_wait_alu 0xfffe
	s_or_b32 exec_lo, exec_lo, s5
	s_wait_loadcnt_dscnt 0x0
	s_barrier_signal -1
	s_barrier_wait -1
	global_inv scope:SCOPE_SE
	s_and_saveexec_b32 s5, s2
	s_cbranch_execz .LBB21_18
; %bb.17:                               ;   in Loop: Header=BB21_8 Depth=1
	ds_load_2addr_b64 v[0:3], v10 offset1:16
	ds_load_2addr_b64 v[6:9], v10 offset0:32 offset1:48
	s_wait_dscnt 0x0
	v_add_f64_e32 v[2:3], v[2:3], v[6:7]
	s_delay_alu instid0(VALU_DEP_1) | instskip(NEXT) | instid1(VALU_DEP_1)
	v_add_f64_e32 v[2:3], v[2:3], v[8:9]
	v_add_f64_e32 v[0:1], v[0:1], v[2:3]
	ds_store_b64 v10, v[0:1]
.LBB21_18:                              ;   in Loop: Header=BB21_8 Depth=1
	s_wait_alu 0xfffe
	s_or_b32 exec_lo, exec_lo, s5
	s_wait_loadcnt_dscnt 0x0
	s_barrier_signal -1
	s_barrier_wait -1
	global_inv scope:SCOPE_SE
	s_and_saveexec_b32 s5, s3
	s_cbranch_execz .LBB21_20
; %bb.19:                               ;   in Loop: Header=BB21_8 Depth=1
	ds_load_2addr_b64 v[0:3], v10 offset1:4
	ds_load_2addr_b64 v[6:9], v10 offset0:8 offset1:12
	s_wait_dscnt 0x0
	v_add_f64_e32 v[2:3], v[2:3], v[6:7]
	s_delay_alu instid0(VALU_DEP_1) | instskip(NEXT) | instid1(VALU_DEP_1)
	v_add_f64_e32 v[2:3], v[2:3], v[8:9]
	v_add_f64_e32 v[0:1], v[0:1], v[2:3]
	ds_store_b64 v10, v[0:1]
.LBB21_20:                              ;   in Loop: Header=BB21_8 Depth=1
	s_wait_alu 0xfffe
	s_or_b32 exec_lo, exec_lo, s5
	s_wait_loadcnt_dscnt 0x0
	s_barrier_signal -1
	s_barrier_wait -1
	global_inv scope:SCOPE_SE
	s_and_saveexec_b32 s5, s4
	s_cbranch_execz .LBB21_22
; %bb.21:                               ;   in Loop: Header=BB21_8 Depth=1
	ds_load_2addr_b64 v[0:3], v13 offset0:1 offset1:2
	ds_load_b64 v[6:7], v10
	s_wait_dscnt 0x1
	v_add_f64_e32 v[0:1], v[0:1], v[2:3]
	ds_load_b64 v[2:3], v13 offset:24
	s_wait_dscnt 0x0
	v_add_f64_e32 v[0:1], v[0:1], v[2:3]
	s_delay_alu instid0(VALU_DEP_1)
	v_add_f64_e32 v[0:1], v[6:7], v[0:1]
	ds_store_b64 v10, v[0:1]
.LBB21_22:                              ;   in Loop: Header=BB21_8 Depth=1
	s_wait_alu 0xfffe
	s_or_b32 exec_lo, exec_lo, s5
	s_wait_loadcnt_dscnt 0x0
	s_barrier_signal -1
	s_barrier_wait -1
	global_inv scope:SCOPE_SE
	s_and_saveexec_b32 s5, s4
	s_cbranch_execz .LBB21_7
; %bb.23:                               ;   in Loop: Header=BB21_8 Depth=1
	ds_load_b64 v[0:1], v13
	v_mov_b32_e32 v6, 0
	v_bfrev_b32_e32 v7, 1
	s_mov_b32 s26, exec_lo
	s_wait_dscnt 0x0
	v_mul_f64_e32 v[0:1], v[4:5], v[0:1]
.LBB21_24:                              ;   Parent Loop BB21_8 Depth=1
                                        ; =>  This Inner Loop Header: Depth=2
	s_wait_alu 0xfffe
	s_ctz_i32_b32 s27, s26
	s_wait_alu 0xfffe
	s_delay_alu instid0(VALU_DEP_1) | instskip(NEXT) | instid1(VALU_DEP_2)
	v_readlane_b32 s29, v1, s27
	v_readlane_b32 s28, v0, s27
	s_lshl_b32 s27, 1, s27
	s_wait_alu 0xfffe
	s_and_not1_b32 s26, s26, s27
	v_add_f64_e32 v[6:7], s[28:29], v[6:7]
	s_wait_alu 0xfffe
	s_cmp_lg_u32 s26, 0
	s_cbranch_scc1 .LBB21_24
; %bb.25:                               ;   in Loop: Header=BB21_8 Depth=1
	v_mbcnt_lo_u32_b32 v0, exec_lo, 0
	s_mov_b32 s26, exec_lo
	s_delay_alu instid0(VALU_DEP_1)
	v_cmpx_eq_u32_e32 0, v0
	s_wait_alu 0xfffe
	s_xor_b32 s26, exec_lo, s26
	s_cbranch_execz .LBB21_7
; %bb.26:                               ;   in Loop: Header=BB21_8 Depth=1
	s_add_nc_u64 s[24:25], s[20:21], s[24:25]
	s_mov_b32 s26, 0
	global_load_b64 v[2:3], v13, s[24:25]
.LBB21_27:                              ;   Parent Loop BB21_8 Depth=1
                                        ; =>  This Inner Loop Header: Depth=2
	s_wait_loadcnt 0x0
	v_add_f64_e32 v[0:1], v[2:3], v[6:7]
	global_atomic_cmpswap_b64 v[0:1], v13, v[0:3], s[24:25] th:TH_ATOMIC_RETURN scope:SCOPE_DEV
	s_wait_loadcnt 0x0
	v_cmp_eq_u64_e32 vcc_lo, v[0:1], v[2:3]
	v_dual_mov_b32 v3, v1 :: v_dual_mov_b32 v2, v0
	s_wait_alu 0xfffe
	s_or_b32 s26, vcc_lo, s26
	s_wait_alu 0xfffe
	s_and_not1_b32 exec_lo, exec_lo, s26
	s_cbranch_execnz .LBB21_27
; %bb.28:                               ;   in Loop: Header=BB21_8 Depth=1
	s_or_b32 exec_lo, exec_lo, s26
	s_branch .LBB21_7
.LBB21_29:
	s_lshl_b64 s[0:1], s[16:17], 3
	s_lshl_b64 s[2:3], s[18:19], 3
	s_wait_alu 0xfffe
	s_add_nc_u64 s[0:1], s[8:9], s[0:1]
	s_add_nc_u64 s[2:3], s[8:9], s[2:3]
	s_clause 0x1
	s_load_b64 s[0:1], s[0:1], 0x0
	s_load_b64 s[2:3], s[2:3], 0x0
	s_wait_kmcnt 0x0
	v_add_co_u32 v6, vcc_lo, s0, v11
	s_wait_alu 0xfffd
	v_add_co_ci_u32_e64 v7, null, s1, v12, vcc_lo
	s_sub_nc_u64 s[2:3], s[2:3], s[6:7]
	s_wait_alu 0xfffe
	v_cmp_gt_i64_e32 vcc_lo, s[2:3], v[6:7]
	s_and_b32 exec_lo, exec_lo, vcc_lo
	s_cbranch_execz .LBB21_39
; %bb.30:
	s_add_nc_u64 s[4:5], s[18:19], -1
	s_add_nc_u64 s[0:1], s[18:19], -2
	s_wait_alu 0xfffe
	v_cmp_lt_i64_e64 s7, s[16:17], s[4:5]
	s_cmp_lg_u64 s[16:17], s[0:1]
	s_cselect_b32 s0, -1, 0
	s_wait_alu 0xfffe
	s_and_b32 s1, s7, s0
	s_mov_b32 s7, 0
	s_branch .LBB21_32
.LBB21_31:                              ;   in Loop: Header=BB21_32 Depth=1
	s_wait_alu 0xfffe
	s_or_b32 exec_lo, exec_lo, s0
	v_add_co_u32 v6, vcc_lo, 0x100, v6
	s_wait_alu 0xfffd
	v_add_co_ci_u32_e64 v7, null, 0, v7, vcc_lo
	s_delay_alu instid0(VALU_DEP_1)
	v_cmp_le_i64_e32 vcc_lo, s[2:3], v[6:7]
	s_or_b32 s7, vcc_lo, s7
	s_wait_alu 0xfffe
	s_and_not1_b32 exec_lo, exec_lo, s7
	s_cbranch_execz .LBB21_39
.LBB21_32:                              ; =>This Loop Header: Depth=1
                                        ;     Child Loop BB21_34 Depth 2
                                        ;     Child Loop BB21_38 Depth 2
	v_dual_mov_b32 v0, s16 :: v_dual_mov_b32 v1, s17
	v_dual_mov_b32 v2, s4 :: v_dual_mov_b32 v3, s5
	s_wait_alu 0xfffe
	s_and_not1_b32 vcc_lo, exec_lo, s1
	s_wait_alu 0xfffe
	s_cbranch_vccnz .LBB21_36
; %bb.33:                               ;   in Loop: Header=BB21_32 Depth=1
	v_dual_mov_b32 v0, s16 :: v_dual_mov_b32 v1, s17
	v_dual_mov_b32 v2, s4 :: v_dual_mov_b32 v3, s5
	s_mov_b32 s18, 0
.LBB21_34:                              ;   Parent Loop BB21_32 Depth=1
                                        ; =>  This Inner Loop Header: Depth=2
	s_delay_alu instid0(VALU_DEP_1) | instskip(SKIP_1) | instid1(VALU_DEP_2)
	v_add_co_u32 v8, vcc_lo, v2, v0
	s_wait_alu 0xfffd
	v_add_co_ci_u32_e64 v9, null, v3, v1, vcc_lo
	s_delay_alu instid0(VALU_DEP_1) | instskip(NEXT) | instid1(VALU_DEP_1)
	v_lshrrev_b32_e32 v10, 31, v9
	v_add_co_u32 v8, vcc_lo, v8, v10
	s_wait_alu 0xfffd
	v_add_co_ci_u32_e64 v9, null, 0, v9, vcc_lo
	s_delay_alu instid0(VALU_DEP_1) | instskip(NEXT) | instid1(VALU_DEP_1)
	v_ashrrev_i64 v[8:9], 1, v[8:9]
	v_lshlrev_b64_e32 v[10:11], 3, v[8:9]
	s_delay_alu instid0(VALU_DEP_1) | instskip(SKIP_1) | instid1(VALU_DEP_2)
	v_add_co_u32 v10, vcc_lo, s8, v10
	s_wait_alu 0xfffd
	v_add_co_ci_u32_e64 v11, null, s9, v11, vcc_lo
	global_load_b64 v[10:11], v[10:11], off
	s_wait_loadcnt 0x0
	v_sub_co_u32 v10, vcc_lo, v10, s6
	s_wait_alu 0xfffd
	v_subrev_co_ci_u32_e64 v11, null, 0, v11, vcc_lo
	s_delay_alu instid0(VALU_DEP_1) | instskip(SKIP_3) | instid1(VALU_DEP_2)
	v_cmp_lt_i64_e32 vcc_lo, v[6:7], v[10:11]
	s_wait_alu 0xfffd
	v_dual_cndmask_b32 v3, v3, v9 :: v_dual_cndmask_b32 v2, v2, v8
	v_dual_cndmask_b32 v1, v9, v1 :: v_dual_cndmask_b32 v0, v8, v0
	v_add_co_u32 v8, vcc_lo, v2, -1
	s_wait_alu 0xfffd
	s_delay_alu instid0(VALU_DEP_3) | instskip(NEXT) | instid1(VALU_DEP_3)
	v_add_co_ci_u32_e64 v9, null, -1, v3, vcc_lo
	v_cmp_ge_i64_e32 vcc_lo, v[0:1], v[2:3]
	s_delay_alu instid0(VALU_DEP_2)
	v_cmp_eq_u64_e64 s0, v[0:1], v[8:9]
	s_or_b32 s0, vcc_lo, s0
	s_wait_alu 0xfffe
	s_and_b32 s0, exec_lo, s0
	s_wait_alu 0xfffe
	s_or_b32 s18, s0, s18
	s_wait_alu 0xfffe
	s_and_not1_b32 exec_lo, exec_lo, s18
	s_cbranch_execnz .LBB21_34
; %bb.35:                               ;   in Loop: Header=BB21_32 Depth=1
	s_or_b32 exec_lo, exec_lo, s18
.LBB21_36:                              ;   in Loop: Header=BB21_32 Depth=1
	v_lshlrev_b64_e32 v[8:9], 3, v[2:3]
	s_mov_b32 s0, exec_lo
	s_delay_alu instid0(VALU_DEP_1) | instskip(SKIP_1) | instid1(VALU_DEP_2)
	v_add_co_u32 v8, vcc_lo, s8, v8
	s_wait_alu 0xfffd
	v_add_co_ci_u32_e64 v9, null, s9, v9, vcc_lo
	global_load_b64 v[10:11], v[8:9], off
	v_lshlrev_b64_e32 v[8:9], 3, v[6:7]
	s_delay_alu instid0(VALU_DEP_1) | instskip(SKIP_1) | instid1(VALU_DEP_2)
	v_add_co_u32 v12, vcc_lo, s10, v8
	s_wait_alu 0xfffd
	v_add_co_ci_u32_e64 v13, null, s11, v9, vcc_lo
	global_load_b64 v[12:13], v[12:13], off
	s_wait_loadcnt 0x1
	v_sub_co_u32 v10, vcc_lo, v10, s6
	s_wait_alu 0xfffd
	v_subrev_co_ci_u32_e64 v11, null, 0, v11, vcc_lo
	s_delay_alu instid0(VALU_DEP_1)
	v_cmp_lt_i64_e32 vcc_lo, v[6:7], v[10:11]
	s_wait_alu 0xfffd
	v_dual_cndmask_b32 v3, v3, v1 :: v_dual_cndmask_b32 v2, v2, v0
	s_wait_loadcnt 0x0
	v_sub_co_u32 v0, vcc_lo, v12, s6
	s_wait_alu 0xfffd
	v_subrev_co_ci_u32_e64 v1, null, 0, v13, vcc_lo
	s_delay_alu instid0(VALU_DEP_1)
	v_cmpx_ne_u64_e64 v[0:1], v[2:3]
	s_cbranch_execz .LBB21_31
; %bb.37:                               ;   in Loop: Header=BB21_32 Depth=1
	v_add_co_u32 v8, vcc_lo, s12, v8
	s_wait_alu 0xfffd
	v_add_co_ci_u32_e64 v9, null, s13, v9, vcc_lo
	v_lshlrev_b64_e32 v[2:3], 3, v[2:3]
	v_lshlrev_b64_e32 v[0:1], 3, v[0:1]
	s_mov_b32 s18, 0
	global_load_b64 v[10:11], v[8:9], off
	v_add_co_u32 v2, vcc_lo, s14, v2
	s_wait_alu 0xfffd
	v_add_co_ci_u32_e64 v3, null, s15, v3, vcc_lo
	v_add_co_u32 v8, vcc_lo, s20, v0
	s_wait_alu 0xfffd
	v_add_co_ci_u32_e64 v9, null, s21, v1, vcc_lo
	global_load_b64 v[12:13], v[2:3], off
	global_load_b64 v[2:3], v[8:9], off
	s_wait_loadcnt 0x2
	v_mul_f64_e32 v[0:1], v[4:5], v[10:11]
	s_wait_loadcnt 0x1
	s_delay_alu instid0(VALU_DEP_1)
	v_mul_f64_e32 v[10:11], v[0:1], v[12:13]
.LBB21_38:                              ;   Parent Loop BB21_32 Depth=1
                                        ; =>  This Inner Loop Header: Depth=2
	s_wait_loadcnt 0x0
	s_delay_alu instid0(VALU_DEP_1)
	v_add_f64_e32 v[0:1], v[2:3], v[10:11]
	global_atomic_cmpswap_b64 v[0:1], v[8:9], v[0:3], off th:TH_ATOMIC_RETURN scope:SCOPE_DEV
	s_wait_loadcnt 0x0
	v_cmp_eq_u64_e32 vcc_lo, v[0:1], v[2:3]
	v_dual_mov_b32 v3, v1 :: v_dual_mov_b32 v2, v0
	s_wait_alu 0xfffe
	s_or_b32 s18, vcc_lo, s18
	s_wait_alu 0xfffe
	s_and_not1_b32 exec_lo, exec_lo, s18
	s_cbranch_execnz .LBB21_38
	s_branch .LBB21_31
.LBB21_39:
	s_endpgm
	.section	.rodata,"a",@progbits
	.p2align	6, 0x0
	.amdhsa_kernel _ZL33csrmvn_symm_large_adaptive_kernelIllddddEvbT_PKS0_N9rocsparse24const_host_device_scalarIT4_EES2_PKT0_PKT1_PKT2_S6_PT3_21rocsparse_index_base_b
		.amdhsa_group_segment_fixed_size 8192
		.amdhsa_private_segment_fixed_size 0
		.amdhsa_kernarg_size 88
		.amdhsa_user_sgpr_count 2
		.amdhsa_user_sgpr_dispatch_ptr 0
		.amdhsa_user_sgpr_queue_ptr 0
		.amdhsa_user_sgpr_kernarg_segment_ptr 1
		.amdhsa_user_sgpr_dispatch_id 0
		.amdhsa_user_sgpr_private_segment_size 0
		.amdhsa_wavefront_size32 1
		.amdhsa_uses_dynamic_stack 0
		.amdhsa_enable_private_segment 0
		.amdhsa_system_sgpr_workgroup_id_x 1
		.amdhsa_system_sgpr_workgroup_id_y 0
		.amdhsa_system_sgpr_workgroup_id_z 0
		.amdhsa_system_sgpr_workgroup_info 0
		.amdhsa_system_vgpr_workitem_id 0
		.amdhsa_next_free_vgpr 18
		.amdhsa_next_free_sgpr 32
		.amdhsa_reserve_vcc 1
		.amdhsa_float_round_mode_32 0
		.amdhsa_float_round_mode_16_64 0
		.amdhsa_float_denorm_mode_32 3
		.amdhsa_float_denorm_mode_16_64 3
		.amdhsa_fp16_overflow 0
		.amdhsa_workgroup_processor_mode 1
		.amdhsa_memory_ordered 1
		.amdhsa_forward_progress 1
		.amdhsa_inst_pref_size 18
		.amdhsa_round_robin_scheduling 0
		.amdhsa_exception_fp_ieee_invalid_op 0
		.amdhsa_exception_fp_denorm_src 0
		.amdhsa_exception_fp_ieee_div_zero 0
		.amdhsa_exception_fp_ieee_overflow 0
		.amdhsa_exception_fp_ieee_underflow 0
		.amdhsa_exception_fp_ieee_inexact 0
		.amdhsa_exception_int_div_zero 0
	.end_amdhsa_kernel
	.section	.text._ZL33csrmvn_symm_large_adaptive_kernelIllddddEvbT_PKS0_N9rocsparse24const_host_device_scalarIT4_EES2_PKT0_PKT1_PKT2_S6_PT3_21rocsparse_index_base_b,"axG",@progbits,_ZL33csrmvn_symm_large_adaptive_kernelIllddddEvbT_PKS0_N9rocsparse24const_host_device_scalarIT4_EES2_PKT0_PKT1_PKT2_S6_PT3_21rocsparse_index_base_b,comdat
.Lfunc_end21:
	.size	_ZL33csrmvn_symm_large_adaptive_kernelIllddddEvbT_PKS0_N9rocsparse24const_host_device_scalarIT4_EES2_PKT0_PKT1_PKT2_S6_PT3_21rocsparse_index_base_b, .Lfunc_end21-_ZL33csrmvn_symm_large_adaptive_kernelIllddddEvbT_PKS0_N9rocsparse24const_host_device_scalarIT4_EES2_PKT0_PKT1_PKT2_S6_PT3_21rocsparse_index_base_b
                                        ; -- End function
	.set _ZL33csrmvn_symm_large_adaptive_kernelIllddddEvbT_PKS0_N9rocsparse24const_host_device_scalarIT4_EES2_PKT0_PKT1_PKT2_S6_PT3_21rocsparse_index_base_b.num_vgpr, 18
	.set _ZL33csrmvn_symm_large_adaptive_kernelIllddddEvbT_PKS0_N9rocsparse24const_host_device_scalarIT4_EES2_PKT0_PKT1_PKT2_S6_PT3_21rocsparse_index_base_b.num_agpr, 0
	.set _ZL33csrmvn_symm_large_adaptive_kernelIllddddEvbT_PKS0_N9rocsparse24const_host_device_scalarIT4_EES2_PKT0_PKT1_PKT2_S6_PT3_21rocsparse_index_base_b.numbered_sgpr, 32
	.set _ZL33csrmvn_symm_large_adaptive_kernelIllddddEvbT_PKS0_N9rocsparse24const_host_device_scalarIT4_EES2_PKT0_PKT1_PKT2_S6_PT3_21rocsparse_index_base_b.num_named_barrier, 0
	.set _ZL33csrmvn_symm_large_adaptive_kernelIllddddEvbT_PKS0_N9rocsparse24const_host_device_scalarIT4_EES2_PKT0_PKT1_PKT2_S6_PT3_21rocsparse_index_base_b.private_seg_size, 0
	.set _ZL33csrmvn_symm_large_adaptive_kernelIllddddEvbT_PKS0_N9rocsparse24const_host_device_scalarIT4_EES2_PKT0_PKT1_PKT2_S6_PT3_21rocsparse_index_base_b.uses_vcc, 1
	.set _ZL33csrmvn_symm_large_adaptive_kernelIllddddEvbT_PKS0_N9rocsparse24const_host_device_scalarIT4_EES2_PKT0_PKT1_PKT2_S6_PT3_21rocsparse_index_base_b.uses_flat_scratch, 0
	.set _ZL33csrmvn_symm_large_adaptive_kernelIllddddEvbT_PKS0_N9rocsparse24const_host_device_scalarIT4_EES2_PKT0_PKT1_PKT2_S6_PT3_21rocsparse_index_base_b.has_dyn_sized_stack, 0
	.set _ZL33csrmvn_symm_large_adaptive_kernelIllddddEvbT_PKS0_N9rocsparse24const_host_device_scalarIT4_EES2_PKT0_PKT1_PKT2_S6_PT3_21rocsparse_index_base_b.has_recursion, 0
	.set _ZL33csrmvn_symm_large_adaptive_kernelIllddddEvbT_PKS0_N9rocsparse24const_host_device_scalarIT4_EES2_PKT0_PKT1_PKT2_S6_PT3_21rocsparse_index_base_b.has_indirect_call, 0
	.section	.AMDGPU.csdata,"",@progbits
; Kernel info:
; codeLenInByte = 2272
; TotalNumSgprs: 34
; NumVgprs: 18
; ScratchSize: 0
; MemoryBound: 0
; FloatMode: 240
; IeeeMode: 1
; LDSByteSize: 8192 bytes/workgroup (compile time only)
; SGPRBlocks: 0
; VGPRBlocks: 2
; NumSGPRsForWavesPerEU: 34
; NumVGPRsForWavesPerEU: 18
; Occupancy: 16
; WaveLimiterHint : 1
; COMPUTE_PGM_RSRC2:SCRATCH_EN: 0
; COMPUTE_PGM_RSRC2:USER_SGPR: 2
; COMPUTE_PGM_RSRC2:TRAP_HANDLER: 0
; COMPUTE_PGM_RSRC2:TGID_X_EN: 1
; COMPUTE_PGM_RSRC2:TGID_Y_EN: 0
; COMPUTE_PGM_RSRC2:TGID_Z_EN: 0
; COMPUTE_PGM_RSRC2:TIDIG_COMP_CNT: 0
	.section	.text._ZN9rocsparseL22csrmvn_adaptive_kernelIii21rocsparse_complex_numIfES2_S2_S2_EEvbT_PKS3_PjPKT0_NS_24const_host_device_scalarIT4_EES5_S9_PKT1_PKT2_SC_PT3_21rocsparse_index_base_b,"axG",@progbits,_ZN9rocsparseL22csrmvn_adaptive_kernelIii21rocsparse_complex_numIfES2_S2_S2_EEvbT_PKS3_PjPKT0_NS_24const_host_device_scalarIT4_EES5_S9_PKT1_PKT2_SC_PT3_21rocsparse_index_base_b,comdat
	.globl	_ZN9rocsparseL22csrmvn_adaptive_kernelIii21rocsparse_complex_numIfES2_S2_S2_EEvbT_PKS3_PjPKT0_NS_24const_host_device_scalarIT4_EES5_S9_PKT1_PKT2_SC_PT3_21rocsparse_index_base_b ; -- Begin function _ZN9rocsparseL22csrmvn_adaptive_kernelIii21rocsparse_complex_numIfES2_S2_S2_EEvbT_PKS3_PjPKT0_NS_24const_host_device_scalarIT4_EES5_S9_PKT1_PKT2_SC_PT3_21rocsparse_index_base_b
	.p2align	8
	.type	_ZN9rocsparseL22csrmvn_adaptive_kernelIii21rocsparse_complex_numIfES2_S2_S2_EEvbT_PKS3_PjPKT0_NS_24const_host_device_scalarIT4_EES5_S9_PKT1_PKT2_SC_PT3_21rocsparse_index_base_b,@function
_ZN9rocsparseL22csrmvn_adaptive_kernelIii21rocsparse_complex_numIfES2_S2_S2_EEvbT_PKS3_PjPKT0_NS_24const_host_device_scalarIT4_EES5_S9_PKT1_PKT2_SC_PT3_21rocsparse_index_base_b: ; @_ZN9rocsparseL22csrmvn_adaptive_kernelIii21rocsparse_complex_numIfES2_S2_S2_EEvbT_PKS3_PjPKT0_NS_24const_host_device_scalarIT4_EES5_S9_PKT1_PKT2_SC_PT3_21rocsparse_index_base_b
; %bb.0:
	s_clause 0x2
	s_load_b64 s[28:29], s[0:1], 0x58
	s_load_b64 s[2:3], s[0:1], 0x20
	s_load_b64 s[4:5], s[0:1], 0x48
	s_add_nc_u64 s[6:7], s[0:1], 32
	s_wait_kmcnt 0x0
	s_bitcmp1_b32 s29, 0
	s_cselect_b32 s2, s6, s2
	s_cselect_b32 s3, s7, s3
	s_delay_alu instid0(SALU_CYCLE_1)
	v_dual_mov_b32 v1, s2 :: v_dual_mov_b32 v2, s3
	s_add_nc_u64 s[2:3], s[0:1], 0x48
	s_wait_alu 0xfffe
	s_cselect_b32 s2, s2, s4
	s_cselect_b32 s3, s3, s5
	flat_load_b64 v[3:4], v[1:2]
	s_wait_alu 0xfffe
	v_dual_mov_b32 v1, s2 :: v_dual_mov_b32 v2, s3
	flat_load_b64 v[1:2], v[1:2]
	s_wait_loadcnt_dscnt 0x101
	v_cmp_eq_f32_e32 vcc_lo, 0, v3
	v_cmp_eq_f32_e64 s2, 0, v4
	s_and_b32 s4, vcc_lo, s2
	s_mov_b32 s2, -1
	s_and_saveexec_b32 s3, s4
	s_cbranch_execz .LBB22_2
; %bb.1:
	s_wait_loadcnt_dscnt 0x0
	v_cmp_neq_f32_e32 vcc_lo, 1.0, v1
	v_cmp_neq_f32_e64 s2, 0, v2
	s_wait_alu 0xfffe
	s_or_b32 s2, vcc_lo, s2
	s_wait_alu 0xfffe
	s_or_not1_b32 s2, s2, exec_lo
.LBB22_2:
	s_wait_alu 0xfffe
	s_or_b32 exec_lo, exec_lo, s3
	s_and_saveexec_b32 s3, s2
	s_cbranch_execz .LBB22_114
; %bb.3:
	s_clause 0x1
	s_load_b128 s[20:23], s[0:1], 0x0
	s_load_b64 s[2:3], s[0:1], 0x18
	s_mov_b32 s34, ttmp9
	s_wait_kmcnt 0x0
	s_bitcmp1_b32 s20, 0
	s_cselect_b32 s29, -1, 0
	s_ashr_i32 s35, ttmp9, 31
	s_delay_alu instid0(SALU_CYCLE_1) | instskip(NEXT) | instid1(SALU_CYCLE_1)
	s_lshl_b64 s[36:37], s[34:35], 2
	s_add_nc_u64 s[4:5], s[22:23], s[36:37]
	s_load_b64 s[24:25], s[4:5], 0x0
	s_load_b256 s[12:19], s[0:1], 0x28
	s_add_nc_u64 s[2:3], s[2:3], s[36:37]
	s_load_b64 s[22:23], s[0:1], 0x50
	s_wait_kmcnt 0x0
	s_ashr_i32 s31, s24, 31
	s_mov_b32 s30, s24
	s_delay_alu instid0(SALU_CYCLE_1) | instskip(NEXT) | instid1(SALU_CYCLE_1)
	s_lshl_b64 s[4:5], s[30:31], 2
	s_add_nc_u64 s[26:27], s[12:13], s[4:5]
	s_load_b32 s11, s[2:3], 0x0
	s_load_b32 s20, s[26:27], 0x0
	s_sub_co_i32 s3, s25, s24
	s_mov_b32 s2, -1
	s_wait_alu 0xfffe
	s_cmp_lt_i32 s3, 2
	s_cbranch_scc0 .LBB22_70
; %bb.4:
	s_cmp_lg_u32 s3, 1
	v_cmp_gt_u32_e64 s2, 0x80, v0
	s_cselect_b32 s4, -1, 0
	s_wait_kmcnt 0x0
	s_cmp_lg_u32 s11, 0
	v_cmp_gt_u32_e64 s3, 64, v0
	s_cselect_b32 s5, -1, 0
	v_cmp_gt_u32_e64 s6, 8, v0
	s_or_b32 s5, s4, s5
	v_cmp_gt_u32_e64 s4, 32, v0
	s_and_b32 vcc_lo, exec_lo, s5
	v_cmp_gt_u32_e64 s5, 16, v0
	v_cmp_gt_u32_e64 s7, 4, v0
	;; [unrolled: 1-line block ×3, first 2 shown]
	v_cmp_eq_u32_e64 s9, 0, v0
	s_mov_b32 s10, -1
	s_cbranch_vccnz .LBB22_32
; %bb.5:
	s_wait_loadcnt_dscnt 0x0
	v_cmp_neq_f32_e32 vcc_lo, 0, v1
	v_cmp_neq_f32_e64 s10, 0, v2
	v_subrev_nc_u32_e32 v12, s28, v0
	v_dual_mov_b32 v14, 0 :: v_dual_lshlrev_b32 v13, 3, v0
	s_add_nc_u64 s[38:39], s[16:17], 4
	s_or_b32 s33, vcc_lo, s10
	s_mov_b32 s40, s24
	s_branch .LBB22_8
.LBB22_6:                               ;   in Loop: Header=BB22_8 Depth=1
	s_or_b32 exec_lo, exec_lo, s35
	s_lshl_b64 s[42:43], s[40:41], 3
	s_wait_alu 0xfffe
	s_add_nc_u64 s[42:43], s[22:23], s[42:43]
	s_wait_dscnt 0x0
	global_store_b64 v14, v[5:6], s[42:43]
.LBB22_7:                               ;   in Loop: Header=BB22_8 Depth=1
	s_or_b32 exec_lo, exec_lo, s10
	s_add_co_i32 s40, s40, 1
	s_delay_alu instid0(SALU_CYCLE_1)
	s_cmp_ge_i32 s40, s25
	s_cbranch_scc1 .LBB22_31
.LBB22_8:                               ; =>This Loop Header: Depth=1
                                        ;     Child Loop BB22_10 Depth 2
	s_ashr_i32 s41, s40, 31
	v_mov_b32_e32 v7, 0
	s_lshl_b64 s[42:43], s[40:41], 2
	s_mov_b32 s35, exec_lo
	s_wait_alu 0xfffe
	s_add_nc_u64 s[42:43], s[12:13], s[42:43]
	v_mov_b32_e32 v6, 0
	s_load_b64 s[42:43], s[42:43], 0x0
	s_wait_kmcnt 0x0
	v_add_nc_u32_e32 v5, s42, v12
	s_sub_co_i32 s42, s43, s28
	s_wait_alu 0xfffe
	s_delay_alu instid0(VALU_DEP_1)
	v_cmpx_gt_i32_e64 s42, v5
	s_cbranch_execz .LBB22_12
; %bb.9:                                ;   in Loop: Header=BB22_8 Depth=1
	v_ashrrev_i32_e32 v6, 31, v5
	v_mov_b32_e32 v7, 0
	s_mov_b32 s43, 0
	s_delay_alu instid0(VALU_DEP_2) | instskip(SKIP_1) | instid1(VALU_DEP_3)
	v_lshlrev_b64_e32 v[8:9], 3, v[5:6]
	v_lshlrev_b64_e32 v[10:11], 2, v[5:6]
	v_mov_b32_e32 v6, v7
	s_delay_alu instid0(VALU_DEP_3) | instskip(SKIP_1) | instid1(VALU_DEP_4)
	v_add_co_u32 v8, vcc_lo, s38, v8
	s_wait_alu 0xfffd
	v_add_co_ci_u32_e64 v9, null, s39, v9, vcc_lo
	s_delay_alu instid0(VALU_DEP_4)
	v_add_co_u32 v10, vcc_lo, s14, v10
	s_wait_alu 0xfffd
	v_add_co_ci_u32_e64 v11, null, s15, v11, vcc_lo
.LBB22_10:                              ;   Parent Loop BB22_8 Depth=1
                                        ; =>  This Inner Loop Header: Depth=2
	global_load_b32 v15, v[10:11], off
	global_load_b64 v[17:18], v[8:9], off offset:-4
	s_wait_loadcnt 0x1
	v_subrev_nc_u32_e32 v15, s28, v15
	s_wait_loadcnt 0x0
	v_cndmask_b32_e64 v18, v18, -v18, s29
	v_add_nc_u32_e32 v5, 0x100, v5
	s_delay_alu instid0(VALU_DEP_3) | instskip(NEXT) | instid1(VALU_DEP_3)
	v_ashrrev_i32_e32 v16, 31, v15
	v_mul_f32_e64 v19, v18, -v4
	v_mul_f32_e32 v18, v3, v18
	s_delay_alu instid0(VALU_DEP_4) | instskip(NEXT) | instid1(VALU_DEP_4)
	v_cmp_le_i32_e64 s10, s42, v5
	v_lshlrev_b64_e32 v[15:16], 3, v[15:16]
	s_delay_alu instid0(VALU_DEP_4) | instskip(SKIP_2) | instid1(VALU_DEP_2)
	v_fmac_f32_e32 v19, v3, v17
	s_wait_alu 0xfffe
	s_or_b32 s43, s10, s43
	v_add_co_u32 v15, vcc_lo, s18, v15
	s_wait_alu 0xfffd
	v_add_co_ci_u32_e64 v16, null, s19, v16, vcc_lo
	v_add_co_u32 v8, vcc_lo, 0x800, v8
	s_wait_alu 0xfffd
	v_add_co_ci_u32_e64 v9, null, 0, v9, vcc_lo
	global_load_b64 v[15:16], v[15:16], off
	v_fmac_f32_e32 v18, v4, v17
	v_add_co_u32 v10, vcc_lo, 0x400, v10
	s_wait_alu 0xfffd
	v_add_co_ci_u32_e64 v11, null, 0, v11, vcc_lo
	s_wait_loadcnt 0x0
	v_fmac_f32_e32 v6, v19, v15
	v_fmac_f32_e32 v7, v18, v15
	s_delay_alu instid0(VALU_DEP_1) | instskip(NEXT) | instid1(VALU_DEP_3)
	v_fmac_f32_e32 v7, v19, v16
	v_fma_f32 v6, -v18, v16, v6
	s_wait_alu 0xfffe
	s_and_not1_b32 exec_lo, exec_lo, s43
	s_cbranch_execnz .LBB22_10
; %bb.11:                               ;   in Loop: Header=BB22_8 Depth=1
	s_or_b32 exec_lo, exec_lo, s43
.LBB22_12:                              ;   in Loop: Header=BB22_8 Depth=1
	s_delay_alu instid0(SALU_CYCLE_1)
	s_or_b32 exec_lo, exec_lo, s35
	ds_store_b64 v13, v[6:7]
	s_wait_dscnt 0x0
	s_barrier_signal -1
	s_barrier_wait -1
	global_inv scope:SCOPE_SE
	s_and_saveexec_b32 s10, s2
	s_cbranch_execz .LBB22_14
; %bb.13:                               ;   in Loop: Header=BB22_8 Depth=1
	ds_load_2addr_stride64_b64 v[5:8], v13 offset1:2
	s_wait_dscnt 0x0
	v_dual_add_f32 v5, v7, v5 :: v_dual_add_f32 v6, v8, v6
	ds_store_b64 v13, v[5:6]
.LBB22_14:                              ;   in Loop: Header=BB22_8 Depth=1
	s_or_b32 exec_lo, exec_lo, s10
	s_wait_loadcnt_dscnt 0x0
	s_barrier_signal -1
	s_barrier_wait -1
	global_inv scope:SCOPE_SE
	s_and_saveexec_b32 s10, s3
	s_cbranch_execz .LBB22_16
; %bb.15:                               ;   in Loop: Header=BB22_8 Depth=1
	ds_load_2addr_stride64_b64 v[5:8], v13 offset1:1
	s_wait_dscnt 0x0
	v_dual_add_f32 v5, v7, v5 :: v_dual_add_f32 v6, v8, v6
	ds_store_b64 v13, v[5:6]
.LBB22_16:                              ;   in Loop: Header=BB22_8 Depth=1
	s_or_b32 exec_lo, exec_lo, s10
	s_wait_loadcnt_dscnt 0x0
	s_barrier_signal -1
	s_barrier_wait -1
	global_inv scope:SCOPE_SE
	s_and_saveexec_b32 s10, s4
	s_cbranch_execz .LBB22_18
; %bb.17:                               ;   in Loop: Header=BB22_8 Depth=1
	ds_load_2addr_b64 v[5:8], v13 offset1:32
	s_wait_dscnt 0x0
	v_dual_add_f32 v5, v7, v5 :: v_dual_add_f32 v6, v8, v6
	ds_store_b64 v13, v[5:6]
.LBB22_18:                              ;   in Loop: Header=BB22_8 Depth=1
	s_or_b32 exec_lo, exec_lo, s10
	s_wait_loadcnt_dscnt 0x0
	s_barrier_signal -1
	s_barrier_wait -1
	global_inv scope:SCOPE_SE
	s_and_saveexec_b32 s10, s5
	s_cbranch_execz .LBB22_20
; %bb.19:                               ;   in Loop: Header=BB22_8 Depth=1
	ds_load_2addr_b64 v[5:8], v13 offset1:16
	s_wait_dscnt 0x0
	v_dual_add_f32 v5, v7, v5 :: v_dual_add_f32 v6, v8, v6
	ds_store_b64 v13, v[5:6]
.LBB22_20:                              ;   in Loop: Header=BB22_8 Depth=1
	;; [unrolled: 13-line block ×6, first 2 shown]
	s_or_b32 exec_lo, exec_lo, s10
	s_wait_loadcnt_dscnt 0x0
	s_barrier_signal -1
	s_barrier_wait -1
	global_inv scope:SCOPE_SE
	s_and_saveexec_b32 s10, s9
	s_cbranch_execz .LBB22_7
; %bb.29:                               ;   in Loop: Header=BB22_8 Depth=1
	ds_load_b64 v[5:6], v14
	s_and_saveexec_b32 s35, s33
	s_cbranch_execz .LBB22_6
; %bb.30:                               ;   in Loop: Header=BB22_8 Depth=1
	s_lshl_b64 s[42:43], s[40:41], 3
	s_wait_alu 0xfffe
	s_add_nc_u64 s[42:43], s[22:23], s[42:43]
	global_load_b64 v[7:8], v14, s[42:43]
	s_wait_loadcnt_dscnt 0x0
	v_fma_f32 v5, v1, v7, v5
	v_fmac_f32_e32 v6, v2, v7
	s_delay_alu instid0(VALU_DEP_2) | instskip(NEXT) | instid1(VALU_DEP_2)
	v_fma_f32 v5, -v2, v8, v5
	v_fmac_f32_e32 v6, v1, v8
	s_branch .LBB22_6
.LBB22_31:
	s_mov_b32 s10, 0
.LBB22_32:
	s_delay_alu instid0(SALU_CYCLE_1)
	s_and_b32 vcc_lo, exec_lo, s10
	s_wait_alu 0xfffe
	s_cbranch_vccz .LBB22_69
; %bb.33:
	s_load_b64 s[4:5], s[0:1], 0x10
	v_mov_b32_e32 v5, 0
	v_or_b32_e32 v6, s11, v0
	s_sub_co_i32 s6, s34, s11
	s_delay_alu instid0(VALU_DEP_1)
	v_cmp_eq_u32_e32 vcc_lo, 0, v6
	v_mov_b32_e32 v6, 0
	s_wait_kmcnt 0x0
	s_add_nc_u64 s[2:3], s[4:5], s[36:37]
	global_load_b32 v12, v5, s[2:3]
	s_and_saveexec_b32 s0, vcc_lo
	s_cbranch_execz .LBB22_37
; %bb.34:
	s_wait_loadcnt_dscnt 0x100
	v_dual_mov_b32 v9, 0 :: v_dual_add_f32 v10, -1.0, v1
	s_lshl_b64 s[8:9], s[30:31], 3
	s_mov_b32 s1, exec_lo
	s_add_nc_u64 s[8:9], s[22:23], s[8:9]
	v_mbcnt_lo_u32_b32 v11, s1, 0
	global_load_b64 v[7:8], v9, s[8:9]
	s_mov_b32 s8, exec_lo
	s_wait_loadcnt 0x0
	s_wait_storecnt 0x0
	global_inv scope:SCOPE_DEV
	v_mul_f32_e64 v5, v8, -v2
	v_mul_f32_e32 v6, v10, v8
	v_cmpx_eq_u32_e32 0, v11
	s_cbranch_execz .LBB22_36
; %bb.35:
	s_bcnt1_i32_b32 s1, s1
	s_ashr_i32 s7, s6, 31
	s_wait_alu 0xfffe
	s_and_b32 s1, s1, 1
	s_lshl_b64 s[34:35], s[6:7], 2
	s_wait_alu 0xfffe
	v_mov_b32_e32 v8, s1
	s_add_nc_u64 s[34:35], s[4:5], s[34:35]
	global_atomic_xor_b32 v9, v8, s[34:35] scope:SCOPE_DEV
.LBB22_36:
	s_or_b32 exec_lo, exec_lo, s8
	v_fmac_f32_e32 v5, v10, v7
	v_fmac_f32_e32 v6, v2, v7
.LBB22_37:
	s_or_b32 exec_lo, exec_lo, s0
	s_load_b32 s0, s[26:27], 0x4
	s_mul_i32 s1, s11, 0xc00
	s_sub_co_i32 s7, s20, s28
	s_wait_alu 0xfffe
	s_add_co_i32 s7, s7, s1
	s_mov_b32 s1, exec_lo
	v_add_nc_u32_e32 v7, s7, v0
	s_wait_kmcnt 0x0
	s_sub_co_i32 s0, s0, s28
	s_wait_alu 0xfffe
	s_delay_alu instid0(VALU_DEP_1)
	v_cmpx_gt_i32_e64 s0, v7
	s_cbranch_execz .LBB22_41
; %bb.38:
	v_ashrrev_i32_e32 v8, 31, v7
	s_addk_co_i32 s7, 0xc00
	s_mov_b32 s8, 0
	s_wait_alu 0xfffe
	s_min_i32 s7, s7, s0
	v_lshlrev_b64_e32 v[9:10], 3, v[7:8]
	s_delay_alu instid0(VALU_DEP_1) | instskip(SKIP_1) | instid1(VALU_DEP_2)
	v_add_co_u32 v9, vcc_lo, s16, v9
	s_wait_alu 0xfffd
	v_add_co_ci_u32_e64 v13, null, s17, v10, vcc_lo
	v_lshlrev_b64_e32 v[10:11], 2, v[7:8]
	s_delay_alu instid0(VALU_DEP_3) | instskip(SKIP_1) | instid1(VALU_DEP_3)
	v_add_co_u32 v8, vcc_lo, v9, 4
	s_wait_alu 0xfffd
	v_add_co_ci_u32_e64 v9, null, 0, v13, vcc_lo
	s_delay_alu instid0(VALU_DEP_3)
	v_add_co_u32 v10, vcc_lo, s14, v10
	s_wait_alu 0xfffd
	v_add_co_ci_u32_e64 v11, null, s15, v11, vcc_lo
.LBB22_39:                              ; =>This Inner Loop Header: Depth=1
	global_load_b32 v13, v[10:11], off
	global_load_b64 v[15:16], v[8:9], off offset:-4
	s_wait_loadcnt 0x1
	v_subrev_nc_u32_e32 v13, s28, v13
	s_wait_loadcnt 0x0
	v_cndmask_b32_e64 v16, v16, -v16, s29
	v_add_nc_u32_e32 v7, 0x100, v7
	s_delay_alu instid0(VALU_DEP_3) | instskip(NEXT) | instid1(VALU_DEP_3)
	v_ashrrev_i32_e32 v14, 31, v13
	v_mul_f32_e64 v17, v16, -v4
	v_mul_f32_e32 v16, v3, v16
	s_wait_alu 0xfffe
	v_cmp_le_i32_e64 s0, s7, v7
	v_lshlrev_b64_e32 v[13:14], 3, v[13:14]
	s_or_b32 s8, s0, s8
	s_delay_alu instid0(VALU_DEP_1) | instskip(SKIP_1) | instid1(VALU_DEP_2)
	v_add_co_u32 v13, vcc_lo, s18, v13
	s_wait_alu 0xfffd
	v_add_co_ci_u32_e64 v14, null, s19, v14, vcc_lo
	v_add_co_u32 v8, vcc_lo, 0x800, v8
	s_wait_alu 0xfffd
	v_add_co_ci_u32_e64 v9, null, 0, v9, vcc_lo
	global_load_b64 v[13:14], v[13:14], off
	v_fmac_f32_e32 v16, v4, v15
	v_fmac_f32_e32 v17, v3, v15
	v_add_co_u32 v10, vcc_lo, 0x400, v10
	s_wait_alu 0xfffd
	v_add_co_ci_u32_e64 v11, null, 0, v11, vcc_lo
	s_wait_loadcnt 0x0
	v_fmac_f32_e32 v6, v16, v13
	v_fmac_f32_e32 v5, v17, v13
	s_delay_alu instid0(VALU_DEP_2) | instskip(NEXT) | instid1(VALU_DEP_2)
	v_fmac_f32_e32 v6, v17, v14
	v_fma_f32 v5, -v16, v14, v5
	s_and_not1_b32 exec_lo, exec_lo, s8
	s_cbranch_execnz .LBB22_39
; %bb.40:
	s_or_b32 exec_lo, exec_lo, s8
.LBB22_41:
	s_delay_alu instid0(SALU_CYCLE_1)
	s_or_b32 exec_lo, exec_lo, s1
	v_lshlrev_b32_e32 v7, 3, v0
	s_mov_b32 s0, exec_lo
	ds_store_b64 v7, v[5:6]
	s_wait_storecnt 0x0
	s_wait_loadcnt_dscnt 0x0
	s_barrier_signal -1
	s_barrier_wait -1
	global_inv scope:SCOPE_SE
	v_cmpx_gt_u32_e32 0x80, v0
	s_cbranch_execz .LBB22_43
; %bb.42:
	ds_load_2addr_stride64_b64 v[8:11], v7 offset1:2
	s_wait_dscnt 0x0
	v_dual_add_f32 v5, v10, v8 :: v_dual_add_f32 v6, v11, v9
	ds_store_b64 v7, v[5:6]
.LBB22_43:
	s_wait_alu 0xfffe
	s_or_b32 exec_lo, exec_lo, s0
	s_delay_alu instid0(SALU_CYCLE_1)
	s_mov_b32 s0, exec_lo
	s_wait_loadcnt_dscnt 0x0
	s_barrier_signal -1
	s_barrier_wait -1
	global_inv scope:SCOPE_SE
	v_cmpx_gt_u32_e32 64, v0
	s_cbranch_execz .LBB22_45
; %bb.44:
	ds_load_2addr_stride64_b64 v[8:11], v7 offset1:1
	s_wait_dscnt 0x0
	v_dual_add_f32 v5, v10, v8 :: v_dual_add_f32 v6, v11, v9
	ds_store_b64 v7, v[5:6]
.LBB22_45:
	s_wait_alu 0xfffe
	s_or_b32 exec_lo, exec_lo, s0
	s_delay_alu instid0(SALU_CYCLE_1)
	s_mov_b32 s0, exec_lo
	s_wait_loadcnt_dscnt 0x0
	s_barrier_signal -1
	s_barrier_wait -1
	global_inv scope:SCOPE_SE
	v_cmpx_gt_u32_e32 32, v0
	s_cbranch_execz .LBB22_47
; %bb.46:
	ds_load_2addr_b64 v[8:11], v7 offset1:32
	s_wait_dscnt 0x0
	v_dual_add_f32 v5, v10, v8 :: v_dual_add_f32 v6, v11, v9
	ds_store_b64 v7, v[5:6]
.LBB22_47:
	s_wait_alu 0xfffe
	s_or_b32 exec_lo, exec_lo, s0
	s_delay_alu instid0(SALU_CYCLE_1)
	s_mov_b32 s0, exec_lo
	s_wait_loadcnt_dscnt 0x0
	s_barrier_signal -1
	s_barrier_wait -1
	global_inv scope:SCOPE_SE
	v_cmpx_gt_u32_e32 16, v0
	s_cbranch_execz .LBB22_49
; %bb.48:
	ds_load_2addr_b64 v[8:11], v7 offset1:16
	s_wait_dscnt 0x0
	v_dual_add_f32 v5, v10, v8 :: v_dual_add_f32 v6, v11, v9
	ds_store_b64 v7, v[5:6]
.LBB22_49:
	;; [unrolled: 16-line block ×5, first 2 shown]
	s_wait_alu 0xfffe
	s_or_b32 exec_lo, exec_lo, s0
	v_cmp_eq_u32_e32 vcc_lo, 0, v0
	s_wait_loadcnt_dscnt 0x0
	s_barrier_signal -1
	s_barrier_wait -1
	global_inv scope:SCOPE_SE
	s_and_saveexec_b32 s0, vcc_lo
	s_cbranch_execz .LBB22_57
; %bb.56:
	v_mov_b32_e32 v9, 0
	ds_load_2addr_b64 v[5:8], v9 offset1:1
	s_wait_dscnt 0x0
	v_dual_add_f32 v5, v7, v5 :: v_dual_add_f32 v6, v8, v6
	ds_store_b64 v9, v[5:6]
.LBB22_57:
	s_wait_alu 0xfffe
	s_or_b32 exec_lo, exec_lo, s0
	s_wait_loadcnt_dscnt 0x0
	s_barrier_signal -1
	s_barrier_wait -1
	global_inv scope:SCOPE_SE
	s_and_saveexec_b32 s8, vcc_lo
	s_cbranch_execz .LBB22_68
; %bb.58:
	s_cmp_eq_u32 s11, 0
	s_cbranch_scc1 .LBB22_64
; %bb.59:
	s_ashr_i32 s7, s6, 31
	v_mov_b32_e32 v5, 0
	s_wait_alu 0xfffe
	s_lshl_b64 s[0:1], s[6:7], 2
	s_wait_alu 0xfffe
	s_add_nc_u64 s[0:1], s[4:5], s[0:1]
	s_branch .LBB22_61
.LBB22_60:                              ;   in Loop: Header=BB22_61 Depth=1
	s_wait_alu 0xfffe
	s_or_b32 exec_lo, exec_lo, s4
	s_wait_loadcnt 0x0
	v_readfirstlane_b32 s4, v6
	s_wait_alu 0xf1ff
	s_delay_alu instid0(VALU_DEP_1)
	v_cmp_eq_u32_e32 vcc_lo, s4, v12
	s_cbranch_vccz .LBB22_63
.LBB22_61:                              ; =>This Inner Loop Header: Depth=1
	v_mbcnt_lo_u32_b32 v6, exec_lo, 0
	s_delay_alu instid0(VALU_DEP_1)
	v_cmp_eq_u32_e32 vcc_lo, 0, v6
                                        ; implicit-def: $vgpr6
	s_and_saveexec_b32 s4, vcc_lo
	s_cbranch_execz .LBB22_60
; %bb.62:                               ;   in Loop: Header=BB22_61 Depth=1
	global_load_b32 v6, v5, s[0:1] scope:SCOPE_DEV
	s_branch .LBB22_60
.LBB22_63:
	v_mov_b32_e32 v5, 0
	global_load_u16 v6, v5, s[2:3]
	s_wait_loadcnt 0x0
	v_xor_b32_e32 v6, 1, v6
	global_store_b16 v5, v6, s[2:3]
.LBB22_64:
	v_mov_b32_e32 v7, 0
	s_mov_b32 s2, exec_lo
	s_lshl_b64 s[0:1], s[30:31], 3
	s_wait_alu 0xfffe
	v_mbcnt_lo_u32_b32 v8, s2, 0
	s_add_nc_u64 s[0:1], s[22:23], s[0:1]
	ds_load_b64 v[5:6], v7
	s_mov_b32 s3, exec_lo
	v_cmpx_eq_u32_e32 0, v8
	s_cbranch_execz .LBB22_66
; %bb.65:
	s_bcnt1_i32_b32 s2, s2
	s_wait_alu 0xfffe
	v_cvt_f32_ubyte0_e32 v8, s2
	s_wait_dscnt 0x0
	s_delay_alu instid0(VALU_DEP_1)
	v_mul_f32_e32 v5, v5, v8
	global_atomic_add_f32 v7, v5, s[0:1] scope:SCOPE_DEV
.LBB22_66:
	s_wait_alu 0xfffe
	s_or_b32 exec_lo, exec_lo, s3
	s_delay_alu instid0(SALU_CYCLE_1) | instskip(SKIP_3) | instid1(VALU_DEP_1)
	s_mov_b32 s2, exec_lo
	s_wait_dscnt 0x0
	s_wait_alu 0xfffe
	v_mbcnt_lo_u32_b32 v5, s2, 0
	v_cmp_eq_u32_e32 vcc_lo, 0, v5
	s_and_b32 s3, exec_lo, vcc_lo
	s_wait_alu 0xfffe
	s_mov_b32 exec_lo, s3
	s_cbranch_execz .LBB22_68
; %bb.67:
	s_bcnt1_i32_b32 s2, s2
	s_wait_alu 0xfffe
	v_cvt_f32_ubyte0_e32 v5, s2
	s_delay_alu instid0(VALU_DEP_1)
	v_dual_mul_f32 v5, v6, v5 :: v_dual_mov_b32 v6, 0
	global_atomic_add_f32 v6, v5, s[0:1] offset:4 scope:SCOPE_DEV
.LBB22_68:
	s_or_b32 exec_lo, exec_lo, s8
.LBB22_69:
	s_mov_b32 s2, 0
.LBB22_70:
	s_wait_alu 0xfffe
	s_and_not1_b32 vcc_lo, exec_lo, s2
	s_wait_alu 0xfffe
	s_cbranch_vccnz .LBB22_114
; %bb.71:
	v_subrev_nc_u32_e32 v5, s28, v0
	s_mov_b32 s0, exec_lo
	s_wait_kmcnt 0x0
	s_delay_alu instid0(VALU_DEP_1) | instskip(NEXT) | instid1(VALU_DEP_1)
	v_add_nc_u32_e32 v5, s20, v5
	v_add_nc_u32_e32 v6, 0x300, v5
	s_delay_alu instid0(VALU_DEP_1)
	v_cmpx_le_i32_e64 s21, v6
	s_wait_alu 0xfffe
	s_xor_b32 s0, exec_lo, s0
	s_cbranch_execz .LBB22_76
; %bb.72:
	s_ashr_i32 s3, s25, 31
	s_mov_b32 s2, s25
	s_wait_alu 0xfffe
	s_lshl_b64 s[2:3], s[2:3], 2
	s_wait_alu 0xfffe
	s_add_nc_u64 s[2:3], s[12:13], s[2:3]
	s_load_b32 s1, s[2:3], 0x0
	s_mov_b32 s2, exec_lo
	s_wait_kmcnt 0x0
	s_sub_co_i32 s1, s1, s28
	s_wait_alu 0xfffe
	v_cmpx_gt_i32_e64 s1, v5
	s_cbranch_execz .LBB22_75
; %bb.73:
	v_lshlrev_b32_e32 v7, 3, v0
	s_mov_b32 s3, 0
.LBB22_74:                              ; =>This Inner Loop Header: Depth=1
	v_ashrrev_i32_e32 v6, 31, v5
	s_delay_alu instid0(VALU_DEP_1) | instskip(NEXT) | instid1(VALU_DEP_1)
	v_lshlrev_b64_e32 v[8:9], 2, v[5:6]
	v_add_co_u32 v8, vcc_lo, s14, v8
	s_wait_alu 0xfffd
	s_delay_alu instid0(VALU_DEP_2) | instskip(SKIP_3) | instid1(VALU_DEP_2)
	v_add_co_ci_u32_e64 v9, null, s15, v9, vcc_lo
	global_load_b32 v10, v[8:9], off
	v_lshlrev_b64_e32 v[8:9], 3, v[5:6]
	v_add_nc_u32_e32 v5, 0x100, v5
	v_add_co_u32 v8, vcc_lo, s16, v8
	s_wait_alu 0xfffd
	s_delay_alu instid0(VALU_DEP_3) | instskip(SKIP_3) | instid1(VALU_DEP_1)
	v_add_co_ci_u32_e64 v9, null, s17, v9, vcc_lo
	global_load_b64 v[8:9], v[8:9], off
	s_wait_loadcnt 0x1
	v_subrev_nc_u32_e32 v10, s28, v10
	v_ashrrev_i32_e32 v11, 31, v10
	s_delay_alu instid0(VALU_DEP_1) | instskip(SKIP_2) | instid1(VALU_DEP_2)
	v_lshlrev_b64_e32 v[10:11], 3, v[10:11]
	s_wait_loadcnt 0x0
	v_cndmask_b32_e64 v6, v9, -v9, s29
	v_add_co_u32 v10, vcc_lo, s18, v10
	s_wait_alu 0xfffd
	s_delay_alu instid0(VALU_DEP_3) | instskip(NEXT) | instid1(VALU_DEP_3)
	v_add_co_ci_u32_e64 v11, null, s19, v11, vcc_lo
	v_mul_f32_e32 v12, v3, v6
	v_mul_f32_e64 v6, v6, -v4
	v_cmp_le_i32_e32 vcc_lo, s1, v5
	global_load_b64 v[10:11], v[10:11], off
	v_fmac_f32_e32 v6, v3, v8
	v_fmac_f32_e32 v12, v4, v8
	s_wait_alu 0xfffe
	s_or_b32 s3, vcc_lo, s3
	s_wait_loadcnt 0x0
	v_mul_f32_e32 v9, v11, v6
	v_mul_f32_e64 v8, v11, -v12
	s_delay_alu instid0(VALU_DEP_2) | instskip(NEXT) | instid1(VALU_DEP_2)
	v_fmac_f32_e32 v9, v12, v10
	v_fmac_f32_e32 v8, v6, v10
	ds_store_b64 v7, v[8:9]
	v_add_nc_u32_e32 v7, 0x800, v7
	s_wait_alu 0xfffe
	s_and_not1_b32 exec_lo, exec_lo, s3
	s_cbranch_execnz .LBB22_74
.LBB22_75:
	s_or_b32 exec_lo, exec_lo, s2
                                        ; implicit-def: $vgpr5
                                        ; implicit-def: $vgpr3_vgpr4
.LBB22_76:
	s_wait_alu 0xfffe
	s_or_saveexec_b32 s0, s0
	v_lshlrev_b32_e32 v9, 3, v0
	s_wait_alu 0xfffe
	s_xor_b32 exec_lo, exec_lo, s0
	s_cbranch_execz .LBB22_78
; %bb.77:
	v_ashrrev_i32_e32 v6, 31, v5
	s_delay_alu instid0(VALU_DEP_1) | instskip(SKIP_1) | instid1(VALU_DEP_2)
	v_lshlrev_b64_e32 v[7:8], 2, v[5:6]
	v_lshlrev_b64_e32 v[5:6], 3, v[5:6]
	v_add_co_u32 v7, vcc_lo, s14, v7
	s_wait_alu 0xfffd
	s_delay_alu instid0(VALU_DEP_3) | instskip(NEXT) | instid1(VALU_DEP_3)
	v_add_co_ci_u32_e64 v8, null, s15, v8, vcc_lo
	v_add_co_u32 v5, vcc_lo, s16, v5
	s_wait_alu 0xfffd
	v_add_co_ci_u32_e64 v6, null, s17, v6, vcc_lo
	s_clause 0x3
	global_load_b32 v10, v[7:8], off
	global_load_b32 v11, v[7:8], off offset:1024
	global_load_b32 v12, v[7:8], off offset:2048
	;; [unrolled: 1-line block ×3, first 2 shown]
	s_clause 0x3
	global_load_b64 v[16:17], v[5:6], off
	global_load_b64 v[18:19], v[5:6], off offset:2048
	global_load_b64 v[20:21], v[5:6], off offset:4096
	;; [unrolled: 1-line block ×3, first 2 shown]
	s_wait_loadcnt 0x7
	v_subrev_nc_u32_e32 v7, s28, v10
	s_wait_loadcnt 0x6
	v_subrev_nc_u32_e32 v10, s28, v11
	;; [unrolled: 2-line block ×4, first 2 shown]
	s_wait_loadcnt 0x3
	v_cndmask_b32_e64 v17, v17, -v17, s29
	v_ashrrev_i32_e32 v8, 31, v7
	v_ashrrev_i32_e32 v11, 31, v10
	;; [unrolled: 1-line block ×4, first 2 shown]
	s_wait_loadcnt 0x2
	v_cndmask_b32_e64 v19, v19, -v19, s29
	v_lshlrev_b64_e32 v[7:8], 3, v[7:8]
	v_lshlrev_b64_e32 v[10:11], 3, v[10:11]
	;; [unrolled: 1-line block ×4, first 2 shown]
	v_mul_f32_e64 v22, v17, -v4
	s_wait_loadcnt 0x1
	v_cndmask_b32_e64 v21, v21, -v21, s29
	v_add_co_u32 v7, vcc_lo, s18, v7
	s_wait_alu 0xfffd
	v_add_co_ci_u32_e64 v8, null, s19, v8, vcc_lo
	v_add_co_u32 v10, vcc_lo, s18, v10
	s_wait_alu 0xfffd
	v_add_co_ci_u32_e64 v11, null, s19, v11, vcc_lo
	;; [unrolled: 3-line block ×4, first 2 shown]
	s_clause 0x3
	global_load_b64 v[7:8], v[7:8], off
	global_load_b64 v[10:11], v[10:11], off
	;; [unrolled: 1-line block ×4, first 2 shown]
	s_wait_loadcnt 0x4
	v_cndmask_b32_e64 v6, v6, -v6, s29
	v_mul_f32_e64 v24, v19, -v4
	v_fmac_f32_e32 v22, v3, v16
	v_mul_f32_e32 v23, v3, v17
	v_mul_f32_e64 v26, v21, -v4
	v_mul_f32_e32 v28, v3, v6
	v_fmac_f32_e32 v24, v3, v18
	v_mul_f32_e64 v27, v6, -v4
	v_fmac_f32_e32 v23, v4, v16
	s_delay_alu instid0(VALU_DEP_4) | instskip(NEXT) | instid1(VALU_DEP_1)
	v_dual_mul_f32 v25, v3, v19 :: v_dual_fmac_f32 v28, v4, v5
	v_dual_fmac_f32 v25, v4, v18 :: v_dual_fmac_f32 v26, v3, v20
	s_wait_loadcnt 0x2
	v_mul_f32_e32 v6, v11, v24
	v_mul_f32_e32 v21, v3, v21
	s_wait_loadcnt 0x0
	v_mul_f32_e64 v18, v15, -v28
	s_delay_alu instid0(VALU_DEP_2) | instskip(SKIP_1) | instid1(VALU_DEP_2)
	v_dual_fmac_f32 v6, v25, v10 :: v_dual_fmac_f32 v21, v4, v20
	v_mul_f32_e32 v4, v8, v22
	v_mul_f32_e64 v16, v13, -v21
	v_fmac_f32_e32 v27, v3, v5
	v_mul_f32_e64 v3, v8, -v23
	v_mul_f32_e64 v5, v11, -v25
	v_fmac_f32_e32 v4, v23, v7
	s_delay_alu instid0(VALU_DEP_3) | instskip(SKIP_3) | instid1(VALU_DEP_3)
	v_fmac_f32_e32 v3, v22, v7
	v_dual_mul_f32 v17, v13, v26 :: v_dual_fmac_f32 v16, v26, v12
	v_mul_f32_e32 v19, v15, v27
	v_fmac_f32_e32 v5, v24, v10
	v_dual_fmac_f32 v18, v27, v14 :: v_dual_fmac_f32 v17, v21, v12
	s_delay_alu instid0(VALU_DEP_3)
	v_fmac_f32_e32 v19, v28, v14
	ds_store_2addr_stride64_b64 v9, v[3:4], v[5:6] offset1:4
	ds_store_2addr_stride64_b64 v9, v[16:17], v[18:19] offset0:8 offset1:12
.LBB22_78:
	s_or_b32 exec_lo, exec_lo, s0
	s_cmp_lt_i32 s11, 2
	s_mov_b32 s0, -1
	s_wait_storecnt 0x0
	s_wait_loadcnt_dscnt 0x0
	s_barrier_signal -1
	s_barrier_wait -1
	global_inv scope:SCOPE_SE
	s_cbranch_scc0 .LBB22_89
; %bb.79:
	v_add_nc_u32_e32 v3, s24, v0
	s_mov_b32 s1, exec_lo
	s_delay_alu instid0(VALU_DEP_1)
	v_cmpx_gt_i32_e64 s25, v3
	s_cbranch_execz .LBB22_88
; %bb.80:
	v_cmp_neq_f32_e32 vcc_lo, 0, v1
	v_cmp_neq_f32_e64 s0, 0, v2
	s_lshl_b32 s4, s20, 3
	s_mov_b32 s2, 0
	s_wait_alu 0xfffe
	s_sub_co_i32 s4, 0, s4
	s_or_b32 s3, vcc_lo, s0
	s_branch .LBB22_82
.LBB22_81:                              ;   in Loop: Header=BB22_82 Depth=1
	s_wait_alu 0xfffe
	s_or_b32 exec_lo, exec_lo, s0
	v_add_nc_u32_e32 v3, 0x100, v3
	v_add_co_u32 v7, s0, s22, v7
	s_wait_alu 0xf1ff
	v_add_co_ci_u32_e64 v8, null, s23, v8, s0
	s_delay_alu instid0(VALU_DEP_3)
	v_cmp_le_i32_e32 vcc_lo, s25, v3
	global_store_b64 v[7:8], v[5:6], off
	s_or_b32 s2, vcc_lo, s2
	s_wait_alu 0xfffe
	s_and_not1_b32 exec_lo, exec_lo, s2
	s_cbranch_execz .LBB22_88
.LBB22_82:                              ; =>This Loop Header: Depth=1
                                        ;     Child Loop BB22_84 Depth 2
	v_ashrrev_i32_e32 v4, 31, v3
	s_mov_b32 s0, exec_lo
	s_delay_alu instid0(VALU_DEP_1) | instskip(NEXT) | instid1(VALU_DEP_1)
	v_lshlrev_b64_e32 v[5:6], 2, v[3:4]
	v_add_co_u32 v5, vcc_lo, s12, v5
	s_wait_alu 0xfffd
	s_delay_alu instid0(VALU_DEP_2)
	v_add_co_ci_u32_e64 v6, null, s13, v6, vcc_lo
	global_load_b64 v[7:8], v[5:6], off
	v_dual_mov_b32 v6, 0 :: v_dual_mov_b32 v5, 0
	s_wait_loadcnt 0x0
	v_cmpx_lt_i32_e64 v7, v8
	s_cbranch_execz .LBB22_86
; %bb.83:                               ;   in Loop: Header=BB22_82 Depth=1
	v_mov_b32_e32 v6, 0
	v_subrev_nc_u32_e32 v8, s20, v8
	v_subrev_nc_u32_e32 v10, s20, v7
	s_wait_alu 0xfffe
	v_lshl_add_u32 v7, v7, 3, s4
	s_mov_b32 s5, 0
	v_mov_b32_e32 v5, v6
.LBB22_84:                              ;   Parent Loop BB22_82 Depth=1
                                        ; =>  This Inner Loop Header: Depth=2
	ds_load_b64 v[11:12], v7
	v_add_nc_u32_e32 v10, 1, v10
	s_wait_dscnt 0x0
	v_dual_add_f32 v6, v6, v12 :: v_dual_add_nc_u32 v7, 8, v7
	v_add_f32_e32 v5, v5, v11
	s_delay_alu instid0(VALU_DEP_3)
	v_cmp_ge_i32_e32 vcc_lo, v10, v8
	s_wait_alu 0xfffe
	s_or_b32 s5, vcc_lo, s5
	s_wait_alu 0xfffe
	s_and_not1_b32 exec_lo, exec_lo, s5
	s_cbranch_execnz .LBB22_84
; %bb.85:                               ;   in Loop: Header=BB22_82 Depth=1
	s_or_b32 exec_lo, exec_lo, s5
.LBB22_86:                              ;   in Loop: Header=BB22_82 Depth=1
	s_wait_alu 0xfffe
	s_or_b32 exec_lo, exec_lo, s0
	v_lshlrev_b64_e32 v[7:8], 3, v[3:4]
	s_and_saveexec_b32 s0, s3
	s_cbranch_execz .LBB22_81
; %bb.87:                               ;   in Loop: Header=BB22_82 Depth=1
	s_delay_alu instid0(VALU_DEP_1) | instskip(SKIP_1) | instid1(VALU_DEP_2)
	v_add_co_u32 v10, vcc_lo, s22, v7
	s_wait_alu 0xfffd
	v_add_co_ci_u32_e64 v11, null, s23, v8, vcc_lo
	global_load_b64 v[10:11], v[10:11], off
	s_wait_loadcnt 0x0
	v_fmac_f32_e32 v5, v1, v10
	v_fmac_f32_e32 v6, v2, v10
	s_delay_alu instid0(VALU_DEP_2) | instskip(NEXT) | instid1(VALU_DEP_2)
	v_fma_f32 v5, -v2, v11, v5
	v_fmac_f32_e32 v6, v1, v11
	s_branch .LBB22_81
.LBB22_88:
	s_wait_alu 0xfffe
	s_or_b32 exec_lo, exec_lo, s1
	s_mov_b32 s0, 0
.LBB22_89:
	s_wait_alu 0xfffe
	s_and_not1_b32 vcc_lo, exec_lo, s0
	s_wait_alu 0xfffe
	s_cbranch_vccnz .LBB22_114
; %bb.90:
	s_clz_i32_u32 s0, s11
	s_mov_b32 s1, exec_lo
	s_wait_alu 0xfffe
	s_xor_b32 s0, s0, 31
	v_mov_b32_e32 v4, 0
	s_wait_alu 0xfffe
	v_lshrrev_b32_e32 v6, s0, v0
	s_add_co_i32 s0, s11, -1
	s_wait_alu 0xfffe
	v_dual_mov_b32 v5, v4 :: v_dual_and_b32 v0, s0, v0
	s_delay_alu instid0(VALU_DEP_2) | instskip(NEXT) | instid1(VALU_DEP_1)
	v_add_nc_u32_e32 v3, s24, v6
	v_cmp_le_i32_e32 vcc_lo, s25, v3
	v_cmpx_gt_i32_e64 s25, v3
	s_cbranch_execz .LBB22_96
; %bb.91:
	v_lshlrev_b32_e32 v4, 2, v6
	v_subrev_nc_u32_e32 v7, s20, v0
	s_mov_b32 s2, exec_lo
	global_load_b64 v[4:5], v4, s[26:27]
	s_wait_loadcnt 0x0
	v_subrev_nc_u32_e32 v6, s20, v5
	v_dual_mov_b32 v4, 0 :: v_dual_add_nc_u32 v7, v4, v7
	v_mov_b32_e32 v5, 0
	s_delay_alu instid0(VALU_DEP_2)
	v_cmpx_lt_i32_e64 v7, v6
	s_cbranch_execz .LBB22_95
; %bb.92:
	v_dual_mov_b32 v5, 0 :: v_dual_lshlrev_b32 v8, 3, v7
	s_lshl_b32 s4, s11, 3
	s_mov_b32 s3, 0
	s_delay_alu instid0(VALU_DEP_1)
	v_mov_b32_e32 v4, v5
.LBB22_93:                              ; =>This Inner Loop Header: Depth=1
	ds_load_b64 v[10:11], v8
	v_add_nc_u32_e32 v7, s11, v7
	s_wait_dscnt 0x0
	s_wait_alu 0xfffe
	v_dual_add_f32 v5, v5, v11 :: v_dual_add_nc_u32 v8, s4, v8
	v_add_f32_e32 v4, v4, v10
	v_cmp_ge_i32_e64 s0, v7, v6
	s_or_b32 s3, s0, s3
	s_wait_alu 0xfffe
	s_and_not1_b32 exec_lo, exec_lo, s3
	s_cbranch_execnz .LBB22_93
; %bb.94:
	s_or_b32 exec_lo, exec_lo, s3
.LBB22_95:
	s_wait_alu 0xfffe
	s_or_b32 exec_lo, exec_lo, s2
.LBB22_96:
	s_delay_alu instid0(SALU_CYCLE_1)
	s_or_b32 exec_lo, exec_lo, s1
	s_cmp_lt_u32 s11, 0x81
	s_wait_loadcnt 0x0
	s_wait_storecnt 0x0
	s_barrier_signal -1
	s_barrier_wait -1
	global_inv scope:SCOPE_SE
	ds_store_b64 v9, v[4:5]
	s_wait_loadcnt_dscnt 0x0
	s_barrier_signal -1
	s_barrier_wait -1
	global_inv scope:SCOPE_SE
	s_cbranch_scc1 .LBB22_98
; %bb.97:
	ds_load_b64 v[6:7], v9 offset:1024
	s_wait_loadcnt_dscnt 0x0
	s_barrier_signal -1
	s_barrier_wait -1
	global_inv scope:SCOPE_SE
	v_dual_add_f32 v4, v4, v6 :: v_dual_add_f32 v5, v5, v7
	ds_store_b64 v9, v[4:5]
.LBB22_98:
	s_cmp_lt_u32 s11, 0x41
	s_wait_loadcnt_dscnt 0x0
	s_barrier_signal -1
	s_barrier_wait -1
	global_inv scope:SCOPE_SE
	s_cbranch_scc1 .LBB22_100
; %bb.99:
	ds_load_b64 v[6:7], v9 offset:512
	s_wait_loadcnt_dscnt 0x0
	s_barrier_signal -1
	s_barrier_wait -1
	global_inv scope:SCOPE_SE
	v_dual_add_f32 v4, v4, v6 :: v_dual_add_f32 v5, v5, v7
	ds_store_b64 v9, v[4:5]
.LBB22_100:
	s_cmp_lt_u32 s11, 33
	s_wait_loadcnt_dscnt 0x0
	s_barrier_signal -1
	s_barrier_wait -1
	global_inv scope:SCOPE_SE
	s_cbranch_scc1 .LBB22_102
; %bb.101:
	ds_load_b64 v[6:7], v9 offset:256
	s_wait_loadcnt_dscnt 0x0
	s_barrier_signal -1
	s_barrier_wait -1
	global_inv scope:SCOPE_SE
	v_dual_add_f32 v4, v4, v6 :: v_dual_add_f32 v5, v5, v7
	ds_store_b64 v9, v[4:5]
.LBB22_102:
	s_cmp_lt_u32 s11, 17
	s_wait_loadcnt_dscnt 0x0
	s_barrier_signal -1
	s_barrier_wait -1
	global_inv scope:SCOPE_SE
	s_cbranch_scc1 .LBB22_104
; %bb.103:
	ds_load_b64 v[6:7], v9 offset:128
	s_wait_loadcnt_dscnt 0x0
	s_barrier_signal -1
	s_barrier_wait -1
	global_inv scope:SCOPE_SE
	v_dual_add_f32 v4, v4, v6 :: v_dual_add_f32 v5, v5, v7
	ds_store_b64 v9, v[4:5]
.LBB22_104:
	s_cmp_lt_u32 s11, 9
	s_wait_loadcnt_dscnt 0x0
	s_barrier_signal -1
	s_barrier_wait -1
	global_inv scope:SCOPE_SE
	s_cbranch_scc1 .LBB22_106
; %bb.105:
	ds_load_b64 v[6:7], v9 offset:64
	s_wait_loadcnt_dscnt 0x0
	s_barrier_signal -1
	s_barrier_wait -1
	global_inv scope:SCOPE_SE
	v_dual_add_f32 v4, v4, v6 :: v_dual_add_f32 v5, v5, v7
	ds_store_b64 v9, v[4:5]
.LBB22_106:
	s_cmp_lt_u32 s11, 5
	s_wait_loadcnt_dscnt 0x0
	s_barrier_signal -1
	s_barrier_wait -1
	global_inv scope:SCOPE_SE
	s_cbranch_scc1 .LBB22_108
; %bb.107:
	ds_load_b64 v[6:7], v9 offset:32
	s_wait_loadcnt_dscnt 0x0
	s_barrier_signal -1
	s_barrier_wait -1
	global_inv scope:SCOPE_SE
	v_dual_add_f32 v4, v4, v6 :: v_dual_add_f32 v5, v5, v7
	ds_store_b64 v9, v[4:5]
.LBB22_108:
	s_cmp_eq_u32 s11, 2
	s_wait_loadcnt_dscnt 0x0
	s_barrier_signal -1
	s_barrier_wait -1
	global_inv scope:SCOPE_SE
	s_cbranch_scc1 .LBB22_110
; %bb.109:
	ds_load_b64 v[6:7], v9 offset:16
	s_wait_loadcnt_dscnt 0x0
	s_barrier_signal -1
	s_barrier_wait -1
	global_inv scope:SCOPE_SE
	v_dual_add_f32 v4, v4, v6 :: v_dual_add_f32 v5, v5, v7
	ds_store_b64 v9, v[4:5]
.LBB22_110:
	s_wait_loadcnt_dscnt 0x0
	s_barrier_signal -1
	s_barrier_wait -1
	global_inv scope:SCOPE_SE
	ds_load_b64 v[6:7], v9 offset:8
	v_cmp_eq_u32_e64 s0, 0, v0
	s_xor_b32 s1, vcc_lo, -1
	s_wait_loadcnt_dscnt 0x0
	s_barrier_signal -1
	s_barrier_wait -1
	s_wait_alu 0xfffe
	s_and_b32 s0, s0, s1
	global_inv scope:SCOPE_SE
	v_dual_add_f32 v6, v4, v6 :: v_dual_add_f32 v7, v5, v7
	ds_store_b64 v9, v[6:7]
	s_wait_alu 0xfffe
	s_and_b32 exec_lo, exec_lo, s0
	s_cbranch_execz .LBB22_114
; %bb.111:
	v_ashrrev_i32_e32 v4, 31, v3
	v_cmp_neq_f32_e32 vcc_lo, 0, v1
	v_cmp_neq_f32_e64 s0, 0, v2
	s_delay_alu instid0(VALU_DEP_3)
	v_lshlrev_b64_e32 v[3:4], 3, v[3:4]
	s_or_b32 s1, vcc_lo, s0
	s_wait_alu 0xfffe
	s_and_saveexec_b32 s0, s1
	s_cbranch_execz .LBB22_113
; %bb.112:
	s_delay_alu instid0(VALU_DEP_1)
	v_add_co_u32 v8, vcc_lo, s22, v3
	s_wait_alu 0xfffd
	v_add_co_ci_u32_e64 v9, null, s23, v4, vcc_lo
	global_load_b64 v[8:9], v[8:9], off
	s_wait_loadcnt 0x0
	v_fmac_f32_e32 v6, v1, v8
	v_fmac_f32_e32 v7, v2, v8
	s_delay_alu instid0(VALU_DEP_2) | instskip(NEXT) | instid1(VALU_DEP_2)
	v_fma_f32 v6, -v2, v9, v6
	v_fmac_f32_e32 v7, v1, v9
.LBB22_113:
	s_wait_alu 0xfffe
	s_or_b32 exec_lo, exec_lo, s0
	v_add_co_u32 v0, vcc_lo, s22, v3
	s_wait_alu 0xfffd
	v_add_co_ci_u32_e64 v1, null, s23, v4, vcc_lo
	global_store_b64 v[0:1], v[6:7], off
.LBB22_114:
	s_endpgm
	.section	.rodata,"a",@progbits
	.p2align	6, 0x0
	.amdhsa_kernel _ZN9rocsparseL22csrmvn_adaptive_kernelIii21rocsparse_complex_numIfES2_S2_S2_EEvbT_PKS3_PjPKT0_NS_24const_host_device_scalarIT4_EES5_S9_PKT1_PKT2_SC_PT3_21rocsparse_index_base_b
		.amdhsa_group_segment_fixed_size 8192
		.amdhsa_private_segment_fixed_size 0
		.amdhsa_kernarg_size 96
		.amdhsa_user_sgpr_count 2
		.amdhsa_user_sgpr_dispatch_ptr 0
		.amdhsa_user_sgpr_queue_ptr 0
		.amdhsa_user_sgpr_kernarg_segment_ptr 1
		.amdhsa_user_sgpr_dispatch_id 0
		.amdhsa_user_sgpr_private_segment_size 0
		.amdhsa_wavefront_size32 1
		.amdhsa_uses_dynamic_stack 0
		.amdhsa_enable_private_segment 0
		.amdhsa_system_sgpr_workgroup_id_x 1
		.amdhsa_system_sgpr_workgroup_id_y 0
		.amdhsa_system_sgpr_workgroup_id_z 0
		.amdhsa_system_sgpr_workgroup_info 0
		.amdhsa_system_vgpr_workitem_id 0
		.amdhsa_next_free_vgpr 29
		.amdhsa_next_free_sgpr 44
		.amdhsa_reserve_vcc 1
		.amdhsa_float_round_mode_32 0
		.amdhsa_float_round_mode_16_64 0
		.amdhsa_float_denorm_mode_32 3
		.amdhsa_float_denorm_mode_16_64 3
		.amdhsa_fp16_overflow 0
		.amdhsa_workgroup_processor_mode 1
		.amdhsa_memory_ordered 1
		.amdhsa_forward_progress 1
		.amdhsa_inst_pref_size 45
		.amdhsa_round_robin_scheduling 0
		.amdhsa_exception_fp_ieee_invalid_op 0
		.amdhsa_exception_fp_denorm_src 0
		.amdhsa_exception_fp_ieee_div_zero 0
		.amdhsa_exception_fp_ieee_overflow 0
		.amdhsa_exception_fp_ieee_underflow 0
		.amdhsa_exception_fp_ieee_inexact 0
		.amdhsa_exception_int_div_zero 0
	.end_amdhsa_kernel
	.section	.text._ZN9rocsparseL22csrmvn_adaptive_kernelIii21rocsparse_complex_numIfES2_S2_S2_EEvbT_PKS3_PjPKT0_NS_24const_host_device_scalarIT4_EES5_S9_PKT1_PKT2_SC_PT3_21rocsparse_index_base_b,"axG",@progbits,_ZN9rocsparseL22csrmvn_adaptive_kernelIii21rocsparse_complex_numIfES2_S2_S2_EEvbT_PKS3_PjPKT0_NS_24const_host_device_scalarIT4_EES5_S9_PKT1_PKT2_SC_PT3_21rocsparse_index_base_b,comdat
.Lfunc_end22:
	.size	_ZN9rocsparseL22csrmvn_adaptive_kernelIii21rocsparse_complex_numIfES2_S2_S2_EEvbT_PKS3_PjPKT0_NS_24const_host_device_scalarIT4_EES5_S9_PKT1_PKT2_SC_PT3_21rocsparse_index_base_b, .Lfunc_end22-_ZN9rocsparseL22csrmvn_adaptive_kernelIii21rocsparse_complex_numIfES2_S2_S2_EEvbT_PKS3_PjPKT0_NS_24const_host_device_scalarIT4_EES5_S9_PKT1_PKT2_SC_PT3_21rocsparse_index_base_b
                                        ; -- End function
	.set _ZN9rocsparseL22csrmvn_adaptive_kernelIii21rocsparse_complex_numIfES2_S2_S2_EEvbT_PKS3_PjPKT0_NS_24const_host_device_scalarIT4_EES5_S9_PKT1_PKT2_SC_PT3_21rocsparse_index_base_b.num_vgpr, 29
	.set _ZN9rocsparseL22csrmvn_adaptive_kernelIii21rocsparse_complex_numIfES2_S2_S2_EEvbT_PKS3_PjPKT0_NS_24const_host_device_scalarIT4_EES5_S9_PKT1_PKT2_SC_PT3_21rocsparse_index_base_b.num_agpr, 0
	.set _ZN9rocsparseL22csrmvn_adaptive_kernelIii21rocsparse_complex_numIfES2_S2_S2_EEvbT_PKS3_PjPKT0_NS_24const_host_device_scalarIT4_EES5_S9_PKT1_PKT2_SC_PT3_21rocsparse_index_base_b.numbered_sgpr, 44
	.set _ZN9rocsparseL22csrmvn_adaptive_kernelIii21rocsparse_complex_numIfES2_S2_S2_EEvbT_PKS3_PjPKT0_NS_24const_host_device_scalarIT4_EES5_S9_PKT1_PKT2_SC_PT3_21rocsparse_index_base_b.num_named_barrier, 0
	.set _ZN9rocsparseL22csrmvn_adaptive_kernelIii21rocsparse_complex_numIfES2_S2_S2_EEvbT_PKS3_PjPKT0_NS_24const_host_device_scalarIT4_EES5_S9_PKT1_PKT2_SC_PT3_21rocsparse_index_base_b.private_seg_size, 0
	.set _ZN9rocsparseL22csrmvn_adaptive_kernelIii21rocsparse_complex_numIfES2_S2_S2_EEvbT_PKS3_PjPKT0_NS_24const_host_device_scalarIT4_EES5_S9_PKT1_PKT2_SC_PT3_21rocsparse_index_base_b.uses_vcc, 1
	.set _ZN9rocsparseL22csrmvn_adaptive_kernelIii21rocsparse_complex_numIfES2_S2_S2_EEvbT_PKS3_PjPKT0_NS_24const_host_device_scalarIT4_EES5_S9_PKT1_PKT2_SC_PT3_21rocsparse_index_base_b.uses_flat_scratch, 0
	.set _ZN9rocsparseL22csrmvn_adaptive_kernelIii21rocsparse_complex_numIfES2_S2_S2_EEvbT_PKS3_PjPKT0_NS_24const_host_device_scalarIT4_EES5_S9_PKT1_PKT2_SC_PT3_21rocsparse_index_base_b.has_dyn_sized_stack, 0
	.set _ZN9rocsparseL22csrmvn_adaptive_kernelIii21rocsparse_complex_numIfES2_S2_S2_EEvbT_PKS3_PjPKT0_NS_24const_host_device_scalarIT4_EES5_S9_PKT1_PKT2_SC_PT3_21rocsparse_index_base_b.has_recursion, 0
	.set _ZN9rocsparseL22csrmvn_adaptive_kernelIii21rocsparse_complex_numIfES2_S2_S2_EEvbT_PKS3_PjPKT0_NS_24const_host_device_scalarIT4_EES5_S9_PKT1_PKT2_SC_PT3_21rocsparse_index_base_b.has_indirect_call, 0
	.section	.AMDGPU.csdata,"",@progbits
; Kernel info:
; codeLenInByte = 5720
; TotalNumSgprs: 46
; NumVgprs: 29
; ScratchSize: 0
; MemoryBound: 0
; FloatMode: 240
; IeeeMode: 1
; LDSByteSize: 8192 bytes/workgroup (compile time only)
; SGPRBlocks: 0
; VGPRBlocks: 3
; NumSGPRsForWavesPerEU: 46
; NumVGPRsForWavesPerEU: 29
; Occupancy: 16
; WaveLimiterHint : 1
; COMPUTE_PGM_RSRC2:SCRATCH_EN: 0
; COMPUTE_PGM_RSRC2:USER_SGPR: 2
; COMPUTE_PGM_RSRC2:TRAP_HANDLER: 0
; COMPUTE_PGM_RSRC2:TGID_X_EN: 1
; COMPUTE_PGM_RSRC2:TGID_Y_EN: 0
; COMPUTE_PGM_RSRC2:TGID_Z_EN: 0
; COMPUTE_PGM_RSRC2:TIDIG_COMP_CNT: 0
	.section	.text._ZN9rocsparseL22partial_scale_y_kernelIi21rocsparse_complex_numIfES2_EEvT_S3_S3_NS_24const_host_device_scalarIT1_EEPT0_b,"axG",@progbits,_ZN9rocsparseL22partial_scale_y_kernelIi21rocsparse_complex_numIfES2_EEvT_S3_S3_NS_24const_host_device_scalarIT1_EEPT0_b,comdat
	.globl	_ZN9rocsparseL22partial_scale_y_kernelIi21rocsparse_complex_numIfES2_EEvT_S3_S3_NS_24const_host_device_scalarIT1_EEPT0_b ; -- Begin function _ZN9rocsparseL22partial_scale_y_kernelIi21rocsparse_complex_numIfES2_EEvT_S3_S3_NS_24const_host_device_scalarIT1_EEPT0_b
	.p2align	8
	.type	_ZN9rocsparseL22partial_scale_y_kernelIi21rocsparse_complex_numIfES2_EEvT_S3_S3_NS_24const_host_device_scalarIT1_EEPT0_b,@function
_ZN9rocsparseL22partial_scale_y_kernelIi21rocsparse_complex_numIfES2_EEvT_S3_S3_NS_24const_host_device_scalarIT1_EEPT0_b: ; @_ZN9rocsparseL22partial_scale_y_kernelIi21rocsparse_complex_numIfES2_EEvT_S3_S3_NS_24const_host_device_scalarIT1_EEPT0_b
; %bb.0:
	s_clause 0x1
	s_load_b32 s6, s[0:1], 0x20
	s_load_b64 s[2:3], s[0:1], 0x10
	s_add_nc_u64 s[4:5], s[0:1], 16
	s_wait_kmcnt 0x0
	s_bitcmp1_b32 s6, 0
	s_cselect_b32 s2, s4, s2
	s_cselect_b32 s3, s5, s3
	s_delay_alu instid0(SALU_CYCLE_1)
	v_dual_mov_b32 v1, s2 :: v_dual_mov_b32 v2, s3
	flat_load_b64 v[1:2], v[1:2]
	s_wait_loadcnt_dscnt 0x0
	v_cmp_neq_f32_e32 vcc_lo, 1.0, v1
	v_cmp_neq_f32_e64 s2, 0, v2
	s_or_b32 s2, vcc_lo, s2
	s_wait_alu 0xfffe
	s_and_saveexec_b32 s3, s2
	s_cbranch_execz .LBB23_13
; %bb.1:
	s_load_b96 s[4:6], s[0:1], 0x0
	v_lshl_or_b32 v3, ttmp9, 8, v0
	s_wait_kmcnt 0x0
	s_add_co_i32 s2, s5, s4
	s_wait_alu 0xfffe
	s_sub_co_i32 s2, s2, s6
	s_wait_alu 0xfffe
	v_cmp_gt_i32_e32 vcc_lo, s2, v3
	s_and_b32 exec_lo, exec_lo, vcc_lo
	s_cbranch_execz .LBB23_13
; %bb.2:
	s_load_b64 s[2:3], s[0:1], 0x18
	v_cmp_neq_f32_e32 vcc_lo, 0, v1
	v_cmp_neq_f32_e64 s0, 0, v2
	v_cmp_le_i32_e64 s1, s5, v3
	s_or_b32 s0, vcc_lo, s0
	s_and_saveexec_b32 s4, s1
	s_wait_alu 0xfffe
	s_xor_b32 s1, exec_lo, s4
	s_cbranch_execz .LBB23_8
; %bb.3:
	v_subrev_nc_u32_e32 v0, s5, v3
	s_delay_alu instid0(VALU_DEP_1) | instskip(NEXT) | instid1(VALU_DEP_1)
	v_add_nc_u32_e32 v3, s6, v0
	v_ashrrev_i32_e32 v4, 31, v3
	s_delay_alu instid0(VALU_DEP_1) | instskip(SKIP_1) | instid1(VALU_DEP_1)
	v_lshlrev_b64_e32 v[3:4], 3, v[3:4]
	s_wait_kmcnt 0x0
	v_add_co_u32 v3, vcc_lo, s2, v3
	s_delay_alu instid0(VALU_DEP_1)
	v_add_co_ci_u32_e64 v4, null, s3, v4, vcc_lo
	s_and_saveexec_b32 s4, s0
	s_wait_alu 0xfffe
	s_xor_b32 s4, exec_lo, s4
	s_cbranch_execz .LBB23_5
; %bb.4:
	global_load_b64 v[5:6], v[3:4], off
	s_wait_loadcnt 0x0
	v_mul_f32_e64 v7, v2, -v6
	v_mul_f32_e32 v8, v2, v5
	s_delay_alu instid0(VALU_DEP_2) | instskip(NEXT) | instid1(VALU_DEP_2)
	v_fmac_f32_e32 v7, v5, v1
	v_fmac_f32_e32 v8, v6, v1
	global_store_b64 v[3:4], v[7:8], off
                                        ; implicit-def: $vgpr3_vgpr4
.LBB23_5:
	s_wait_alu 0xfffe
	s_and_not1_saveexec_b32 s4, s4
	s_cbranch_execz .LBB23_7
; %bb.6:
	v_mov_b32_e32 v0, 0
	s_delay_alu instid0(VALU_DEP_1)
	v_mov_b32_e32 v1, v0
	global_store_b64 v[3:4], v[0:1], off
.LBB23_7:
	s_wait_alu 0xfffe
	s_or_b32 exec_lo, exec_lo, s4
                                        ; implicit-def: $vgpr3
                                        ; implicit-def: $vgpr1_vgpr2
.LBB23_8:
	s_wait_alu 0xfffe
	s_and_not1_saveexec_b32 s1, s1
	s_cbranch_execz .LBB23_13
; %bb.9:
	v_ashrrev_i32_e32 v4, 31, v3
	s_delay_alu instid0(VALU_DEP_1) | instskip(SKIP_1) | instid1(VALU_DEP_1)
	v_lshlrev_b64_e32 v[3:4], 3, v[3:4]
	s_wait_kmcnt 0x0
	v_add_co_u32 v3, vcc_lo, s2, v3
	s_wait_alu 0xfffd
	s_delay_alu instid0(VALU_DEP_2)
	v_add_co_ci_u32_e64 v4, null, s3, v4, vcc_lo
	s_and_saveexec_b32 s1, s0
	s_wait_alu 0xfffe
	s_xor_b32 s0, exec_lo, s1
	s_cbranch_execz .LBB23_11
; %bb.10:
	global_load_b64 v[5:6], v[3:4], off
	s_wait_loadcnt 0x0
	v_mul_f32_e64 v7, v2, -v6
	v_mul_f32_e32 v8, v2, v5
	s_delay_alu instid0(VALU_DEP_2) | instskip(NEXT) | instid1(VALU_DEP_2)
	v_fmac_f32_e32 v7, v5, v1
	v_fmac_f32_e32 v8, v6, v1
	global_store_b64 v[3:4], v[7:8], off
                                        ; implicit-def: $vgpr3_vgpr4
.LBB23_11:
	s_wait_alu 0xfffe
	s_and_not1_saveexec_b32 s0, s0
	s_cbranch_execz .LBB23_13
; %bb.12:
	v_mov_b32_e32 v0, 0
	s_delay_alu instid0(VALU_DEP_1)
	v_mov_b32_e32 v1, v0
	global_store_b64 v[3:4], v[0:1], off
.LBB23_13:
	s_endpgm
	.section	.rodata,"a",@progbits
	.p2align	6, 0x0
	.amdhsa_kernel _ZN9rocsparseL22partial_scale_y_kernelIi21rocsparse_complex_numIfES2_EEvT_S3_S3_NS_24const_host_device_scalarIT1_EEPT0_b
		.amdhsa_group_segment_fixed_size 0
		.amdhsa_private_segment_fixed_size 0
		.amdhsa_kernarg_size 36
		.amdhsa_user_sgpr_count 2
		.amdhsa_user_sgpr_dispatch_ptr 0
		.amdhsa_user_sgpr_queue_ptr 0
		.amdhsa_user_sgpr_kernarg_segment_ptr 1
		.amdhsa_user_sgpr_dispatch_id 0
		.amdhsa_user_sgpr_private_segment_size 0
		.amdhsa_wavefront_size32 1
		.amdhsa_uses_dynamic_stack 0
		.amdhsa_enable_private_segment 0
		.amdhsa_system_sgpr_workgroup_id_x 1
		.amdhsa_system_sgpr_workgroup_id_y 0
		.amdhsa_system_sgpr_workgroup_id_z 0
		.amdhsa_system_sgpr_workgroup_info 0
		.amdhsa_system_vgpr_workitem_id 0
		.amdhsa_next_free_vgpr 9
		.amdhsa_next_free_sgpr 7
		.amdhsa_reserve_vcc 1
		.amdhsa_float_round_mode_32 0
		.amdhsa_float_round_mode_16_64 0
		.amdhsa_float_denorm_mode_32 3
		.amdhsa_float_denorm_mode_16_64 3
		.amdhsa_fp16_overflow 0
		.amdhsa_workgroup_processor_mode 1
		.amdhsa_memory_ordered 1
		.amdhsa_forward_progress 1
		.amdhsa_inst_pref_size 4
		.amdhsa_round_robin_scheduling 0
		.amdhsa_exception_fp_ieee_invalid_op 0
		.amdhsa_exception_fp_denorm_src 0
		.amdhsa_exception_fp_ieee_div_zero 0
		.amdhsa_exception_fp_ieee_overflow 0
		.amdhsa_exception_fp_ieee_underflow 0
		.amdhsa_exception_fp_ieee_inexact 0
		.amdhsa_exception_int_div_zero 0
	.end_amdhsa_kernel
	.section	.text._ZN9rocsparseL22partial_scale_y_kernelIi21rocsparse_complex_numIfES2_EEvT_S3_S3_NS_24const_host_device_scalarIT1_EEPT0_b,"axG",@progbits,_ZN9rocsparseL22partial_scale_y_kernelIi21rocsparse_complex_numIfES2_EEvT_S3_S3_NS_24const_host_device_scalarIT1_EEPT0_b,comdat
.Lfunc_end23:
	.size	_ZN9rocsparseL22partial_scale_y_kernelIi21rocsparse_complex_numIfES2_EEvT_S3_S3_NS_24const_host_device_scalarIT1_EEPT0_b, .Lfunc_end23-_ZN9rocsparseL22partial_scale_y_kernelIi21rocsparse_complex_numIfES2_EEvT_S3_S3_NS_24const_host_device_scalarIT1_EEPT0_b
                                        ; -- End function
	.set _ZN9rocsparseL22partial_scale_y_kernelIi21rocsparse_complex_numIfES2_EEvT_S3_S3_NS_24const_host_device_scalarIT1_EEPT0_b.num_vgpr, 9
	.set _ZN9rocsparseL22partial_scale_y_kernelIi21rocsparse_complex_numIfES2_EEvT_S3_S3_NS_24const_host_device_scalarIT1_EEPT0_b.num_agpr, 0
	.set _ZN9rocsparseL22partial_scale_y_kernelIi21rocsparse_complex_numIfES2_EEvT_S3_S3_NS_24const_host_device_scalarIT1_EEPT0_b.numbered_sgpr, 7
	.set _ZN9rocsparseL22partial_scale_y_kernelIi21rocsparse_complex_numIfES2_EEvT_S3_S3_NS_24const_host_device_scalarIT1_EEPT0_b.num_named_barrier, 0
	.set _ZN9rocsparseL22partial_scale_y_kernelIi21rocsparse_complex_numIfES2_EEvT_S3_S3_NS_24const_host_device_scalarIT1_EEPT0_b.private_seg_size, 0
	.set _ZN9rocsparseL22partial_scale_y_kernelIi21rocsparse_complex_numIfES2_EEvT_S3_S3_NS_24const_host_device_scalarIT1_EEPT0_b.uses_vcc, 1
	.set _ZN9rocsparseL22partial_scale_y_kernelIi21rocsparse_complex_numIfES2_EEvT_S3_S3_NS_24const_host_device_scalarIT1_EEPT0_b.uses_flat_scratch, 0
	.set _ZN9rocsparseL22partial_scale_y_kernelIi21rocsparse_complex_numIfES2_EEvT_S3_S3_NS_24const_host_device_scalarIT1_EEPT0_b.has_dyn_sized_stack, 0
	.set _ZN9rocsparseL22partial_scale_y_kernelIi21rocsparse_complex_numIfES2_EEvT_S3_S3_NS_24const_host_device_scalarIT1_EEPT0_b.has_recursion, 0
	.set _ZN9rocsparseL22partial_scale_y_kernelIi21rocsparse_complex_numIfES2_EEvT_S3_S3_NS_24const_host_device_scalarIT1_EEPT0_b.has_indirect_call, 0
	.section	.AMDGPU.csdata,"",@progbits
; Kernel info:
; codeLenInByte = 512
; TotalNumSgprs: 9
; NumVgprs: 9
; ScratchSize: 0
; MemoryBound: 0
; FloatMode: 240
; IeeeMode: 1
; LDSByteSize: 0 bytes/workgroup (compile time only)
; SGPRBlocks: 0
; VGPRBlocks: 1
; NumSGPRsForWavesPerEU: 9
; NumVGPRsForWavesPerEU: 9
; Occupancy: 16
; WaveLimiterHint : 0
; COMPUTE_PGM_RSRC2:SCRATCH_EN: 0
; COMPUTE_PGM_RSRC2:USER_SGPR: 2
; COMPUTE_PGM_RSRC2:TRAP_HANDLER: 0
; COMPUTE_PGM_RSRC2:TGID_X_EN: 1
; COMPUTE_PGM_RSRC2:TGID_Y_EN: 0
; COMPUTE_PGM_RSRC2:TGID_Z_EN: 0
; COMPUTE_PGM_RSRC2:TIDIG_COMP_CNT: 0
	.section	.text._ZN9rocsparseL27csrmvn_symm_adaptive_kernelIii21rocsparse_complex_numIfES2_S2_S2_EEvbT_S3_PKS3_NS_24const_host_device_scalarIT4_EES5_PKT0_PKT1_PKT2_S8_PT3_21rocsparse_index_base_b,"axG",@progbits,_ZN9rocsparseL27csrmvn_symm_adaptive_kernelIii21rocsparse_complex_numIfES2_S2_S2_EEvbT_S3_PKS3_NS_24const_host_device_scalarIT4_EES5_PKT0_PKT1_PKT2_S8_PT3_21rocsparse_index_base_b,comdat
	.globl	_ZN9rocsparseL27csrmvn_symm_adaptive_kernelIii21rocsparse_complex_numIfES2_S2_S2_EEvbT_S3_PKS3_NS_24const_host_device_scalarIT4_EES5_PKT0_PKT1_PKT2_S8_PT3_21rocsparse_index_base_b ; -- Begin function _ZN9rocsparseL27csrmvn_symm_adaptive_kernelIii21rocsparse_complex_numIfES2_S2_S2_EEvbT_S3_PKS3_NS_24const_host_device_scalarIT4_EES5_PKT0_PKT1_PKT2_S8_PT3_21rocsparse_index_base_b
	.p2align	8
	.type	_ZN9rocsparseL27csrmvn_symm_adaptive_kernelIii21rocsparse_complex_numIfES2_S2_S2_EEvbT_S3_PKS3_NS_24const_host_device_scalarIT4_EES5_PKT0_PKT1_PKT2_S8_PT3_21rocsparse_index_base_b,@function
_ZN9rocsparseL27csrmvn_symm_adaptive_kernelIii21rocsparse_complex_numIfES2_S2_S2_EEvbT_S3_PKS3_NS_24const_host_device_scalarIT4_EES5_PKT0_PKT1_PKT2_S8_PT3_21rocsparse_index_base_b: ; @_ZN9rocsparseL27csrmvn_symm_adaptive_kernelIii21rocsparse_complex_numIfES2_S2_S2_EEvbT_S3_PKS3_NS_24const_host_device_scalarIT4_EES5_PKT0_PKT1_PKT2_S8_PT3_21rocsparse_index_base_b
; %bb.0:
	s_clause 0x1
	s_load_b64 s[24:25], s[0:1], 0x50
	s_load_b64 s[4:5], s[0:1], 0x18
	s_add_nc_u64 s[6:7], s[0:1], 24
	s_wait_kmcnt 0x0
	s_bitcmp1_b32 s25, 0
	s_cselect_b32 s3, -1, 0
	s_delay_alu instid0(SALU_CYCLE_1) | instskip(SKIP_2) | instid1(SALU_CYCLE_1)
	s_and_b32 s2, s3, exec_lo
	s_cselect_b32 s2, s6, s4
	s_cselect_b32 s4, s7, s5
	v_dual_mov_b32 v1, s2 :: v_dual_mov_b32 v2, s4
	flat_load_b64 v[3:4], v[1:2]
	s_wait_loadcnt_dscnt 0x0
	v_cmp_eq_f32_e32 vcc_lo, 0, v3
	v_cmp_eq_f32_e64 s2, 0, v4
	s_and_b32 s5, vcc_lo, s2
	s_mov_b32 s2, -1
	s_wait_alu 0xfffe
	s_and_saveexec_b32 s4, s5
	s_cbranch_execz .LBB24_2
; %bb.1:
	s_load_b64 s[6:7], s[0:1], 0x40
	s_add_nc_u64 s[8:9], s[0:1], 64
	s_and_b32 s2, s3, exec_lo
	s_wait_kmcnt 0x0
	s_cselect_b32 s2, s8, s6
	s_cselect_b32 s3, s9, s7
	s_wait_alu 0xfffe
	v_dual_mov_b32 v1, s2 :: v_dual_mov_b32 v2, s3
	flat_load_b64 v[1:2], v[1:2]
	s_wait_loadcnt_dscnt 0x0
	v_cmp_neq_f32_e32 vcc_lo, 1.0, v1
	v_cmp_neq_f32_e64 s2, 0, v2
	s_or_b32 s2, vcc_lo, s2
	s_wait_alu 0xfffe
	s_or_not1_b32 s2, s2, exec_lo
.LBB24_2:
	s_wait_alu 0xfffe
	s_or_b32 exec_lo, exec_lo, s4
	s_and_saveexec_b32 s3, s2
	s_cbranch_execz .LBB24_133
; %bb.3:
	s_clause 0x1
	s_load_b96 s[16:18], s[0:1], 0x0
	s_load_b64 s[4:5], s[0:1], 0x10
	s_mov_b32 s6, 0
	s_mov_b32 s2, ttmp9
	s_mov_b32 s7, s6
	v_mov_b32_e32 v1, s6
	v_dual_mov_b32 v2, s7 :: v_dual_lshlrev_b32 v11, 3, v0
	v_subrev_nc_u32_e32 v12, s24, v0
	ds_store_2addr_stride64_b64 v11, v[1:2], v[1:2] offset1:4
	ds_store_2addr_stride64_b64 v11, v[1:2], v[1:2] offset0:8 offset1:12
	s_wait_dscnt 0x0
	s_barrier_signal -1
	s_barrier_wait -1
	global_inv scope:SCOPE_SE
	s_wait_kmcnt 0x0
	s_bitcmp1_b32 s16, 0
	s_cselect_b32 s25, -1, 0
	s_ashr_i32 s3, ttmp9, 31
	s_wait_alu 0xfffe
	s_lshl_b64 s[2:3], s[2:3], 2
	s_wait_alu 0xfffe
	s_add_nc_u64 s[2:3], s[4:5], s[2:3]
	s_load_b64 s[22:23], s[2:3], 0x0
	s_clause 0x1
	s_load_b256 s[8:15], s[0:1], 0x20
	s_load_b64 s[20:21], s[0:1], 0x48
	s_mov_b32 s2, -1
	s_wait_kmcnt 0x0
	s_sub_co_i32 s16, s23, s22
	s_delay_alu instid0(SALU_CYCLE_1)
	s_cmp_gt_i32 s16, 2
	s_cbranch_scc1 .LBB24_38
; %bb.4:
	s_cmp_le_i32 s23, s22
	s_cbranch_scc1 .LBB24_28
; %bb.5:
	v_cmp_gt_u32_e64 s2, 16, v0
	v_cmp_gt_u32_e64 s3, 4, v0
	v_cmp_eq_u32_e64 s4, 0, v0
	v_mov_b32_e32 v13, 0
	s_add_nc_u64 s[26:27], s[12:13], 4
	s_mov_b32 s28, s22
	v_cmp_gt_u32_e32 vcc_lo, 64, v0
	s_branch .LBB24_7
.LBB24_6:                               ;   in Loop: Header=BB24_7 Depth=1
	s_wait_alu 0xfffe
	s_or_b32 exec_lo, exec_lo, s19
	s_add_co_i32 s28, s28, 1
	s_wait_alu 0xfffe
	s_cmp_ge_i32 s28, s23
	s_cbranch_scc1 .LBB24_28
.LBB24_7:                               ; =>This Loop Header: Depth=1
                                        ;     Child Loop BB24_9 Depth 2
                                        ;     Child Loop BB24_21 Depth 2
	;; [unrolled: 1-line block ×3, first 2 shown]
	s_ashr_i32 s29, s28, 31
	v_mov_b32_e32 v5, 0
	s_wait_alu 0xfffe
	s_lshl_b64 s[6:7], s[28:29], 2
	v_mov_b32_e32 v6, 0
	s_wait_alu 0xfffe
	s_add_nc_u64 s[6:7], s[8:9], s[6:7]
	s_load_b64 s[6:7], s[6:7], 0x0
	s_wait_kmcnt 0x0
	v_add_nc_u32_e32 v1, s6, v12
	s_sub_co_i32 s19, s7, s24
	s_mov_b32 s7, exec_lo
	s_wait_alu 0xfffe
	s_delay_alu instid0(VALU_DEP_1)
	v_cmpx_gt_i32_e64 s19, v1
	s_cbranch_execz .LBB24_11
; %bb.8:                                ;   in Loop: Header=BB24_7 Depth=1
	v_ashrrev_i32_e32 v2, 31, v1
	v_mov_b32_e32 v6, 0
	s_mov_b32 s30, 0
	s_delay_alu instid0(VALU_DEP_2) | instskip(SKIP_1) | instid1(VALU_DEP_3)
	v_lshlrev_b64_e32 v[7:8], 2, v[1:2]
	v_lshlrev_b64_e32 v[9:10], 3, v[1:2]
	v_mov_b32_e32 v5, v6
	s_delay_alu instid0(VALU_DEP_3) | instskip(SKIP_1) | instid1(VALU_DEP_4)
	v_add_co_u32 v7, s5, s10, v7
	s_wait_alu 0xf1ff
	v_add_co_ci_u32_e64 v8, null, s11, v8, s5
	s_delay_alu instid0(VALU_DEP_4)
	v_add_co_u32 v9, s5, s26, v9
	s_wait_alu 0xf1ff
	v_add_co_ci_u32_e64 v10, null, s27, v10, s5
.LBB24_9:                               ;   Parent Loop BB24_7 Depth=1
                                        ; =>  This Inner Loop Header: Depth=2
	global_load_b32 v2, v[7:8], off
	global_load_b64 v[16:17], v[9:10], off offset:-4
	s_wait_loadcnt 0x1
	v_subrev_nc_u32_e32 v14, s24, v2
	s_wait_loadcnt 0x0
	v_cndmask_b32_e64 v2, v17, -v17, s25
	s_delay_alu instid0(VALU_DEP_2) | instskip(NEXT) | instid1(VALU_DEP_1)
	v_ashrrev_i32_e32 v15, 31, v14
	v_lshlrev_b64_e32 v[14:15], 3, v[14:15]
	s_delay_alu instid0(VALU_DEP_1) | instskip(SKIP_1) | instid1(VALU_DEP_2)
	v_add_co_u32 v14, s5, s14, v14
	s_wait_alu 0xf1ff
	v_add_co_ci_u32_e64 v15, null, s15, v15, s5
	v_add_co_u32 v7, s5, 0x400, v7
	s_wait_alu 0xf1ff
	v_add_co_ci_u32_e64 v8, null, 0, v8, s5
	global_load_b64 v[14:15], v[14:15], off
	v_add_nc_u32_e32 v1, 0x100, v1
	v_add_co_u32 v9, s5, 0x800, v9
	s_wait_alu 0xf1ff
	v_add_co_ci_u32_e64 v10, null, 0, v10, s5
	s_wait_loadcnt 0x0
	v_fmac_f32_e32 v5, v16, v14
	v_fmac_f32_e32 v6, v2, v14
	v_cmp_le_i32_e64 s6, s19, v1
	s_delay_alu instid0(VALU_DEP_3) | instskip(NEXT) | instid1(VALU_DEP_3)
	v_fma_f32 v5, -v2, v15, v5
	v_fmac_f32_e32 v6, v16, v15
	s_wait_alu 0xfffe
	s_or_b32 s30, s6, s30
	s_wait_alu 0xfffe
	s_and_not1_b32 exec_lo, exec_lo, s30
	s_cbranch_execnz .LBB24_9
; %bb.10:                               ;   in Loop: Header=BB24_7 Depth=1
	s_or_b32 exec_lo, exec_lo, s30
.LBB24_11:                              ;   in Loop: Header=BB24_7 Depth=1
	s_wait_alu 0xfffe
	s_or_b32 exec_lo, exec_lo, s7
	ds_store_b64 v11, v[5:6]
	s_wait_loadcnt_dscnt 0x0
	s_barrier_signal -1
	s_barrier_wait -1
	global_inv scope:SCOPE_SE
	ds_load_2addr_stride64_b64 v[5:8], v11 offset1:4
	ds_load_2addr_stride64_b64 v[14:17], v11 offset0:8 offset1:12
	s_wait_dscnt 0x0
	v_dual_add_f32 v1, v14, v7 :: v_dual_add_f32 v2, v15, v8
	s_delay_alu instid0(VALU_DEP_1) | instskip(NEXT) | instid1(VALU_DEP_1)
	v_dual_add_f32 v1, v16, v1 :: v_dual_add_f32 v2, v17, v2
	v_dual_add_f32 v1, v1, v5 :: v_dual_add_f32 v2, v2, v6
	ds_store_b64 v11, v[1:2]
	s_wait_loadcnt_dscnt 0x0
	s_barrier_signal -1
	s_barrier_wait -1
	global_inv scope:SCOPE_SE
	s_and_saveexec_b32 s5, vcc_lo
	s_cbranch_execz .LBB24_13
; %bb.12:                               ;   in Loop: Header=BB24_7 Depth=1
	ds_load_2addr_stride64_b64 v[5:8], v11 offset1:1
	ds_load_2addr_stride64_b64 v[14:17], v11 offset0:2 offset1:3
	s_wait_dscnt 0x0
	v_dual_add_f32 v1, v14, v7 :: v_dual_add_f32 v2, v15, v8
	s_delay_alu instid0(VALU_DEP_1) | instskip(NEXT) | instid1(VALU_DEP_1)
	v_dual_add_f32 v1, v16, v1 :: v_dual_add_f32 v2, v17, v2
	v_dual_add_f32 v1, v1, v5 :: v_dual_add_f32 v2, v2, v6
	ds_store_b64 v11, v[1:2]
.LBB24_13:                              ;   in Loop: Header=BB24_7 Depth=1
	s_wait_alu 0xfffe
	s_or_b32 exec_lo, exec_lo, s5
	s_wait_loadcnt_dscnt 0x0
	s_barrier_signal -1
	s_barrier_wait -1
	global_inv scope:SCOPE_SE
	s_and_saveexec_b32 s5, s2
	s_cbranch_execz .LBB24_15
; %bb.14:                               ;   in Loop: Header=BB24_7 Depth=1
	ds_load_2addr_b64 v[5:8], v11 offset1:16
	ds_load_2addr_b64 v[14:17], v11 offset0:32 offset1:48
	s_wait_dscnt 0x0
	v_dual_add_f32 v1, v14, v7 :: v_dual_add_f32 v2, v15, v8
	s_delay_alu instid0(VALU_DEP_1) | instskip(NEXT) | instid1(VALU_DEP_1)
	v_dual_add_f32 v1, v16, v1 :: v_dual_add_f32 v2, v17, v2
	v_dual_add_f32 v1, v1, v5 :: v_dual_add_f32 v2, v2, v6
	ds_store_b64 v11, v[1:2]
.LBB24_15:                              ;   in Loop: Header=BB24_7 Depth=1
	s_wait_alu 0xfffe
	s_or_b32 exec_lo, exec_lo, s5
	s_wait_loadcnt_dscnt 0x0
	s_barrier_signal -1
	s_barrier_wait -1
	global_inv scope:SCOPE_SE
	s_and_saveexec_b32 s5, s3
	s_cbranch_execz .LBB24_17
; %bb.16:                               ;   in Loop: Header=BB24_7 Depth=1
	ds_load_2addr_b64 v[5:8], v11 offset1:4
	ds_load_2addr_b64 v[14:17], v11 offset0:8 offset1:12
	s_wait_dscnt 0x0
	v_dual_add_f32 v1, v14, v7 :: v_dual_add_f32 v2, v15, v8
	s_delay_alu instid0(VALU_DEP_1) | instskip(NEXT) | instid1(VALU_DEP_1)
	v_dual_add_f32 v1, v16, v1 :: v_dual_add_f32 v2, v17, v2
	v_dual_add_f32 v1, v1, v5 :: v_dual_add_f32 v2, v2, v6
	ds_store_b64 v11, v[1:2]
.LBB24_17:                              ;   in Loop: Header=BB24_7 Depth=1
	s_wait_alu 0xfffe
	s_or_b32 exec_lo, exec_lo, s5
	s_wait_loadcnt_dscnt 0x0
	s_barrier_signal -1
	s_barrier_wait -1
	global_inv scope:SCOPE_SE
	s_and_saveexec_b32 s5, s4
	s_cbranch_execz .LBB24_19
; %bb.18:                               ;   in Loop: Header=BB24_7 Depth=1
	ds_load_b128 v[5:8], v13 offset:16
	ds_load_b64 v[1:2], v13 offset:8
	ds_load_b64 v[9:10], v11
	s_wait_dscnt 0x1
	v_dual_add_f32 v1, v5, v1 :: v_dual_add_f32 v2, v6, v2
	s_delay_alu instid0(VALU_DEP_1) | instskip(SKIP_1) | instid1(VALU_DEP_1)
	v_dual_add_f32 v1, v7, v1 :: v_dual_add_f32 v2, v8, v2
	s_wait_dscnt 0x0
	v_dual_add_f32 v1, v1, v9 :: v_dual_add_f32 v2, v2, v10
	ds_store_b64 v11, v[1:2]
.LBB24_19:                              ;   in Loop: Header=BB24_7 Depth=1
	s_wait_alu 0xfffe
	s_or_b32 exec_lo, exec_lo, s5
	s_wait_loadcnt_dscnt 0x0
	s_barrier_signal -1
	s_barrier_wait -1
	global_inv scope:SCOPE_SE
	s_and_saveexec_b32 s19, s4
	s_cbranch_execz .LBB24_6
; %bb.20:                               ;   in Loop: Header=BB24_7 Depth=1
	ds_load_b64 v[1:2], v13
	s_mov_b32 s5, exec_lo
	s_brev_b32 s30, 1
	s_wait_dscnt 0x0
	v_mul_f32_e64 v5, v2, -v4
	s_delay_alu instid0(VALU_DEP_1)
	v_fmac_f32_e32 v5, v3, v1
.LBB24_21:                              ;   Parent Loop BB24_7 Depth=1
                                        ; =>  This Inner Loop Header: Depth=2
	s_wait_alu 0xfffe
	s_ctz_i32_b32 s6, s5
	s_wait_alu 0xfffe
	s_delay_alu instid0(VALU_DEP_1)
	v_readlane_b32 s7, v5, s6
	s_lshl_b32 s6, 1, s6
	s_wait_alu 0xfffe
	s_and_not1_b32 s5, s5, s6
	s_wait_alu 0xfffe
	s_cmp_lg_u32 s5, 0
	s_add_f32 s30, s30, s7
	s_cbranch_scc1 .LBB24_21
; %bb.22:                               ;   in Loop: Header=BB24_7 Depth=1
	v_mbcnt_lo_u32_b32 v5, exec_lo, 0
	s_lshl_b64 s[6:7], s[28:29], 3
	s_wait_alu 0xfffe
	s_add_nc_u64 s[6:7], s[20:21], s[6:7]
	s_delay_alu instid0(VALU_DEP_1)
	v_cmp_eq_u32_e64 s5, 0, v5
	s_and_saveexec_b32 s29, s5
	s_wait_alu 0xfffe
	s_xor_b32 s5, exec_lo, s29
	s_cbranch_execz .LBB24_24
; %bb.23:                               ;   in Loop: Header=BB24_7 Depth=1
	v_mov_b32_e32 v5, s30
	global_atomic_add_f32 v13, v5, s[6:7] scope:SCOPE_DEV
.LBB24_24:                              ;   in Loop: Header=BB24_7 Depth=1
	s_wait_alu 0xfffe
	s_or_b32 exec_lo, exec_lo, s5
	v_mul_f32_e32 v2, v3, v2
	s_mov_b32 s5, exec_lo
	s_brev_b32 s29, 1
	s_delay_alu instid0(VALU_DEP_1)
	v_fmac_f32_e32 v2, v4, v1
.LBB24_25:                              ;   Parent Loop BB24_7 Depth=1
                                        ; =>  This Inner Loop Header: Depth=2
	s_wait_alu 0xfffe
	s_ctz_i32_b32 s30, s5
	s_wait_alu 0xfffe
	s_delay_alu instid0(VALU_DEP_1)
	v_readlane_b32 s31, v2, s30
	s_lshl_b32 s30, 1, s30
	s_wait_alu 0xfffe
	s_and_not1_b32 s5, s5, s30
	s_wait_alu 0xfffe
	s_cmp_lg_u32 s5, 0
	s_add_f32 s29, s29, s31
	s_cbranch_scc1 .LBB24_25
; %bb.26:                               ;   in Loop: Header=BB24_7 Depth=1
	v_mbcnt_lo_u32_b32 v1, exec_lo, 0
	s_mov_b32 s30, exec_lo
	s_delay_alu instid0(VALU_DEP_1)
	v_cmpx_eq_u32_e32 0, v1
	s_wait_alu 0xfffe
	s_xor_b32 s30, exec_lo, s30
	s_cbranch_execz .LBB24_6
; %bb.27:                               ;   in Loop: Header=BB24_7 Depth=1
	v_mov_b32_e32 v1, s29
	global_atomic_add_f32 v13, v1, s[6:7] offset:4 scope:SCOPE_DEV
	s_branch .LBB24_6
.LBB24_28:
	s_ashr_i32 s3, s22, 31
	s_mov_b32 s2, s22
	s_ashr_i32 s5, s23, 31
	s_wait_alu 0xfffe
	s_lshl_b64 s[2:3], s[2:3], 2
	s_mov_b32 s4, s23
	s_wait_alu 0xfffe
	s_add_nc_u64 s[2:3], s[8:9], s[2:3]
	s_lshl_b64 s[4:5], s[4:5], 2
	s_load_b32 s6, s[2:3], 0x0
	s_add_nc_u64 s[2:3], s[8:9], s[4:5]
	s_mov_b32 s4, exec_lo
	s_load_b32 s2, s[2:3], 0x0
	s_wait_kmcnt 0x0
	v_add_nc_u32_e32 v1, s6, v12
	s_sub_co_i32 s3, s2, s24
	s_wait_alu 0xfffe
	s_delay_alu instid0(VALU_DEP_1)
	v_cmpx_gt_i32_e64 s3, v1
	s_cbranch_execz .LBB24_37
; %bb.29:
	s_add_co_i32 s5, s23, -1
	s_mov_b32 s7, 0
	s_wait_alu 0xfffe
	s_cmp_lt_i32 s22, s5
	s_cselect_b32 s2, -1, 0
	s_add_co_i32 s6, s23, -2
	s_wait_alu 0xfffe
	s_cmp_lg_u32 s22, s6
	s_cselect_b32 s6, -1, 0
	s_wait_alu 0xfffe
	s_and_b32 s6, s2, s6
	s_branch .LBB24_31
.LBB24_30:                              ;   in Loop: Header=BB24_31 Depth=1
	s_wait_alu 0xfffe
	s_or_b32 exec_lo, exec_lo, s2
	v_add_nc_u32_e32 v1, 0x100, v1
	s_delay_alu instid0(VALU_DEP_1)
	v_cmp_le_i32_e32 vcc_lo, s3, v1
	s_or_b32 s7, vcc_lo, s7
	s_wait_alu 0xfffe
	s_and_not1_b32 exec_lo, exec_lo, s7
	s_cbranch_execz .LBB24_37
.LBB24_31:                              ; =>This Loop Header: Depth=1
                                        ;     Child Loop BB24_33 Depth 2
	v_mov_b32_e32 v7, s22
	v_mov_b32_e32 v5, s5
	s_wait_alu 0xfffe
	s_and_not1_b32 vcc_lo, exec_lo, s6
	s_wait_alu 0xfffe
	s_cbranch_vccnz .LBB24_35
; %bb.32:                               ;   in Loop: Header=BB24_31 Depth=1
	v_mov_b32_e32 v7, s22
	v_mov_b32_e32 v5, s5
	s_mov_b32 s19, 0
.LBB24_33:                              ;   Parent Loop BB24_31 Depth=1
                                        ; =>  This Inner Loop Header: Depth=2
	s_delay_alu instid0(VALU_DEP_1) | instskip(NEXT) | instid1(VALU_DEP_1)
	v_add_nc_u32_e32 v2, v5, v7
	v_lshrrev_b32_e32 v6, 31, v2
	s_delay_alu instid0(VALU_DEP_1) | instskip(NEXT) | instid1(VALU_DEP_1)
	v_add_nc_u32_e32 v2, v2, v6
	v_ashrrev_i32_e32 v8, 1, v2
	s_delay_alu instid0(VALU_DEP_1) | instskip(NEXT) | instid1(VALU_DEP_1)
	v_ashrrev_i32_e32 v9, 31, v8
	v_lshlrev_b64_e32 v[9:10], 2, v[8:9]
	s_delay_alu instid0(VALU_DEP_1) | instskip(SKIP_1) | instid1(VALU_DEP_2)
	v_add_co_u32 v9, vcc_lo, s8, v9
	s_wait_alu 0xfffd
	v_add_co_ci_u32_e64 v10, null, s9, v10, vcc_lo
	global_load_b32 v2, v[9:10], off
	s_wait_loadcnt 0x0
	v_subrev_nc_u32_e32 v2, s24, v2
	s_delay_alu instid0(VALU_DEP_1) | instskip(SKIP_2) | instid1(VALU_DEP_1)
	v_cmp_lt_i32_e32 vcc_lo, v1, v2
	s_wait_alu 0xfffd
	v_cndmask_b32_e32 v5, v5, v8, vcc_lo
	v_dual_cndmask_b32 v7, v8, v7 :: v_dual_add_nc_u32 v2, -1, v5
	s_delay_alu instid0(VALU_DEP_1) | instskip(NEXT) | instid1(VALU_DEP_2)
	v_cmp_ge_i32_e32 vcc_lo, v7, v5
	v_cmp_eq_u32_e64 s2, v7, v2
	s_or_b32 s2, vcc_lo, s2
	s_wait_alu 0xfffe
	s_and_b32 s2, exec_lo, s2
	s_wait_alu 0xfffe
	s_or_b32 s19, s2, s19
	s_wait_alu 0xfffe
	s_and_not1_b32 exec_lo, exec_lo, s19
	s_cbranch_execnz .LBB24_33
; %bb.34:                               ;   in Loop: Header=BB24_31 Depth=1
	s_or_b32 exec_lo, exec_lo, s19
.LBB24_35:                              ;   in Loop: Header=BB24_31 Depth=1
	v_ashrrev_i32_e32 v6, 31, v5
	v_ashrrev_i32_e32 v2, 31, v1
	s_mov_b32 s2, exec_lo
	s_delay_alu instid0(VALU_DEP_2) | instskip(NEXT) | instid1(VALU_DEP_2)
	v_lshlrev_b64_e32 v[8:9], 2, v[5:6]
	v_lshlrev_b64_e32 v[13:14], 2, v[1:2]
	s_delay_alu instid0(VALU_DEP_2) | instskip(SKIP_1) | instid1(VALU_DEP_3)
	v_add_co_u32 v8, vcc_lo, s8, v8
	s_wait_alu 0xfffd
	v_add_co_ci_u32_e64 v9, null, s9, v9, vcc_lo
	global_load_b32 v6, v[8:9], off
	v_add_co_u32 v8, vcc_lo, s10, v13
	s_wait_alu 0xfffd
	v_add_co_ci_u32_e64 v9, null, s11, v14, vcc_lo
	global_load_b32 v8, v[8:9], off
	s_wait_loadcnt 0x1
	v_subrev_nc_u32_e32 v6, s24, v6
	s_delay_alu instid0(VALU_DEP_1) | instskip(SKIP_4) | instid1(VALU_DEP_1)
	v_cmp_lt_i32_e32 vcc_lo, v1, v6
	s_wait_alu 0xfffd
	v_cndmask_b32_e32 v6, v5, v7, vcc_lo
	s_wait_loadcnt 0x0
	v_subrev_nc_u32_e32 v5, s24, v8
	v_cmpx_ne_u32_e64 v5, v6
	s_cbranch_execz .LBB24_30
; %bb.36:                               ;   in Loop: Header=BB24_31 Depth=1
	v_lshlrev_b64_e32 v[7:8], 3, v[1:2]
	s_delay_alu instid0(VALU_DEP_1) | instskip(SKIP_1) | instid1(VALU_DEP_2)
	v_add_co_u32 v9, vcc_lo, s12, v7
	s_wait_alu 0xfffd
	v_add_co_ci_u32_e64 v10, null, s13, v8, vcc_lo
	v_ashrrev_i32_e32 v7, 31, v6
	global_load_b64 v[8:9], v[9:10], off
	v_lshlrev_b64_e32 v[6:7], 3, v[6:7]
	s_delay_alu instid0(VALU_DEP_1) | instskip(SKIP_1) | instid1(VALU_DEP_2)
	v_add_co_u32 v6, vcc_lo, s14, v6
	s_wait_alu 0xfffd
	v_add_co_ci_u32_e64 v7, null, s15, v7, vcc_lo
	global_load_b64 v[13:14], v[6:7], off
	v_ashrrev_i32_e32 v6, 31, v5
	s_delay_alu instid0(VALU_DEP_1) | instskip(NEXT) | instid1(VALU_DEP_1)
	v_lshlrev_b64_e32 v[5:6], 3, v[5:6]
	v_add_co_u32 v5, vcc_lo, s20, v5
	s_wait_alu 0xfffd
	s_delay_alu instid0(VALU_DEP_2) | instskip(SKIP_2) | instid1(VALU_DEP_1)
	v_add_co_ci_u32_e64 v6, null, s21, v6, vcc_lo
	s_wait_loadcnt 0x1
	v_cndmask_b32_e64 v2, v9, -v9, s25
	v_mul_f32_e32 v7, v3, v2
	v_mul_f32_e64 v2, v2, -v4
	s_delay_alu instid0(VALU_DEP_2) | instskip(NEXT) | instid1(VALU_DEP_2)
	v_fmac_f32_e32 v7, v4, v8
	v_fmac_f32_e32 v2, v3, v8
	s_wait_loadcnt 0x0
	s_delay_alu instid0(VALU_DEP_2) | instskip(NEXT) | instid1(VALU_DEP_2)
	v_mul_f32_e64 v8, v14, -v7
	v_mul_f32_e32 v9, v14, v2
	s_delay_alu instid0(VALU_DEP_2) | instskip(NEXT) | instid1(VALU_DEP_2)
	v_fmac_f32_e32 v8, v2, v13
	v_fmac_f32_e32 v9, v7, v13
	s_clause 0x1
	global_atomic_add_f32 v[5:6], v8, off scope:SCOPE_DEV
	global_atomic_add_f32 v[5:6], v9, off offset:4 scope:SCOPE_DEV
	s_branch .LBB24_30
.LBB24_37:
	s_or_b32 exec_lo, exec_lo, s4
	s_mov_b32 s2, 0
.LBB24_38:
	s_wait_alu 0xfffe
	s_and_b32 vcc_lo, exec_lo, s2
	s_wait_alu 0xfffe
	s_cbranch_vccz .LBB24_133
; %bb.39:
	s_ashr_i32 s3, s22, 31
	s_mov_b32 s2, s22
	s_cvt_f32_u32 s4, s16
	s_wait_alu 0xfffe
	s_lshl_b64 s[2:3], s[2:3], 2
	s_load_b32 s1, s[0:1], 0x64
	s_add_nc_u64 s[2:3], s[8:9], s[2:3]
	v_rcp_iflag_f32_e32 v1, s4
	s_load_b32 s19, s[2:3], 0x0
	s_mov_b32 s5, 0
	s_delay_alu instid0(TRANS32_DEP_1) | instskip(SKIP_1) | instid1(SALU_CYCLE_3)
	v_readfirstlane_b32 s0, v1
	s_mul_f32 s0, s0, 0x4f7ffffe
	s_cvt_u32_f32 s6, s0
	s_sub_co_i32 s0, 0, s16
	s_wait_kmcnt 0x0
	v_add_nc_u32_e32 v1, s19, v12
	s_wait_alu 0xfffe
	s_mul_i32 s0, s0, s6
	s_delay_alu instid0(VALU_DEP_1) | instskip(NEXT) | instid1(VALU_DEP_1)
	v_add_nc_u32_e32 v7, 0x300, v1
	v_cmp_le_i32_e32 vcc_lo, s17, v7
	s_mul_hi_u32 s17, s6, s0
	s_and_saveexec_b32 s0, vcc_lo
	s_delay_alu instid0(SALU_CYCLE_1)
	s_xor_b32 s4, exec_lo, s0
	s_cbranch_execz .LBB24_44
; %bb.40:
	s_ashr_i32 s27, s23, 31
	s_mov_b32 s26, s23
	s_wait_alu 0xfffe
	s_lshl_b64 s[26:27], s[26:27], 2
	s_wait_alu 0xfffe
	s_add_nc_u64 s[26:27], s[8:9], s[26:27]
	s_load_b32 s0, s[26:27], 0x0
	s_mov_b32 s26, exec_lo
	s_wait_kmcnt 0x0
	s_sub_co_i32 s7, s0, s19
	s_wait_alu 0xfffe
	v_cmpx_gt_i32_e64 s7, v0
	s_cbranch_execz .LBB24_43
; %bb.41:
	v_dual_mov_b32 v2, v11 :: v_dual_mov_b32 v5, v0
	s_sub_co_i32 s27, s19, s24
	s_mov_b32 s28, 0
.LBB24_42:                              ; =>This Inner Loop Header: Depth=1
	s_wait_alu 0xfffe
	s_delay_alu instid0(VALU_DEP_1) | instskip(SKIP_1) | instid1(VALU_DEP_2)
	v_add_nc_u32_e32 v8, s27, v5
	v_add_nc_u32_e32 v5, 0x100, v5
	v_ashrrev_i32_e32 v9, 31, v8
	s_delay_alu instid0(VALU_DEP_1) | instskip(NEXT) | instid1(VALU_DEP_1)
	v_lshlrev_b64_e32 v[8:9], 3, v[8:9]
	v_add_co_u32 v8, s0, s12, v8
	s_wait_alu 0xf1ff
	s_delay_alu instid0(VALU_DEP_2)
	v_add_co_ci_u32_e64 v9, null, s13, v9, s0
	v_cmp_le_i32_e64 s0, s7, v5
	global_load_b64 v[8:9], v[8:9], off
	s_or_b32 s28, s0, s28
	s_wait_loadcnt 0x0
	v_cndmask_b32_e64 v6, v9, -v9, s25
	s_delay_alu instid0(VALU_DEP_1) | instskip(SKIP_1) | instid1(VALU_DEP_2)
	v_mul_f32_e64 v9, v6, -v4
	v_mul_f32_e32 v10, v3, v6
	v_fmac_f32_e32 v9, v3, v8
	s_delay_alu instid0(VALU_DEP_2)
	v_fmac_f32_e32 v10, v4, v8
	ds_store_b64 v2, v[9:10]
	v_add_nc_u32_e32 v2, 0x800, v2
	s_wait_alu 0xfffe
	s_and_not1_b32 exec_lo, exec_lo, s28
	s_cbranch_execnz .LBB24_42
.LBB24_43:
	s_or_b32 exec_lo, exec_lo, s26
                                        ; implicit-def: $vgpr3_vgpr4
.LBB24_44:
	s_wait_alu 0xfffe
	s_or_saveexec_b32 s7, s4
	v_ashrrev_i32_e32 v2, 31, v1
	s_and_b32 s4, s1, 0xffff
	s_add_co_i32 s6, s6, s17
	s_wait_alu 0xfffe
	s_xor_b32 exec_lo, exec_lo, s7
	s_cbranch_execz .LBB24_46
; %bb.45:
	v_lshlrev_b64_e32 v[5:6], 3, v[1:2]
	s_delay_alu instid0(VALU_DEP_1) | instskip(SKIP_1) | instid1(VALU_DEP_2)
	v_add_co_u32 v5, s0, s12, v5
	s_wait_alu 0xf1ff
	v_add_co_ci_u32_e64 v6, null, s13, v6, s0
	s_clause 0x3
	global_load_b64 v[8:9], v[5:6], off
	global_load_b64 v[12:13], v[5:6], off offset:2048
	global_load_b64 v[14:15], v[5:6], off offset:4096
	;; [unrolled: 1-line block ×3, first 2 shown]
	s_wait_loadcnt 0x3
	v_cndmask_b32_e64 v10, v9, -v9, s25
	s_wait_loadcnt 0x2
	v_cndmask_b32_e64 v13, v13, -v13, s25
	;; [unrolled: 2-line block ×4, first 2 shown]
	v_mul_f32_e64 v9, v10, -v4
	v_mul_f32_e32 v10, v3, v10
	v_mul_f32_e64 v15, v13, -v4
	v_mul_f32_e32 v16, v3, v13
	v_mul_f32_e64 v17, v18, -v4
	v_mul_f32_e32 v18, v3, v18
	v_mul_f32_e64 v19, v6, -v4
	v_mul_f32_e32 v20, v3, v6
	v_fmac_f32_e32 v9, v3, v8
	v_dual_fmac_f32 v10, v4, v8 :: v_dual_fmac_f32 v17, v3, v14
	s_delay_alu instid0(VALU_DEP_3)
	v_dual_fmac_f32 v15, v3, v12 :: v_dual_fmac_f32 v20, v4, v5
	v_dual_fmac_f32 v16, v4, v12 :: v_dual_fmac_f32 v19, v3, v5
	v_fmac_f32_e32 v18, v4, v14
	ds_store_2addr_stride64_b64 v11, v[9:10], v[15:16] offset1:4
	ds_store_2addr_stride64_b64 v11, v[17:18], v[19:20] offset0:8 offset1:12
.LBB24_46:
	s_or_b32 exec_lo, exec_lo, s7
	v_lshl_add_u32 v8, v0, 3, 0x2000
	s_mov_b32 s7, s5
	s_mov_b32 s1, exec_lo
	v_cmpx_gt_i32_e64 s18, v0
	s_cbranch_execz .LBB24_49
; %bb.47:
	v_lshl_add_u32 v3, v0, 3, 0x2000
	v_dual_mov_b32 v4, 0 :: v_dual_mov_b32 v5, v0
	s_mov_b32 s12, 0
.LBB24_48:                              ; =>This Inner Loop Header: Depth=1
	s_delay_alu instid0(VALU_DEP_1)
	v_add_nc_u32_e32 v5, 0x100, v5
	ds_store_2addr_b32 v3, v4, v4 offset1:1
	v_add_nc_u32_e32 v3, 0x800, v3
	v_cmp_le_i32_e64 s0, s18, v5
	s_wait_alu 0xfffe
	s_or_b32 s12, s0, s12
	s_wait_alu 0xfffe
	s_and_not1_b32 exec_lo, exec_lo, s12
	s_cbranch_execnz .LBB24_48
.LBB24_49:
	s_wait_alu 0xfffe
	s_or_b32 exec_lo, exec_lo, s1
	s_mul_u64 s[0:1], s[4:5], s[6:7]
	s_sub_co_i32 s0, s23, s18
	s_cmp_ge_i32 s23, s18
	s_wait_storecnt 0x0
	s_wait_loadcnt_dscnt 0x0
	s_wait_alu 0xfffe
	s_cselect_b32 s5, s0, 0
	s_barrier_signal -1
	s_barrier_wait -1
	global_inv scope:SCOPE_SE
	s_and_saveexec_b32 s0, vcc_lo
	s_wait_alu 0xfffe
	s_xor_b32 s6, exec_lo, s0
	s_cbranch_execz .LBB24_66
; %bb.50:
	s_ashr_i32 s13, s23, 31
	s_mov_b32 s12, s23
	s_wait_alu 0xfffe
	s_lshl_b64 s[12:13], s[12:13], 2
	s_wait_alu 0xfffe
	s_add_nc_u64 s[12:13], s[8:9], s[12:13]
	s_load_b32 s0, s[12:13], 0x0
	s_mov_b32 s12, exec_lo
	s_wait_kmcnt 0x0
	s_sub_co_i32 s7, s0, s19
	s_wait_alu 0xfffe
	v_cmpx_gt_i32_e64 s7, v0
	s_cbranch_execz .LBB24_65
; %bb.51:
	s_add_co_i32 s17, s23, -2
	s_add_co_i32 s13, s23, -1
	s_wait_alu 0xfffe
	s_cmp_lg_u32 s22, s17
	s_mov_b32 s26, 0
	s_cselect_b32 s17, -1, 0
	s_sub_co_i32 s25, s0, s24
	s_mov_b32 s27, 0
	s_branch .LBB24_54
.LBB24_52:                              ;   in Loop: Header=BB24_54 Depth=1
	s_wait_alu 0xfffe
	s_or_b32 exec_lo, exec_lo, s0
	v_xor_b32_e32 v7, 0x80000000, v5
.LBB24_53:                              ;   in Loop: Header=BB24_54 Depth=1
	s_wait_alu 0xfffe
	s_or_b32 exec_lo, exec_lo, s28
	v_ashrrev_i32_e32 v3, 31, v2
	s_addk_co_i32 s27, 0x100
	s_delay_alu instid0(VALU_DEP_1) | instskip(NEXT) | instid1(VALU_DEP_1)
	v_lshlrev_b64_e32 v[2:3], 3, v[2:3]
	v_add_co_u32 v2, vcc_lo, s14, v2
	s_wait_alu 0xfffd
	s_delay_alu instid0(VALU_DEP_2) | instskip(SKIP_3) | instid1(VALU_DEP_1)
	v_add_co_ci_u32_e64 v3, null, s15, v3, vcc_lo
	global_load_b64 v[2:3], v[2:3], off
	s_wait_loadcnt 0x0
	v_mul_f32_e32 v6, v3, v7
	v_dual_mul_f32 v7, v3, v4 :: v_dual_fmac_f32 v6, v4, v2
	s_wait_alu 0xfffe
	s_delay_alu instid0(VALU_DEP_1) | instskip(NEXT) | instid1(VALU_DEP_1)
	v_dual_fmac_f32 v7, v5, v2 :: v_dual_add_nc_u32 v10, s27, v0
	v_cmp_le_i32_e32 vcc_lo, s7, v10
	ds_store_b64 v9, v[6:7]
	s_or_b32 s26, vcc_lo, s26
	s_wait_alu 0xfffe
	s_and_not1_b32 exec_lo, exec_lo, s26
	s_cbranch_execz .LBB24_65
.LBB24_54:                              ; =>This Loop Header: Depth=1
                                        ;     Child Loop BB24_56 Depth 2
	s_wait_alu 0xfffe
	v_add_nc_u32_e32 v3, s27, v1
	v_mov_b32_e32 v7, s22
	v_mov_b32_e32 v5, s13
	s_and_not1_b32 vcc_lo, exec_lo, s17
	s_wait_alu 0xfffe
	s_cbranch_vccnz .LBB24_58
; %bb.55:                               ;   in Loop: Header=BB24_54 Depth=1
	v_mov_b32_e32 v7, s22
	v_mov_b32_e32 v5, s13
	s_mov_b32 s28, 0
.LBB24_56:                              ;   Parent Loop BB24_54 Depth=1
                                        ; =>  This Inner Loop Header: Depth=2
	s_delay_alu instid0(VALU_DEP_1) | instskip(NEXT) | instid1(VALU_DEP_1)
	v_add_nc_u32_e32 v2, v5, v7
	v_lshrrev_b32_e32 v4, 31, v2
	s_delay_alu instid0(VALU_DEP_1) | instskip(NEXT) | instid1(VALU_DEP_1)
	v_add_nc_u32_e32 v2, v2, v4
	v_ashrrev_i32_e32 v9, 1, v2
	s_delay_alu instid0(VALU_DEP_1) | instskip(NEXT) | instid1(VALU_DEP_1)
	v_ashrrev_i32_e32 v10, 31, v9
	v_lshlrev_b64_e32 v[12:13], 2, v[9:10]
	s_delay_alu instid0(VALU_DEP_1) | instskip(SKIP_1) | instid1(VALU_DEP_2)
	v_add_co_u32 v12, vcc_lo, s8, v12
	s_wait_alu 0xfffd
	v_add_co_ci_u32_e64 v13, null, s9, v13, vcc_lo
	global_load_b32 v2, v[12:13], off
	s_wait_loadcnt 0x0
	v_subrev_nc_u32_e32 v2, s24, v2
	s_delay_alu instid0(VALU_DEP_1) | instskip(SKIP_2) | instid1(VALU_DEP_1)
	v_cmp_lt_i32_e32 vcc_lo, v3, v2
	s_wait_alu 0xfffd
	v_cndmask_b32_e32 v5, v5, v9, vcc_lo
	v_dual_cndmask_b32 v7, v9, v7 :: v_dual_add_nc_u32 v2, -1, v5
	s_delay_alu instid0(VALU_DEP_1) | instskip(NEXT) | instid1(VALU_DEP_2)
	v_cmp_ge_i32_e32 vcc_lo, v7, v5
	v_cmp_eq_u32_e64 s0, v7, v2
	s_or_b32 s0, vcc_lo, s0
	s_wait_alu 0xfffe
	s_and_b32 s0, exec_lo, s0
	s_wait_alu 0xfffe
	s_or_b32 s28, s0, s28
	s_wait_alu 0xfffe
	s_and_not1_b32 exec_lo, exec_lo, s28
	s_cbranch_execnz .LBB24_56
; %bb.57:                               ;   in Loop: Header=BB24_54 Depth=1
	s_or_b32 exec_lo, exec_lo, s28
.LBB24_58:                              ;   in Loop: Header=BB24_54 Depth=1
	s_delay_alu instid0(VALU_DEP_1) | instskip(SKIP_2) | instid1(VALU_DEP_3)
	v_ashrrev_i32_e32 v6, 31, v5
	v_ashrrev_i32_e32 v4, 31, v3
	v_cmp_le_i32_e64 s0, s25, v3
	v_lshlrev_b64_e32 v[9:10], 2, v[5:6]
	s_delay_alu instid0(VALU_DEP_3) | instskip(NEXT) | instid1(VALU_DEP_2)
	v_lshlrev_b64_e32 v[12:13], 2, v[3:4]
	v_add_co_u32 v9, vcc_lo, s8, v9
	s_wait_alu 0xfffd
	s_delay_alu instid0(VALU_DEP_3) | instskip(NEXT) | instid1(VALU_DEP_3)
	v_add_co_ci_u32_e64 v10, null, s9, v10, vcc_lo
	v_add_co_u32 v12, vcc_lo, s10, v12
	s_wait_alu 0xfffd
	v_add_co_ci_u32_e64 v13, null, s11, v13, vcc_lo
	global_load_b32 v2, v[9:10], off
	global_load_b32 v4, v[12:13], off
	v_lshl_add_u32 v9, s27, 3, v11
	s_wait_loadcnt 0x1
	v_subrev_nc_u32_e32 v6, s24, v2
	s_wait_loadcnt 0x0
	v_subrev_nc_u32_e32 v2, s24, v4
	s_delay_alu instid0(VALU_DEP_2) | instskip(SKIP_2) | instid1(VALU_DEP_1)
	v_cmp_lt_i32_e32 vcc_lo, v3, v6
	s_wait_alu 0xfffd
	v_cndmask_b32_e32 v6, v5, v7, vcc_lo
                                        ; implicit-def: $vgpr4
                                        ; implicit-def: $vgpr7
	v_cmp_eq_u32_e32 vcc_lo, v2, v6
	s_or_b32 s0, vcc_lo, s0
	s_wait_alu 0xfffe
	s_and_saveexec_b32 s28, s0
	s_wait_alu 0xfffe
	s_xor_b32 s0, exec_lo, s28
	s_cbranch_execz .LBB24_60
; %bb.59:                               ;   in Loop: Header=BB24_54 Depth=1
	ds_load_b64 v[4:5], v9
                                        ; implicit-def: $vgpr6
	s_wait_dscnt 0x0
	v_xor_b32_e32 v7, 0x80000000, v5
.LBB24_60:                              ;   in Loop: Header=BB24_54 Depth=1
	s_wait_alu 0xfffe
	s_and_not1_saveexec_b32 s28, s0
	s_cbranch_execz .LBB24_53
; %bb.61:                               ;   in Loop: Header=BB24_54 Depth=1
	v_ashrrev_i32_e32 v7, 31, v6
	v_cmp_le_i32_e64 s0, s23, v2
	s_delay_alu instid0(VALU_DEP_2) | instskip(NEXT) | instid1(VALU_DEP_1)
	v_lshlrev_b64_e32 v[3:4], 3, v[6:7]
	v_add_co_u32 v3, vcc_lo, s14, v3
	s_wait_alu 0xfffd
	s_delay_alu instid0(VALU_DEP_2)
	v_add_co_ci_u32_e64 v4, null, s15, v4, vcc_lo
	v_cmp_gt_i32_e32 vcc_lo, s5, v2
	global_load_b64 v[12:13], v[3:4], off
	ds_load_b64 v[4:5], v9
	s_or_b32 s0, vcc_lo, s0
	s_wait_loadcnt_dscnt 0x0
	v_mul_f32_e64 v6, v13, -v5
	v_mul_f32_e32 v7, v13, v4
	s_delay_alu instid0(VALU_DEP_2) | instskip(NEXT) | instid1(VALU_DEP_2)
	v_fmac_f32_e32 v6, v4, v12
	v_fmac_f32_e32 v7, v5, v12
	s_wait_alu 0xfffe
	s_and_saveexec_b32 s29, s0
	s_wait_alu 0xfffe
	s_xor_b32 s0, exec_lo, s29
	s_cbranch_execz .LBB24_63
; %bb.62:                               ;   in Loop: Header=BB24_54 Depth=1
	v_ashrrev_i32_e32 v3, 31, v2
	s_delay_alu instid0(VALU_DEP_1) | instskip(NEXT) | instid1(VALU_DEP_1)
	v_lshlrev_b64_e32 v[12:13], 3, v[2:3]
	v_add_co_u32 v12, vcc_lo, s20, v12
	s_wait_alu 0xfffd
	s_delay_alu instid0(VALU_DEP_2)
	v_add_co_ci_u32_e64 v13, null, s21, v13, vcc_lo
	s_clause 0x1
	global_atomic_add_f32 v[12:13], v6, off scope:SCOPE_DEV
	global_atomic_add_f32 v[12:13], v7, off offset:4 scope:SCOPE_DEV
                                        ; implicit-def: $vgpr6
                                        ; implicit-def: $vgpr7
.LBB24_63:                              ;   in Loop: Header=BB24_54 Depth=1
	s_wait_alu 0xfffe
	s_and_not1_saveexec_b32 s0, s0
	s_cbranch_execz .LBB24_52
; %bb.64:                               ;   in Loop: Header=BB24_54 Depth=1
	v_subrev_nc_u32_e32 v3, s5, v2
	s_delay_alu instid0(VALU_DEP_1)
	v_lshl_add_u32 v3, v3, 3, 0x2000
	ds_add_f32 v3, v6
	ds_add_f32 v3, v7 offset:4
	s_branch .LBB24_52
.LBB24_65:
	s_or_b32 exec_lo, exec_lo, s12
                                        ; implicit-def: $vgpr7
                                        ; implicit-def: $vgpr1
.LBB24_66:
	s_wait_alu 0xfffe
	s_and_not1_saveexec_b32 s12, s6
	s_cbranch_execz .LBB24_108
; %bb.67:
	s_add_co_i32 s13, s23, -1
	s_add_co_i32 s0, s23, -2
	v_mov_b32_e32 v6, s22
	s_wait_alu 0xfffe
	v_mov_b32_e32 v4, s13
	s_cmp_lg_u32 s22, s0
	s_cselect_b32 s17, -1, 0
	s_cmp_eq_u32 s22, s0
	s_cbranch_scc1 .LBB24_71
; %bb.68:
	v_mov_b32_e32 v6, s22
	v_mov_b32_e32 v4, s13
	s_mov_b32 s6, 0
.LBB24_69:                              ; =>This Inner Loop Header: Depth=1
	s_delay_alu instid0(VALU_DEP_1) | instskip(NEXT) | instid1(VALU_DEP_1)
	v_add_nc_u32_e32 v3, v4, v6
	v_lshrrev_b32_e32 v5, 31, v3
	s_delay_alu instid0(VALU_DEP_1) | instskip(NEXT) | instid1(VALU_DEP_1)
	v_add_nc_u32_e32 v3, v3, v5
	v_ashrrev_i32_e32 v9, 1, v3
	s_delay_alu instid0(VALU_DEP_1) | instskip(NEXT) | instid1(VALU_DEP_1)
	v_ashrrev_i32_e32 v10, 31, v9
	v_lshlrev_b64_e32 v[12:13], 2, v[9:10]
	s_delay_alu instid0(VALU_DEP_1) | instskip(SKIP_1) | instid1(VALU_DEP_2)
	v_add_co_u32 v12, vcc_lo, s8, v12
	s_wait_alu 0xfffd
	v_add_co_ci_u32_e64 v13, null, s9, v13, vcc_lo
	global_load_b32 v3, v[12:13], off
	s_wait_loadcnt 0x0
	v_subrev_nc_u32_e32 v3, s24, v3
	s_delay_alu instid0(VALU_DEP_1) | instskip(SKIP_2) | instid1(VALU_DEP_1)
	v_cmp_lt_i32_e32 vcc_lo, v1, v3
	s_wait_alu 0xfffd
	v_cndmask_b32_e32 v4, v4, v9, vcc_lo
	v_dual_cndmask_b32 v6, v9, v6 :: v_dual_add_nc_u32 v3, -1, v4
	s_delay_alu instid0(VALU_DEP_1) | instskip(NEXT) | instid1(VALU_DEP_2)
	v_cmp_ge_i32_e32 vcc_lo, v6, v4
	v_cmp_eq_u32_e64 s0, v6, v3
	s_or_b32 s0, vcc_lo, s0
	s_wait_alu 0xfffe
	s_and_b32 s0, exec_lo, s0
	s_wait_alu 0xfffe
	s_or_b32 s6, s0, s6
	s_wait_alu 0xfffe
	s_and_not1_b32 exec_lo, exec_lo, s6
	s_cbranch_execnz .LBB24_69
; %bb.70:
	s_or_b32 exec_lo, exec_lo, s6
.LBB24_71:
	v_ashrrev_i32_e32 v5, 31, v4
	v_lshlrev_b64_e32 v[2:3], 2, v[1:2]
	s_ashr_i32 s7, s23, 31
	s_mov_b32 s6, s23
	s_wait_alu 0xfffe
	s_lshl_b64 s[6:7], s[6:7], 2
	v_lshlrev_b64_e32 v[9:10], 2, v[4:5]
	s_wait_alu 0xfffe
	s_add_nc_u64 s[6:7], s[8:9], s[6:7]
	s_delay_alu instid0(VALU_DEP_1) | instskip(SKIP_1) | instid1(VALU_DEP_2)
	v_add_co_u32 v9, vcc_lo, s8, v9
	s_wait_alu 0xfffd
	v_add_co_ci_u32_e64 v10, null, s9, v10, vcc_lo
	v_add_co_u32 v2, vcc_lo, s10, v2
	s_wait_alu 0xfffd
	v_add_co_ci_u32_e64 v3, null, s11, v3, vcc_lo
	global_load_b32 v5, v[9:10], off
	s_mov_b32 s10, exec_lo
	global_load_b32 v9, v[2:3], off
	s_wait_loadcnt 0x1
	v_subrev_nc_u32_e32 v5, s24, v5
	s_delay_alu instid0(VALU_DEP_1) | instskip(SKIP_4) | instid1(VALU_DEP_1)
	v_cmp_lt_i32_e32 vcc_lo, v1, v5
	s_wait_alu 0xfffd
	v_cndmask_b32_e32 v5, v4, v6, vcc_lo
	s_wait_loadcnt 0x0
	v_subrev_nc_u32_e32 v4, s24, v9
	v_cmpx_ne_u32_e64 v4, v5
	s_cbranch_execz .LBB24_77
; %bb.72:
	s_load_b32 s0, s[6:7], 0x0
	s_wait_kmcnt 0x0
	s_sub_co_i32 s0, s0, s24
	s_wait_alu 0xfffe
	v_cmp_gt_i32_e32 vcc_lo, s0, v1
	s_and_b32 exec_lo, exec_lo, vcc_lo
	s_cbranch_execz .LBB24_77
; %bb.73:
	v_ashrrev_i32_e32 v6, 31, v5
	ds_load_b64 v[14:15], v11
	v_cmp_le_i32_e64 s0, s23, v4
	v_lshlrev_b64_e32 v[5:6], 3, v[5:6]
	s_delay_alu instid0(VALU_DEP_1) | instskip(SKIP_1) | instid1(VALU_DEP_2)
	v_add_co_u32 v5, vcc_lo, s14, v5
	s_wait_alu 0xfffd
	v_add_co_ci_u32_e64 v6, null, s15, v6, vcc_lo
	v_cmp_gt_i32_e32 vcc_lo, s5, v4
	global_load_b64 v[12:13], v[5:6], off
	s_or_b32 s0, vcc_lo, s0
	s_wait_loadcnt_dscnt 0x0
	v_mul_f32_e64 v6, v13, -v15
	s_delay_alu instid0(VALU_DEP_1) | instskip(NEXT) | instid1(VALU_DEP_1)
	v_dual_mul_f32 v9, v13, v14 :: v_dual_fmac_f32 v6, v14, v12
	v_fmac_f32_e32 v9, v15, v12
	s_wait_alu 0xfffe
	s_and_saveexec_b32 s11, s0
	s_wait_alu 0xfffe
	s_xor_b32 s0, exec_lo, s11
	s_cbranch_execz .LBB24_75
; %bb.74:
	v_ashrrev_i32_e32 v5, 31, v4
	s_delay_alu instid0(VALU_DEP_1) | instskip(NEXT) | instid1(VALU_DEP_1)
	v_lshlrev_b64_e32 v[12:13], 3, v[4:5]
	v_add_co_u32 v12, vcc_lo, s20, v12
	s_wait_alu 0xfffd
	s_delay_alu instid0(VALU_DEP_2)
	v_add_co_ci_u32_e64 v13, null, s21, v13, vcc_lo
	s_clause 0x1
	global_atomic_add_f32 v[12:13], v6, off scope:SCOPE_DEV
	global_atomic_add_f32 v[12:13], v9, off offset:4 scope:SCOPE_DEV
                                        ; implicit-def: $vgpr6
                                        ; implicit-def: $vgpr9
.LBB24_75:
	s_wait_alu 0xfffe
	s_and_not1_saveexec_b32 s0, s0
	s_cbranch_execz .LBB24_77
; %bb.76:
	v_subrev_nc_u32_e32 v5, s5, v4
	s_delay_alu instid0(VALU_DEP_1)
	v_lshl_add_u32 v5, v5, 3, 0x2000
	ds_add_f32 v5, v6
	ds_add_f32 v5, v9 offset:4
.LBB24_77:
	s_wait_alu 0xfffe
	s_or_b32 exec_lo, exec_lo, s10
	v_ashrrev_i32_e32 v5, 31, v4
	ds_load_b64 v[12:13], v11
	v_cndmask_b32_e64 v9, 0, 1, s17
	v_add_nc_u32_e32 v6, 0x100, v1
	v_mov_b32_e32 v10, s22
	v_lshlrev_b64_e32 v[4:5], 3, v[4:5]
	s_delay_alu instid0(VALU_DEP_1) | instskip(SKIP_1) | instid1(VALU_DEP_2)
	v_add_co_u32 v4, vcc_lo, s14, v4
	s_wait_alu 0xfffd
	v_add_co_ci_u32_e64 v5, null, s15, v5, vcc_lo
	s_and_not1_b32 vcc_lo, exec_lo, s17
	global_load_b64 v[4:5], v[4:5], off
	s_wait_loadcnt_dscnt 0x0
	v_mul_f32_e64 v14, v5, -v13
	v_mul_f32_e32 v15, v5, v12
	s_delay_alu instid0(VALU_DEP_2) | instskip(NEXT) | instid1(VALU_DEP_2)
	v_fmac_f32_e32 v14, v12, v4
	v_dual_fmac_f32 v15, v13, v4 :: v_dual_mov_b32 v4, s13
	ds_store_b64 v11, v[14:15]
	s_wait_alu 0xfffe
	s_cbranch_vccnz .LBB24_81
; %bb.78:
	v_mov_b32_e32 v10, s22
	v_mov_b32_e32 v4, s13
	s_mov_b32 s10, 0
.LBB24_79:                              ; =>This Inner Loop Header: Depth=1
	s_delay_alu instid0(VALU_DEP_1) | instskip(NEXT) | instid1(VALU_DEP_1)
	v_add_nc_u32_e32 v5, v4, v10
	v_lshrrev_b32_e32 v12, 31, v5
	s_delay_alu instid0(VALU_DEP_1) | instskip(NEXT) | instid1(VALU_DEP_1)
	v_add_nc_u32_e32 v5, v5, v12
	v_ashrrev_i32_e32 v12, 1, v5
	s_delay_alu instid0(VALU_DEP_1) | instskip(NEXT) | instid1(VALU_DEP_1)
	v_ashrrev_i32_e32 v13, 31, v12
	v_lshlrev_b64_e32 v[13:14], 2, v[12:13]
	s_delay_alu instid0(VALU_DEP_1) | instskip(SKIP_1) | instid1(VALU_DEP_2)
	v_add_co_u32 v13, vcc_lo, s8, v13
	s_wait_alu 0xfffd
	v_add_co_ci_u32_e64 v14, null, s9, v14, vcc_lo
	global_load_b32 v5, v[13:14], off
	s_wait_loadcnt 0x0
	v_subrev_nc_u32_e32 v5, s24, v5
	s_delay_alu instid0(VALU_DEP_1) | instskip(SKIP_2) | instid1(VALU_DEP_1)
	v_cmp_lt_i32_e32 vcc_lo, v6, v5
	s_wait_alu 0xfffd
	v_cndmask_b32_e32 v4, v4, v12, vcc_lo
	v_dual_cndmask_b32 v10, v12, v10 :: v_dual_add_nc_u32 v5, -1, v4
	s_delay_alu instid0(VALU_DEP_1) | instskip(NEXT) | instid1(VALU_DEP_2)
	v_cmp_ge_i32_e32 vcc_lo, v10, v4
	v_cmp_eq_u32_e64 s0, v10, v5
	s_or_b32 s0, vcc_lo, s0
	s_wait_alu 0xfffe
	s_and_b32 s0, exec_lo, s0
	s_wait_alu 0xfffe
	s_or_b32 s10, s0, s10
	s_wait_alu 0xfffe
	s_and_not1_b32 exec_lo, exec_lo, s10
	s_cbranch_execnz .LBB24_79
; %bb.80:
	s_or_b32 exec_lo, exec_lo, s10
.LBB24_81:
	v_ashrrev_i32_e32 v5, 31, v4
	s_mov_b32 s10, exec_lo
	s_delay_alu instid0(VALU_DEP_1) | instskip(NEXT) | instid1(VALU_DEP_1)
	v_lshlrev_b64_e32 v[12:13], 2, v[4:5]
	v_add_co_u32 v12, vcc_lo, s8, v12
	s_wait_alu 0xfffd
	s_delay_alu instid0(VALU_DEP_2) | instskip(SKIP_4) | instid1(VALU_DEP_1)
	v_add_co_ci_u32_e64 v13, null, s9, v13, vcc_lo
	global_load_b32 v5, v[12:13], off
	global_load_b32 v12, v[2:3], off offset:1024
	s_wait_loadcnt 0x1
	v_subrev_nc_u32_e32 v5, s24, v5
	v_cmp_lt_i32_e32 vcc_lo, v6, v5
	s_wait_alu 0xfffd
	v_cndmask_b32_e32 v5, v4, v10, vcc_lo
	s_wait_loadcnt 0x0
	v_subrev_nc_u32_e32 v4, s24, v12
	s_delay_alu instid0(VALU_DEP_1)
	v_cmpx_ne_u32_e64 v4, v5
	s_cbranch_execz .LBB24_87
; %bb.82:
	s_load_b32 s0, s[6:7], 0x0
	s_wait_kmcnt 0x0
	s_sub_co_i32 s0, s0, s24
	s_wait_alu 0xfffe
	v_cmp_gt_i32_e32 vcc_lo, s0, v6
	s_and_b32 exec_lo, exec_lo, vcc_lo
	s_cbranch_execz .LBB24_87
; %bb.83:
	v_ashrrev_i32_e32 v6, 31, v5
	ds_load_b64 v[14:15], v11 offset:2048
	v_cmp_le_i32_e64 s0, s23, v4
	v_lshlrev_b64_e32 v[5:6], 3, v[5:6]
	s_delay_alu instid0(VALU_DEP_1) | instskip(SKIP_1) | instid1(VALU_DEP_2)
	v_add_co_u32 v5, vcc_lo, s14, v5
	s_wait_alu 0xfffd
	v_add_co_ci_u32_e64 v6, null, s15, v6, vcc_lo
	v_cmp_gt_i32_e32 vcc_lo, s5, v4
	global_load_b64 v[12:13], v[5:6], off
	s_or_b32 s0, vcc_lo, s0
	s_wait_loadcnt_dscnt 0x0
	v_mul_f32_e64 v6, v13, -v15
	v_mul_f32_e32 v10, v13, v14
	s_delay_alu instid0(VALU_DEP_2) | instskip(NEXT) | instid1(VALU_DEP_2)
	v_fmac_f32_e32 v6, v14, v12
	v_fmac_f32_e32 v10, v15, v12
	s_wait_alu 0xfffe
	s_and_saveexec_b32 s11, s0
	s_wait_alu 0xfffe
	s_xor_b32 s0, exec_lo, s11
	s_cbranch_execz .LBB24_85
; %bb.84:
	v_ashrrev_i32_e32 v5, 31, v4
	s_delay_alu instid0(VALU_DEP_1) | instskip(NEXT) | instid1(VALU_DEP_1)
	v_lshlrev_b64_e32 v[12:13], 3, v[4:5]
	v_add_co_u32 v12, vcc_lo, s20, v12
	s_wait_alu 0xfffd
	s_delay_alu instid0(VALU_DEP_2)
	v_add_co_ci_u32_e64 v13, null, s21, v13, vcc_lo
	s_clause 0x1
	global_atomic_add_f32 v[12:13], v6, off scope:SCOPE_DEV
	global_atomic_add_f32 v[12:13], v10, off offset:4 scope:SCOPE_DEV
                                        ; implicit-def: $vgpr6
                                        ; implicit-def: $vgpr10
.LBB24_85:
	s_wait_alu 0xfffe
	s_and_not1_saveexec_b32 s0, s0
	s_cbranch_execz .LBB24_87
; %bb.86:
	v_subrev_nc_u32_e32 v5, s5, v4
	s_delay_alu instid0(VALU_DEP_1)
	v_lshl_add_u32 v5, v5, 3, 0x2000
	ds_add_f32 v5, v6
	ds_add_f32 v5, v10 offset:4
.LBB24_87:
	s_wait_alu 0xfffe
	s_or_b32 exec_lo, exec_lo, s10
	v_ashrrev_i32_e32 v5, 31, v4
	ds_load_b64 v[12:13], v11 offset:2048
	v_mov_b32_e32 v6, s22
	v_lshlrev_b64_e32 v[4:5], 3, v[4:5]
	s_delay_alu instid0(VALU_DEP_1) | instskip(SKIP_1) | instid1(VALU_DEP_2)
	v_add_co_u32 v4, vcc_lo, s14, v4
	s_wait_alu 0xfffd
	v_add_co_ci_u32_e64 v5, null, s15, v5, vcc_lo
	v_cmp_ne_u32_e32 vcc_lo, 1, v9
	global_load_b64 v[4:5], v[4:5], off
	s_and_b32 vcc_lo, exec_lo, vcc_lo
	s_wait_loadcnt_dscnt 0x0
	v_mul_f32_e64 v14, v5, -v13
	v_mul_f32_e32 v15, v5, v12
	s_delay_alu instid0(VALU_DEP_2) | instskip(NEXT) | instid1(VALU_DEP_2)
	v_dual_fmac_f32 v14, v12, v4 :: v_dual_add_nc_u32 v1, 0x200, v1
	v_dual_fmac_f32 v15, v13, v4 :: v_dual_mov_b32 v4, s13
	ds_store_b64 v11, v[14:15] offset:2048
	s_wait_alu 0xfffe
	s_cbranch_vccnz .LBB24_91
; %bb.88:
	v_mov_b32_e32 v6, s22
	v_mov_b32_e32 v4, s13
	s_mov_b32 s10, 0
.LBB24_89:                              ; =>This Inner Loop Header: Depth=1
	s_delay_alu instid0(VALU_DEP_1) | instskip(NEXT) | instid1(VALU_DEP_1)
	v_add_nc_u32_e32 v5, v4, v6
	v_lshrrev_b32_e32 v10, 31, v5
	s_delay_alu instid0(VALU_DEP_1) | instskip(NEXT) | instid1(VALU_DEP_1)
	v_add_nc_u32_e32 v5, v5, v10
	v_ashrrev_i32_e32 v12, 1, v5
	s_delay_alu instid0(VALU_DEP_1) | instskip(NEXT) | instid1(VALU_DEP_1)
	v_ashrrev_i32_e32 v13, 31, v12
	v_lshlrev_b64_e32 v[13:14], 2, v[12:13]
	s_delay_alu instid0(VALU_DEP_1) | instskip(SKIP_1) | instid1(VALU_DEP_2)
	v_add_co_u32 v13, vcc_lo, s8, v13
	s_wait_alu 0xfffd
	v_add_co_ci_u32_e64 v14, null, s9, v14, vcc_lo
	global_load_b32 v5, v[13:14], off
	s_wait_loadcnt 0x0
	v_subrev_nc_u32_e32 v5, s24, v5
	s_delay_alu instid0(VALU_DEP_1) | instskip(SKIP_2) | instid1(VALU_DEP_1)
	v_cmp_lt_i32_e32 vcc_lo, v1, v5
	s_wait_alu 0xfffd
	v_cndmask_b32_e32 v4, v4, v12, vcc_lo
	v_dual_cndmask_b32 v6, v12, v6 :: v_dual_add_nc_u32 v5, -1, v4
	s_delay_alu instid0(VALU_DEP_1) | instskip(NEXT) | instid1(VALU_DEP_2)
	v_cmp_ge_i32_e32 vcc_lo, v6, v4
	v_cmp_eq_u32_e64 s0, v6, v5
	s_or_b32 s0, vcc_lo, s0
	s_wait_alu 0xfffe
	s_and_b32 s0, exec_lo, s0
	s_wait_alu 0xfffe
	s_or_b32 s10, s0, s10
	s_wait_alu 0xfffe
	s_and_not1_b32 exec_lo, exec_lo, s10
	s_cbranch_execnz .LBB24_89
; %bb.90:
	s_or_b32 exec_lo, exec_lo, s10
.LBB24_91:
	v_ashrrev_i32_e32 v5, 31, v4
	s_mov_b32 s10, exec_lo
	s_delay_alu instid0(VALU_DEP_1) | instskip(NEXT) | instid1(VALU_DEP_1)
	v_lshlrev_b64_e32 v[12:13], 2, v[4:5]
	v_add_co_u32 v12, vcc_lo, s8, v12
	s_wait_alu 0xfffd
	s_delay_alu instid0(VALU_DEP_2) | instskip(SKIP_4) | instid1(VALU_DEP_1)
	v_add_co_ci_u32_e64 v13, null, s9, v13, vcc_lo
	global_load_b32 v5, v[12:13], off
	global_load_b32 v10, v[2:3], off offset:2048
	s_wait_loadcnt 0x1
	v_subrev_nc_u32_e32 v5, s24, v5
	v_cmp_lt_i32_e32 vcc_lo, v1, v5
	s_wait_alu 0xfffd
	v_cndmask_b32_e32 v5, v4, v6, vcc_lo
	s_wait_loadcnt 0x0
	v_subrev_nc_u32_e32 v4, s24, v10
	s_delay_alu instid0(VALU_DEP_1)
	v_cmpx_ne_u32_e64 v4, v5
	s_cbranch_execz .LBB24_97
; %bb.92:
	s_load_b32 s0, s[6:7], 0x0
	s_wait_kmcnt 0x0
	s_sub_co_i32 s0, s0, s24
	s_wait_alu 0xfffe
	v_cmp_gt_i32_e32 vcc_lo, s0, v1
	s_and_b32 exec_lo, exec_lo, vcc_lo
	s_cbranch_execz .LBB24_97
; %bb.93:
	v_ashrrev_i32_e32 v6, 31, v5
	ds_load_b64 v[12:13], v11 offset:4096
	v_cmp_le_i32_e64 s0, s23, v4
	v_lshlrev_b64_e32 v[5:6], 3, v[5:6]
	s_delay_alu instid0(VALU_DEP_1) | instskip(SKIP_1) | instid1(VALU_DEP_2)
	v_add_co_u32 v5, vcc_lo, s14, v5
	s_wait_alu 0xfffd
	v_add_co_ci_u32_e64 v6, null, s15, v6, vcc_lo
	v_cmp_gt_i32_e32 vcc_lo, s5, v4
	global_load_b64 v[5:6], v[5:6], off
	s_or_b32 s0, vcc_lo, s0
	s_wait_loadcnt_dscnt 0x0
	v_mul_f32_e64 v1, v6, -v13
	s_delay_alu instid0(VALU_DEP_1) | instskip(NEXT) | instid1(VALU_DEP_1)
	v_dual_mul_f32 v6, v6, v12 :: v_dual_fmac_f32 v1, v12, v5
	v_fmac_f32_e32 v6, v13, v5
	s_wait_alu 0xfffe
	s_and_saveexec_b32 s11, s0
	s_wait_alu 0xfffe
	s_xor_b32 s0, exec_lo, s11
	s_cbranch_execz .LBB24_95
; %bb.94:
	v_ashrrev_i32_e32 v5, 31, v4
	s_delay_alu instid0(VALU_DEP_1) | instskip(NEXT) | instid1(VALU_DEP_1)
	v_lshlrev_b64_e32 v[12:13], 3, v[4:5]
	v_add_co_u32 v12, vcc_lo, s20, v12
	s_wait_alu 0xfffd
	s_delay_alu instid0(VALU_DEP_2)
	v_add_co_ci_u32_e64 v13, null, s21, v13, vcc_lo
	s_clause 0x1
	global_atomic_add_f32 v[12:13], v1, off scope:SCOPE_DEV
	global_atomic_add_f32 v[12:13], v6, off offset:4 scope:SCOPE_DEV
                                        ; implicit-def: $vgpr1
                                        ; implicit-def: $vgpr6
.LBB24_95:
	s_wait_alu 0xfffe
	s_and_not1_saveexec_b32 s0, s0
	s_cbranch_execz .LBB24_97
; %bb.96:
	v_subrev_nc_u32_e32 v5, s5, v4
	s_delay_alu instid0(VALU_DEP_1)
	v_lshl_add_u32 v5, v5, 3, 0x2000
	ds_add_f32 v5, v1
	ds_add_f32 v5, v6 offset:4
.LBB24_97:
	s_wait_alu 0xfffe
	s_or_b32 exec_lo, exec_lo, s10
	v_ashrrev_i32_e32 v5, 31, v4
	ds_load_b64 v[12:13], v11 offset:4096
	v_mov_b32_e32 v1, s22
	v_lshlrev_b64_e32 v[4:5], 3, v[4:5]
	s_delay_alu instid0(VALU_DEP_1) | instskip(SKIP_1) | instid1(VALU_DEP_2)
	v_add_co_u32 v4, vcc_lo, s14, v4
	s_wait_alu 0xfffd
	v_add_co_ci_u32_e64 v5, null, s15, v5, vcc_lo
	v_cmp_ne_u32_e32 vcc_lo, 1, v9
	global_load_b64 v[4:5], v[4:5], off
	s_and_b32 vcc_lo, exec_lo, vcc_lo
	s_wait_loadcnt_dscnt 0x0
	v_mul_f32_e64 v14, v5, -v13
	v_mul_f32_e32 v15, v5, v12
	s_delay_alu instid0(VALU_DEP_2) | instskip(NEXT) | instid1(VALU_DEP_2)
	v_fmac_f32_e32 v14, v12, v4
	v_dual_fmac_f32 v15, v13, v4 :: v_dual_mov_b32 v4, s13
	ds_store_b64 v11, v[14:15] offset:4096
	s_wait_alu 0xfffe
	s_cbranch_vccnz .LBB24_101
; %bb.98:
	v_dual_mov_b32 v1, s22 :: v_dual_mov_b32 v4, s13
	s_mov_b32 s10, 0
.LBB24_99:                              ; =>This Inner Loop Header: Depth=1
	s_delay_alu instid0(VALU_DEP_1) | instskip(NEXT) | instid1(VALU_DEP_1)
	v_add_nc_u32_e32 v5, v4, v1
	v_lshrrev_b32_e32 v6, 31, v5
	s_delay_alu instid0(VALU_DEP_1) | instskip(NEXT) | instid1(VALU_DEP_1)
	v_add_nc_u32_e32 v5, v5, v6
	v_ashrrev_i32_e32 v5, 1, v5
	s_delay_alu instid0(VALU_DEP_1) | instskip(NEXT) | instid1(VALU_DEP_1)
	v_ashrrev_i32_e32 v6, 31, v5
	v_lshlrev_b64_e32 v[9:10], 2, v[5:6]
	s_delay_alu instid0(VALU_DEP_1) | instskip(SKIP_1) | instid1(VALU_DEP_2)
	v_add_co_u32 v9, vcc_lo, s8, v9
	s_wait_alu 0xfffd
	v_add_co_ci_u32_e64 v10, null, s9, v10, vcc_lo
	global_load_b32 v6, v[9:10], off
	s_wait_loadcnt 0x0
	v_subrev_nc_u32_e32 v6, s24, v6
	s_delay_alu instid0(VALU_DEP_1) | instskip(SKIP_3) | instid1(VALU_DEP_2)
	v_cmp_lt_i32_e32 vcc_lo, v7, v6
	s_wait_alu 0xfffd
	v_cndmask_b32_e32 v4, v4, v5, vcc_lo
	v_cndmask_b32_e32 v1, v5, v1, vcc_lo
	v_add_nc_u32_e32 v5, -1, v4
	s_delay_alu instid0(VALU_DEP_2) | instskip(NEXT) | instid1(VALU_DEP_2)
	v_cmp_ge_i32_e32 vcc_lo, v1, v4
	v_cmp_eq_u32_e64 s0, v1, v5
	s_or_b32 s0, vcc_lo, s0
	s_wait_alu 0xfffe
	s_and_b32 s0, exec_lo, s0
	s_wait_alu 0xfffe
	s_or_b32 s10, s0, s10
	s_wait_alu 0xfffe
	s_and_not1_b32 exec_lo, exec_lo, s10
	s_cbranch_execnz .LBB24_99
; %bb.100:
	s_or_b32 exec_lo, exec_lo, s10
.LBB24_101:
	v_ashrrev_i32_e32 v5, 31, v4
	s_mov_b32 s10, exec_lo
	s_delay_alu instid0(VALU_DEP_1) | instskip(NEXT) | instid1(VALU_DEP_1)
	v_lshlrev_b64_e32 v[5:6], 2, v[4:5]
	v_add_co_u32 v5, vcc_lo, s8, v5
	s_wait_alu 0xfffd
	s_delay_alu instid0(VALU_DEP_2) | instskip(SKIP_4) | instid1(VALU_DEP_1)
	v_add_co_ci_u32_e64 v6, null, s9, v6, vcc_lo
	global_load_b32 v5, v[5:6], off
	global_load_b32 v3, v[2:3], off offset:3072
	s_wait_loadcnt 0x1
	v_subrev_nc_u32_e32 v2, s24, v5
	v_cmp_lt_i32_e32 vcc_lo, v7, v2
	s_wait_alu 0xfffd
	v_cndmask_b32_e32 v2, v4, v1, vcc_lo
	s_wait_loadcnt 0x0
	v_subrev_nc_u32_e32 v1, s24, v3
	s_delay_alu instid0(VALU_DEP_1)
	v_cmpx_ne_u32_e64 v1, v2
	s_cbranch_execz .LBB24_107
; %bb.102:
	s_load_b32 s0, s[6:7], 0x0
	s_wait_kmcnt 0x0
	s_sub_co_i32 s0, s0, s24
	s_wait_alu 0xfffe
	v_cmp_gt_i32_e32 vcc_lo, s0, v7
	s_and_b32 exec_lo, exec_lo, vcc_lo
	s_cbranch_execz .LBB24_107
; %bb.103:
	v_ashrrev_i32_e32 v3, 31, v2
	ds_load_b64 v[9:10], v11 offset:6144
	v_cmp_le_i32_e64 s0, s23, v1
	v_lshlrev_b64_e32 v[2:3], 3, v[2:3]
	s_delay_alu instid0(VALU_DEP_1) | instskip(SKIP_1) | instid1(VALU_DEP_2)
	v_add_co_u32 v2, vcc_lo, s14, v2
	s_wait_alu 0xfffd
	v_add_co_ci_u32_e64 v3, null, s15, v3, vcc_lo
	v_cmp_gt_i32_e32 vcc_lo, s5, v1
	global_load_b64 v[5:6], v[2:3], off
	s_or_b32 s0, vcc_lo, s0
	s_wait_loadcnt_dscnt 0x0
	v_mul_f32_e64 v3, v6, -v10
	v_mul_f32_e32 v4, v6, v9
	s_delay_alu instid0(VALU_DEP_2) | instskip(NEXT) | instid1(VALU_DEP_2)
	v_fmac_f32_e32 v3, v9, v5
	v_fmac_f32_e32 v4, v10, v5
	s_wait_alu 0xfffe
	s_and_saveexec_b32 s6, s0
	s_wait_alu 0xfffe
	s_xor_b32 s0, exec_lo, s6
	s_cbranch_execz .LBB24_105
; %bb.104:
	v_ashrrev_i32_e32 v2, 31, v1
	s_delay_alu instid0(VALU_DEP_1) | instskip(NEXT) | instid1(VALU_DEP_1)
	v_lshlrev_b64_e32 v[5:6], 3, v[1:2]
	v_add_co_u32 v5, vcc_lo, s20, v5
	s_wait_alu 0xfffd
	s_delay_alu instid0(VALU_DEP_2)
	v_add_co_ci_u32_e64 v6, null, s21, v6, vcc_lo
	s_clause 0x1
	global_atomic_add_f32 v[5:6], v3, off scope:SCOPE_DEV
	global_atomic_add_f32 v[5:6], v4, off offset:4 scope:SCOPE_DEV
                                        ; implicit-def: $vgpr3
                                        ; implicit-def: $vgpr4
.LBB24_105:
	s_wait_alu 0xfffe
	s_and_not1_saveexec_b32 s0, s0
	s_cbranch_execz .LBB24_107
; %bb.106:
	v_subrev_nc_u32_e32 v2, s5, v1
	s_delay_alu instid0(VALU_DEP_1)
	v_lshl_add_u32 v2, v2, 3, 0x2000
	ds_add_f32 v2, v3
	ds_add_f32 v2, v4 offset:4
.LBB24_107:
	s_wait_alu 0xfffe
	s_or_b32 exec_lo, exec_lo, s10
	v_ashrrev_i32_e32 v2, 31, v1
	ds_load_b64 v[3:4], v11 offset:6144
	v_lshlrev_b64_e32 v[1:2], 3, v[1:2]
	s_delay_alu instid0(VALU_DEP_1) | instskip(SKIP_1) | instid1(VALU_DEP_2)
	v_add_co_u32 v1, vcc_lo, s14, v1
	s_wait_alu 0xfffd
	v_add_co_ci_u32_e64 v2, null, s15, v2, vcc_lo
	global_load_b64 v[1:2], v[1:2], off
	s_wait_loadcnt_dscnt 0x0
	v_mul_f32_e64 v5, v2, -v4
	s_delay_alu instid0(VALU_DEP_1) | instskip(NEXT) | instid1(VALU_DEP_1)
	v_dual_mul_f32 v6, v2, v3 :: v_dual_fmac_f32 v5, v3, v1
	v_fmac_f32_e32 v6, v4, v1
	ds_store_b64 v11, v[5:6] offset:6144
.LBB24_108:
	s_wait_alu 0xfffe
	s_or_b32 exec_lo, exec_lo, s12
	s_min_i32 s6, s23, s18
	s_mov_b32 s7, exec_lo
	s_wait_alu 0xfffe
	s_sub_co_i32 s0, s6, s16
	s_wait_storecnt 0x0
	s_wait_loadcnt_dscnt 0x0
	s_barrier_signal -1
	s_barrier_wait -1
	global_inv scope:SCOPE_SE
	s_wait_alu 0xfffe
	v_cmpx_gt_i32_e64 s0, v0
	s_cbranch_execz .LBB24_111
; %bb.109:
	v_mov_b32_e32 v1, v0
	s_mov_b32 s10, 0
.LBB24_110:                             ; =>This Inner Loop Header: Depth=1
	s_delay_alu instid0(VALU_DEP_1) | instskip(SKIP_4) | instid1(VALU_DEP_1)
	v_add_nc_u32_e32 v2, s5, v1
	ds_load_2addr_b32 v[4:5], v8 offset1:1
	v_add_nc_u32_e32 v1, 0x100, v1
	v_add_nc_u32_e32 v8, 0x800, v8
	v_ashrrev_i32_e32 v3, 31, v2
	v_lshlrev_b64_e32 v[2:3], 3, v[2:3]
	s_delay_alu instid0(VALU_DEP_1) | instskip(SKIP_1) | instid1(VALU_DEP_2)
	v_add_co_u32 v2, vcc_lo, s20, v2
	s_wait_alu 0xfffd
	v_add_co_ci_u32_e64 v3, null, s21, v3, vcc_lo
	v_cmp_le_i32_e32 vcc_lo, s0, v1
	s_wait_dscnt 0x0
	s_clause 0x1
	global_atomic_add_f32 v[2:3], v4, off scope:SCOPE_DEV
	global_atomic_add_f32 v[2:3], v5, off offset:4 scope:SCOPE_DEV
	s_wait_alu 0xfffe
	s_or_b32 s10, vcc_lo, s10
	s_wait_alu 0xfffe
	s_and_not1_b32 exec_lo, exec_lo, s10
	s_cbranch_execnz .LBB24_110
.LBB24_111:
	s_or_b32 exec_lo, exec_lo, s7
	s_mul_i32 s5, s1, s16
	s_add_co_i32 s7, s1, 1
	s_wait_alu 0xfffe
	s_sub_co_i32 s5, s4, s5
	v_add_nc_u32_e32 v1, s22, v0
	s_wait_alu 0xfffe
	s_sub_co_i32 s10, s5, s16
	s_cmp_ge_u32 s5, s16
	s_wait_loadcnt 0x0
	s_wait_storecnt 0x0
	s_cselect_b32 s1, s7, s1
	s_wait_alu 0xfffe
	s_cselect_b32 s5, s10, s5
	s_add_co_i32 s7, s1, 1
	s_wait_alu 0xfffe
	s_cmp_ge_u32 s5, s16
	s_barrier_signal -1
	s_cselect_b32 s1, s7, s1
	s_barrier_wait -1
	s_wait_alu 0xfffe
	s_add_co_i32 s1, s1, -1
	global_inv scope:SCOPE_SE
	s_wait_alu 0xfffe
	s_ashr_i32 s5, s1, 1
	s_wait_alu 0xfffe
	s_or_b32 s1, s5, s1
	s_wait_alu 0xfffe
	s_ashr_i32 s5, s1, 2
	s_wait_alu 0xfffe
	s_or_b32 s1, s5, s1
	;; [unrolled: 4-line block ×5, first 2 shown]
	s_mov_b32 s5, -1
	s_wait_alu 0xfffe
	s_add_co_i32 s1, s1, 1
	s_wait_alu 0xfffe
	s_ashr_i32 s1, s1, 1
	s_wait_alu 0xfffe
	s_cmp_gt_i32 s1, 1
	s_cbranch_scc1 .LBB24_120
; %bb.112:
	s_mov_b32 s5, exec_lo
	v_cmpx_gt_i32_e64 s23, v1
	s_cbranch_execz .LBB24_119
; %bb.113:
	s_sub_co_i32 s6, s6, s23
	v_mov_b32_e32 v2, v1
	s_lshl_b32 s10, s19, 3
	s_wait_alu 0xfffe
	s_lshl_b32 s6, s6, 3
	s_mov_b32 s7, 0
	s_wait_alu 0xfffe
	s_addk_co_i32 s6, 0x2000
	s_sub_co_i32 s10, 0, s10
	s_branch .LBB24_115
.LBB24_114:                             ;   in Loop: Header=BB24_115 Depth=1
	s_wait_alu 0xfffe
	s_or_b32 exec_lo, exec_lo, s11
	v_lshl_add_u32 v4, v2, 3, s6
	v_lshlrev_b64_e32 v[8:9], 3, v[2:3]
	v_add_nc_u32_e32 v2, s4, v2
	ds_load_2addr_b32 v[4:5], v4 offset1:1
	v_add_co_u32 v3, vcc_lo, s20, v8
	s_wait_dscnt 0x0
	v_add_f32_e32 v7, v7, v4
	s_wait_alu 0xfffd
	v_add_co_ci_u32_e64 v4, null, s21, v9, vcc_lo
	v_add_f32_e32 v5, v6, v5
	s_clause 0x1
	global_atomic_add_f32 v[3:4], v7, off scope:SCOPE_DEV
	global_atomic_add_f32 v[3:4], v5, off offset:4 scope:SCOPE_DEV
	v_cmp_le_i32_e32 vcc_lo, s23, v2
	s_or_b32 s7, vcc_lo, s7
	s_wait_alu 0xfffe
	s_and_not1_b32 exec_lo, exec_lo, s7
	s_cbranch_execz .LBB24_119
.LBB24_115:                             ; =>This Loop Header: Depth=1
                                        ;     Child Loop BB24_117 Depth 2
	v_ashrrev_i32_e32 v3, 31, v2
	v_dual_mov_b32 v6, 0 :: v_dual_mov_b32 v7, 0
	s_mov_b32 s11, exec_lo
	s_delay_alu instid0(VALU_DEP_2) | instskip(NEXT) | instid1(VALU_DEP_1)
	v_lshlrev_b64_e32 v[4:5], 2, v[2:3]
	v_add_co_u32 v4, vcc_lo, s8, v4
	s_wait_alu 0xfffd
	s_delay_alu instid0(VALU_DEP_2)
	v_add_co_ci_u32_e64 v5, null, s9, v5, vcc_lo
	global_load_b64 v[4:5], v[4:5], off
	s_wait_loadcnt 0x0
	v_cmpx_lt_i32_e64 v4, v5
	s_cbranch_execz .LBB24_114
; %bb.116:                              ;   in Loop: Header=BB24_115 Depth=1
	v_subrev_nc_u32_e32 v5, s19, v5
	v_subrev_nc_u32_e32 v8, s19, v4
	s_wait_alu 0xfffe
	v_lshl_add_u32 v4, v4, 3, s10
	v_dual_mov_b32 v6, 0 :: v_dual_mov_b32 v7, 0
	s_mov_b32 s12, 0
.LBB24_117:                             ;   Parent Loop BB24_115 Depth=1
                                        ; =>  This Inner Loop Header: Depth=2
	ds_load_b64 v[9:10], v4
	v_add_nc_u32_e32 v8, 1, v8
	s_wait_dscnt 0x0
	v_dual_add_f32 v7, v7, v9 :: v_dual_add_nc_u32 v4, 8, v4
	s_delay_alu instid0(VALU_DEP_2)
	v_cmp_ge_i32_e32 vcc_lo, v8, v5
	v_add_f32_e32 v6, v6, v10
	s_wait_alu 0xfffe
	s_or_b32 s12, vcc_lo, s12
	s_wait_alu 0xfffe
	s_and_not1_b32 exec_lo, exec_lo, s12
	s_cbranch_execnz .LBB24_117
; %bb.118:                              ;   in Loop: Header=BB24_115 Depth=1
	s_or_b32 exec_lo, exec_lo, s12
	s_branch .LBB24_114
.LBB24_119:
	s_wait_alu 0xfffe
	s_or_b32 exec_lo, exec_lo, s5
	s_mov_b32 s5, 0
.LBB24_120:
	s_wait_alu 0xfffe
	s_and_not1_b32 vcc_lo, exec_lo, s5
	s_wait_alu 0xfffe
	s_cbranch_vccnz .LBB24_133
; %bb.121:
	s_cvt_f32_u32 s4, s1
	s_sub_co_i32 s5, 0, s1
	s_wait_alu 0xfffe
	s_delay_alu instid0(SALU_CYCLE_1) | instskip(NEXT) | instid1(TRANS32_DEP_1)
	v_rcp_iflag_f32_e32 v2, s4
	v_readfirstlane_b32 s4, v2
	s_mul_f32 s4, s4, 0x4f7ffffe
	s_wait_alu 0xfffe
	s_delay_alu instid0(SALU_CYCLE_2) | instskip(SKIP_1) | instid1(SALU_CYCLE_2)
	s_cvt_u32_f32 s4, s4
	s_wait_alu 0xfffe
	s_mul_i32 s5, s5, s4
	s_wait_alu 0xfffe
	s_mul_hi_u32 s5, s4, s5
	s_wait_alu 0xfffe
	s_add_co_i32 s4, s4, s5
	s_wait_alu 0xfffe
	v_mul_hi_u32 v2, v0, s4
	s_delay_alu instid0(VALU_DEP_1) | instskip(NEXT) | instid1(VALU_DEP_1)
	v_mul_lo_u32 v3, v2, s1
	v_sub_nc_u32_e32 v3, v0, v3
	s_delay_alu instid0(VALU_DEP_1) | instskip(SKIP_2) | instid1(VALU_DEP_2)
	v_subrev_nc_u32_e32 v5, s1, v3
	v_cmp_le_u32_e32 vcc_lo, s1, v3
	s_wait_alu 0xfffd
	v_dual_cndmask_b32 v3, v3, v5 :: v_dual_add_nc_u32 v4, 1, v2
	s_delay_alu instid0(VALU_DEP_1) | instskip(NEXT) | instid1(VALU_DEP_2)
	v_cndmask_b32_e32 v2, v2, v4, vcc_lo
	v_cmp_le_u32_e32 vcc_lo, s1, v3
	s_delay_alu instid0(VALU_DEP_2) | instskip(SKIP_1) | instid1(VALU_DEP_1)
	v_add_nc_u32_e32 v4, 1, v2
	s_wait_alu 0xfffd
	v_cndmask_b32_e32 v2, v2, v4, vcc_lo
	s_delay_alu instid0(VALU_DEP_1)
	v_lshlrev_b32_e32 v3, 2, v2
	v_cmp_gt_i32_e32 vcc_lo, s16, v2
	v_mov_b32_e32 v2, 0
	global_load_b64 v[4:5], v3, s[2:3]
	s_abs_i32 s3, s1
	s_wait_alu 0xfffe
	s_cvt_f32_u32 s2, s3
	s_wait_alu 0xfffe
	s_delay_alu instid0(SALU_CYCLE_2) | instskip(NEXT) | instid1(TRANS32_DEP_1)
	v_rcp_iflag_f32_e32 v3, s2
	v_readfirstlane_b32 s4, v3
	v_mov_b32_e32 v3, 0
	s_and_saveexec_b32 s2, vcc_lo
	s_cbranch_execz .LBB24_129
; %bb.122:
	s_wait_loadcnt 0x0
	v_subrev_nc_u32_e32 v4, s19, v4
	v_subrev_nc_u32_e32 v6, s19, v5
	s_mul_f32 s4, s4, 0x4f7ffffe
	s_sub_co_i32 s5, 0, s3
	s_wait_alu 0xfffe
	s_delay_alu instid0(SALU_CYCLE_1) | instskip(SKIP_2) | instid1(SALU_CYCLE_1)
	s_cvt_u32_f32 s4, s4
	v_sub_nc_u32_e32 v5, v6, v4
	s_wait_alu 0xfffe
	s_mul_i32 s5, s5, s4
	s_delay_alu instid0(VALU_DEP_1)
	v_sub_nc_u32_e32 v2, 0, v5
	s_wait_alu 0xfffe
	s_mul_hi_u32 s5, s4, s5
	s_wait_alu 0xfffe
	s_add_co_i32 s4, s4, s5
	v_max_i32_e32 v7, v5, v2
	v_ashrrev_i32_e32 v5, 31, v5
	s_wait_alu 0xfffe
	s_delay_alu instid0(VALU_DEP_2) | instskip(SKIP_4) | instid1(VALU_DEP_1)
	v_mad_co_u64_u32 v[2:3], null, v7, s4, 0
	s_ashr_i32 s4, s1, 31
	s_wait_alu 0xfffe
	v_xor_b32_e32 v5, s4, v5
	v_mul_lo_u32 v2, v3, s3
	v_sub_nc_u32_e32 v2, v7, v2
	s_delay_alu instid0(VALU_DEP_1) | instskip(SKIP_2) | instid1(VALU_DEP_2)
	v_subrev_nc_u32_e32 v8, s3, v2
	v_cmp_le_u32_e32 vcc_lo, s3, v2
	s_wait_alu 0xfffd
	v_dual_cndmask_b32 v2, v2, v8 :: v_dual_add_nc_u32 v7, 1, v3
	s_delay_alu instid0(VALU_DEP_1) | instskip(NEXT) | instid1(VALU_DEP_2)
	v_cndmask_b32_e32 v3, v3, v7, vcc_lo
	v_cmp_le_u32_e32 vcc_lo, s3, v2
	s_add_co_i32 s3, s1, -1
	s_wait_alu 0xfffe
	v_and_b32_e32 v8, s3, v0
	v_add_nc_u32_e32 v7, 1, v3
	s_mov_b32 s3, exec_lo
	s_wait_alu 0xfffd
	s_delay_alu instid0(VALU_DEP_1) | instskip(SKIP_1) | instid1(VALU_DEP_2)
	v_dual_cndmask_b32 v2, v3, v7 :: v_dual_mov_b32 v3, 0
	v_lshlrev_b32_e32 v7, 3, v8
	v_xor_b32_e32 v2, v2, v5
	s_delay_alu instid0(VALU_DEP_1) | instskip(SKIP_1) | instid1(VALU_DEP_2)
	v_sub_nc_u32_e32 v5, v2, v5
	v_mov_b32_e32 v2, 0
	v_cmpx_lt_i32_e32 0, v5
	s_cbranch_execz .LBB24_126
; %bb.123:
	v_dual_mov_b32 v3, 0 :: v_dual_mov_b32 v10, v5
	v_lshl_add_u32 v9, v4, 3, v7
	s_lshl_b32 s5, s1, 3
	s_mov_b32 s4, 0
	s_delay_alu instid0(VALU_DEP_2)
	v_mov_b32_e32 v2, v3
.LBB24_124:                             ; =>This Inner Loop Header: Depth=1
	ds_load_b64 v[12:13], v9
	v_add_nc_u32_e32 v10, -1, v10
	s_wait_dscnt 0x0
	s_wait_alu 0xfffe
	v_dual_add_f32 v2, v2, v12 :: v_dual_add_nc_u32 v9, s5, v9
	v_add_f32_e32 v3, v3, v13
	v_cmp_eq_u32_e32 vcc_lo, 0, v10
	s_or_b32 s4, vcc_lo, s4
	s_wait_alu 0xfffe
	s_and_not1_b32 exec_lo, exec_lo, s4
	s_cbranch_execnz .LBB24_124
; %bb.125:
	s_or_b32 exec_lo, exec_lo, s4
.LBB24_126:
	s_wait_alu 0xfffe
	s_or_b32 exec_lo, exec_lo, s3
	v_mad_co_u64_u32 v[4:5], null, v5, s1, v[4:5]
	s_mov_b32 s3, exec_lo
	v_sub_nc_u32_e32 v5, v6, v4
	s_delay_alu instid0(VALU_DEP_1)
	v_cmpx_lt_i32_e64 v8, v5
	s_cbranch_execz .LBB24_128
; %bb.127:
	v_lshl_add_u32 v4, v4, 3, v7
	ds_load_b64 v[4:5], v4
	s_wait_dscnt 0x0
	v_dual_add_f32 v2, v2, v4 :: v_dual_add_f32 v3, v3, v5
.LBB24_128:
	s_wait_alu 0xfffe
	s_or_b32 exec_lo, exec_lo, s3
.LBB24_129:
	s_wait_alu 0xfffe
	s_or_b32 exec_lo, exec_lo, s2
	v_cmp_gt_i32_e32 vcc_lo, s16, v0
	s_wait_loadcnt 0x0
	s_wait_storecnt 0x0
	s_barrier_signal -1
	s_barrier_wait -1
	global_inv scope:SCOPE_SE
	ds_store_b64 v11, v[2:3]
	s_wait_loadcnt_dscnt 0x0
	s_barrier_signal -1
	s_barrier_wait -1
	global_inv scope:SCOPE_SE
	s_and_b32 exec_lo, exec_lo, vcc_lo
	s_cbranch_execz .LBB24_133
; %bb.130:
	v_mul_lo_u32 v2, s1, v0
	v_dual_mov_b32 v3, 0 :: v_dual_mov_b32 v4, 0
	s_delay_alu instid0(VALU_DEP_2)
	v_lshlrev_b32_e32 v2, 3, v2
.LBB24_131:                             ; =>This Inner Loop Header: Depth=1
	ds_load_b64 v[5:6], v2
	v_add_nc_u32_e32 v2, 8, v2
	s_add_co_i32 s1, s1, -1
	s_wait_alu 0xfffe
	s_cmp_eq_u32 s1, 0
	s_wait_dscnt 0x0
	v_dual_add_f32 v4, v4, v5 :: v_dual_add_f32 v3, v3, v6
	s_cbranch_scc0 .LBB24_131
; %bb.132:
	v_lshlrev_b32_e32 v0, 3, v0
	s_lshl_b32 s0, s0, 3
	v_ashrrev_i32_e32 v2, 31, v1
	s_wait_alu 0xfffe
	s_delay_alu instid0(VALU_DEP_2) | instskip(SKIP_2) | instid1(VALU_DEP_1)
	v_add3_u32 v0, 0x2000, s0, v0
	ds_load_2addr_b32 v[5:6], v0 offset1:1
	v_lshlrev_b64_e32 v[0:1], 3, v[1:2]
	v_add_co_u32 v0, vcc_lo, s20, v0
	s_wait_alu 0xfffd
	s_delay_alu instid0(VALU_DEP_2)
	v_add_co_ci_u32_e64 v1, null, s21, v1, vcc_lo
	s_wait_dscnt 0x0
	v_dual_add_f32 v2, v4, v5 :: v_dual_add_f32 v3, v3, v6
	s_clause 0x1
	global_atomic_add_f32 v[0:1], v2, off scope:SCOPE_DEV
	global_atomic_add_f32 v[0:1], v3, off offset:4 scope:SCOPE_DEV
.LBB24_133:
	s_endpgm
	.section	.rodata,"a",@progbits
	.p2align	6, 0x0
	.amdhsa_kernel _ZN9rocsparseL27csrmvn_symm_adaptive_kernelIii21rocsparse_complex_numIfES2_S2_S2_EEvbT_S3_PKS3_NS_24const_host_device_scalarIT4_EES5_PKT0_PKT1_PKT2_S8_PT3_21rocsparse_index_base_b
		.amdhsa_group_segment_fixed_size 8192
		.amdhsa_private_segment_fixed_size 0
		.amdhsa_kernarg_size 344
		.amdhsa_user_sgpr_count 2
		.amdhsa_user_sgpr_dispatch_ptr 0
		.amdhsa_user_sgpr_queue_ptr 0
		.amdhsa_user_sgpr_kernarg_segment_ptr 1
		.amdhsa_user_sgpr_dispatch_id 0
		.amdhsa_user_sgpr_private_segment_size 0
		.amdhsa_wavefront_size32 1
		.amdhsa_uses_dynamic_stack 0
		.amdhsa_enable_private_segment 0
		.amdhsa_system_sgpr_workgroup_id_x 1
		.amdhsa_system_sgpr_workgroup_id_y 0
		.amdhsa_system_sgpr_workgroup_id_z 0
		.amdhsa_system_sgpr_workgroup_info 0
		.amdhsa_system_vgpr_workitem_id 0
		.amdhsa_next_free_vgpr 21
		.amdhsa_next_free_sgpr 32
		.amdhsa_reserve_vcc 1
		.amdhsa_float_round_mode_32 0
		.amdhsa_float_round_mode_16_64 0
		.amdhsa_float_denorm_mode_32 3
		.amdhsa_float_denorm_mode_16_64 3
		.amdhsa_fp16_overflow 0
		.amdhsa_workgroup_processor_mode 1
		.amdhsa_memory_ordered 1
		.amdhsa_forward_progress 1
		.amdhsa_inst_pref_size 66
		.amdhsa_round_robin_scheduling 0
		.amdhsa_exception_fp_ieee_invalid_op 0
		.amdhsa_exception_fp_denorm_src 0
		.amdhsa_exception_fp_ieee_div_zero 0
		.amdhsa_exception_fp_ieee_overflow 0
		.amdhsa_exception_fp_ieee_underflow 0
		.amdhsa_exception_fp_ieee_inexact 0
		.amdhsa_exception_int_div_zero 0
	.end_amdhsa_kernel
	.section	.text._ZN9rocsparseL27csrmvn_symm_adaptive_kernelIii21rocsparse_complex_numIfES2_S2_S2_EEvbT_S3_PKS3_NS_24const_host_device_scalarIT4_EES5_PKT0_PKT1_PKT2_S8_PT3_21rocsparse_index_base_b,"axG",@progbits,_ZN9rocsparseL27csrmvn_symm_adaptive_kernelIii21rocsparse_complex_numIfES2_S2_S2_EEvbT_S3_PKS3_NS_24const_host_device_scalarIT4_EES5_PKT0_PKT1_PKT2_S8_PT3_21rocsparse_index_base_b,comdat
.Lfunc_end24:
	.size	_ZN9rocsparseL27csrmvn_symm_adaptive_kernelIii21rocsparse_complex_numIfES2_S2_S2_EEvbT_S3_PKS3_NS_24const_host_device_scalarIT4_EES5_PKT0_PKT1_PKT2_S8_PT3_21rocsparse_index_base_b, .Lfunc_end24-_ZN9rocsparseL27csrmvn_symm_adaptive_kernelIii21rocsparse_complex_numIfES2_S2_S2_EEvbT_S3_PKS3_NS_24const_host_device_scalarIT4_EES5_PKT0_PKT1_PKT2_S8_PT3_21rocsparse_index_base_b
                                        ; -- End function
	.set _ZN9rocsparseL27csrmvn_symm_adaptive_kernelIii21rocsparse_complex_numIfES2_S2_S2_EEvbT_S3_PKS3_NS_24const_host_device_scalarIT4_EES5_PKT0_PKT1_PKT2_S8_PT3_21rocsparse_index_base_b.num_vgpr, 21
	.set _ZN9rocsparseL27csrmvn_symm_adaptive_kernelIii21rocsparse_complex_numIfES2_S2_S2_EEvbT_S3_PKS3_NS_24const_host_device_scalarIT4_EES5_PKT0_PKT1_PKT2_S8_PT3_21rocsparse_index_base_b.num_agpr, 0
	.set _ZN9rocsparseL27csrmvn_symm_adaptive_kernelIii21rocsparse_complex_numIfES2_S2_S2_EEvbT_S3_PKS3_NS_24const_host_device_scalarIT4_EES5_PKT0_PKT1_PKT2_S8_PT3_21rocsparse_index_base_b.numbered_sgpr, 32
	.set _ZN9rocsparseL27csrmvn_symm_adaptive_kernelIii21rocsparse_complex_numIfES2_S2_S2_EEvbT_S3_PKS3_NS_24const_host_device_scalarIT4_EES5_PKT0_PKT1_PKT2_S8_PT3_21rocsparse_index_base_b.num_named_barrier, 0
	.set _ZN9rocsparseL27csrmvn_symm_adaptive_kernelIii21rocsparse_complex_numIfES2_S2_S2_EEvbT_S3_PKS3_NS_24const_host_device_scalarIT4_EES5_PKT0_PKT1_PKT2_S8_PT3_21rocsparse_index_base_b.private_seg_size, 0
	.set _ZN9rocsparseL27csrmvn_symm_adaptive_kernelIii21rocsparse_complex_numIfES2_S2_S2_EEvbT_S3_PKS3_NS_24const_host_device_scalarIT4_EES5_PKT0_PKT1_PKT2_S8_PT3_21rocsparse_index_base_b.uses_vcc, 1
	.set _ZN9rocsparseL27csrmvn_symm_adaptive_kernelIii21rocsparse_complex_numIfES2_S2_S2_EEvbT_S3_PKS3_NS_24const_host_device_scalarIT4_EES5_PKT0_PKT1_PKT2_S8_PT3_21rocsparse_index_base_b.uses_flat_scratch, 0
	.set _ZN9rocsparseL27csrmvn_symm_adaptive_kernelIii21rocsparse_complex_numIfES2_S2_S2_EEvbT_S3_PKS3_NS_24const_host_device_scalarIT4_EES5_PKT0_PKT1_PKT2_S8_PT3_21rocsparse_index_base_b.has_dyn_sized_stack, 0
	.set _ZN9rocsparseL27csrmvn_symm_adaptive_kernelIii21rocsparse_complex_numIfES2_S2_S2_EEvbT_S3_PKS3_NS_24const_host_device_scalarIT4_EES5_PKT0_PKT1_PKT2_S8_PT3_21rocsparse_index_base_b.has_recursion, 0
	.set _ZN9rocsparseL27csrmvn_symm_adaptive_kernelIii21rocsparse_complex_numIfES2_S2_S2_EEvbT_S3_PKS3_NS_24const_host_device_scalarIT4_EES5_PKT0_PKT1_PKT2_S8_PT3_21rocsparse_index_base_b.has_indirect_call, 0
	.section	.AMDGPU.csdata,"",@progbits
; Kernel info:
; codeLenInByte = 8384
; TotalNumSgprs: 34
; NumVgprs: 21
; ScratchSize: 0
; MemoryBound: 0
; FloatMode: 240
; IeeeMode: 1
; LDSByteSize: 8192 bytes/workgroup (compile time only)
; SGPRBlocks: 0
; VGPRBlocks: 2
; NumSGPRsForWavesPerEU: 34
; NumVGPRsForWavesPerEU: 21
; Occupancy: 16
; WaveLimiterHint : 1
; COMPUTE_PGM_RSRC2:SCRATCH_EN: 0
; COMPUTE_PGM_RSRC2:USER_SGPR: 2
; COMPUTE_PGM_RSRC2:TRAP_HANDLER: 0
; COMPUTE_PGM_RSRC2:TGID_X_EN: 1
; COMPUTE_PGM_RSRC2:TGID_Y_EN: 0
; COMPUTE_PGM_RSRC2:TGID_Z_EN: 0
; COMPUTE_PGM_RSRC2:TIDIG_COMP_CNT: 0
	.section	.text._ZL33csrmvn_symm_large_adaptive_kernelIii21rocsparse_complex_numIfES1_S1_S1_EvbT_PKS2_N9rocsparse24const_host_device_scalarIT4_EES4_PKT0_PKT1_PKT2_S8_PT3_21rocsparse_index_base_b,"axG",@progbits,_ZL33csrmvn_symm_large_adaptive_kernelIii21rocsparse_complex_numIfES1_S1_S1_EvbT_PKS2_N9rocsparse24const_host_device_scalarIT4_EES4_PKT0_PKT1_PKT2_S8_PT3_21rocsparse_index_base_b,comdat
	.globl	_ZL33csrmvn_symm_large_adaptive_kernelIii21rocsparse_complex_numIfES1_S1_S1_EvbT_PKS2_N9rocsparse24const_host_device_scalarIT4_EES4_PKT0_PKT1_PKT2_S8_PT3_21rocsparse_index_base_b ; -- Begin function _ZL33csrmvn_symm_large_adaptive_kernelIii21rocsparse_complex_numIfES1_S1_S1_EvbT_PKS2_N9rocsparse24const_host_device_scalarIT4_EES4_PKT0_PKT1_PKT2_S8_PT3_21rocsparse_index_base_b
	.p2align	8
	.type	_ZL33csrmvn_symm_large_adaptive_kernelIii21rocsparse_complex_numIfES1_S1_S1_EvbT_PKS2_N9rocsparse24const_host_device_scalarIT4_EES4_PKT0_PKT1_PKT2_S8_PT3_21rocsparse_index_base_b,@function
_ZL33csrmvn_symm_large_adaptive_kernelIii21rocsparse_complex_numIfES1_S1_S1_EvbT_PKS2_N9rocsparse24const_host_device_scalarIT4_EES4_PKT0_PKT1_PKT2_S8_PT3_21rocsparse_index_base_b: ; @_ZL33csrmvn_symm_large_adaptive_kernelIii21rocsparse_complex_numIfES1_S1_S1_EvbT_PKS2_N9rocsparse24const_host_device_scalarIT4_EES4_PKT0_PKT1_PKT2_S8_PT3_21rocsparse_index_base_b
; %bb.0:
	s_clause 0x1
	s_load_b64 s[6:7], s[0:1], 0x48
	s_load_b64 s[4:5], s[0:1], 0x10
	s_add_nc_u64 s[8:9], s[0:1], 16
	s_wait_kmcnt 0x0
	s_bitcmp1_b32 s7, 0
	s_cselect_b32 s3, -1, 0
	s_delay_alu instid0(SALU_CYCLE_1) | instskip(SKIP_2) | instid1(SALU_CYCLE_1)
	s_and_b32 s2, s3, exec_lo
	s_cselect_b32 s2, s8, s4
	s_cselect_b32 s4, s9, s5
	v_dual_mov_b32 v1, s2 :: v_dual_mov_b32 v2, s4
	flat_load_b64 v[1:2], v[1:2]
	s_wait_loadcnt_dscnt 0x0
	v_cmp_eq_f32_e32 vcc_lo, 0, v1
	v_cmp_eq_f32_e64 s2, 0, v2
	s_and_b32 s5, vcc_lo, s2
	s_mov_b32 s2, -1
	s_wait_alu 0xfffe
	s_and_saveexec_b32 s4, s5
	s_cbranch_execz .LBB25_2
; %bb.1:
	s_load_b64 s[8:9], s[0:1], 0x38
	s_add_nc_u64 s[10:11], s[0:1], 56
	s_and_b32 s2, s3, exec_lo
	s_wait_kmcnt 0x0
	s_cselect_b32 s2, s10, s8
	s_cselect_b32 s3, s11, s9
	s_wait_alu 0xfffe
	v_dual_mov_b32 v3, s2 :: v_dual_mov_b32 v4, s3
	flat_load_b64 v[3:4], v[3:4]
	s_wait_loadcnt_dscnt 0x0
	v_cmp_neq_f32_e32 vcc_lo, 1.0, v3
	v_cmp_neq_f32_e64 s2, 0, v4
	s_or_b32 s2, vcc_lo, s2
	s_wait_alu 0xfffe
	s_or_not1_b32 s2, s2, exec_lo
.LBB25_2:
	s_wait_alu 0xfffe
	s_or_b32 exec_lo, exec_lo, s4
	s_and_saveexec_b32 s3, s2
	s_cbranch_execz .LBB25_36
; %bb.3:
	s_clause 0x1
	s_load_b32 s3, s[0:1], 0x0
	s_load_b64 s[4:5], s[0:1], 0x8
	s_mov_b32 s8, 0
	s_mov_b32 s2, ttmp9
	s_mov_b32 s9, s8
	v_dual_mov_b32 v3, s8 :: v_dual_lshlrev_b32 v10, 3, v0
	v_mov_b32_e32 v4, s9
	v_subrev_nc_u32_e32 v11, s6, v0
	ds_store_2addr_stride64_b64 v10, v[3:4], v[3:4] offset1:4
	ds_store_2addr_stride64_b64 v10, v[3:4], v[3:4] offset0:8 offset1:12
	s_wait_dscnt 0x0
	s_barrier_signal -1
	s_barrier_wait -1
	global_inv scope:SCOPE_SE
	s_wait_kmcnt 0x0
	s_bitcmp1_b32 s3, 0
	s_cselect_b32 s7, -1, 0
	s_ashr_i32 s3, ttmp9, 31
	s_wait_alu 0xfffe
	s_lshl_b64 s[2:3], s[2:3], 2
	s_wait_alu 0xfffe
	s_add_nc_u64 s[2:3], s[4:5], s[2:3]
	s_load_b64 s[16:17], s[2:3], 0x0
	s_clause 0x1
	s_load_b256 s[8:15], s[0:1], 0x18
	s_load_b64 s[18:19], s[0:1], 0x40
	s_wait_kmcnt 0x0
	s_cmp_ge_i32 s16, s17
	s_cbranch_scc1 .LBB25_27
; %bb.4:
	v_cmp_gt_u32_e32 vcc_lo, 64, v0
	v_cmp_gt_u32_e64 s0, 16, v0
	v_cmp_gt_u32_e64 s1, 4, v0
	v_cmp_eq_u32_e64 s2, 0, v0
	v_mov_b32_e32 v0, 0
	s_add_nc_u64 s[20:21], s[12:13], 4
	s_mov_b32 s22, s16
	s_branch .LBB25_6
.LBB25_5:                               ;   in Loop: Header=BB25_6 Depth=1
	s_wait_alu 0xfffe
	s_or_b32 exec_lo, exec_lo, s24
	s_add_co_i32 s22, s22, 1
	s_wait_alu 0xfffe
	s_cmp_ge_i32 s22, s17
	s_cbranch_scc1 .LBB25_27
.LBB25_6:                               ; =>This Loop Header: Depth=1
                                        ;     Child Loop BB25_8 Depth 2
                                        ;     Child Loop BB25_20 Depth 2
	;; [unrolled: 1-line block ×3, first 2 shown]
	s_ashr_i32 s23, s22, 31
	v_mov_b32_e32 v5, 0
	s_wait_alu 0xfffe
	s_lshl_b64 s[4:5], s[22:23], 2
	v_mov_b32_e32 v4, 0
	s_wait_alu 0xfffe
	s_add_nc_u64 s[4:5], s[8:9], s[4:5]
	s_load_b64 s[4:5], s[4:5], 0x0
	s_wait_kmcnt 0x0
	v_add_nc_u32_e32 v3, s4, v11
	s_sub_co_i32 s24, s5, s6
	s_mov_b32 s5, exec_lo
	s_wait_alu 0xfffe
	s_delay_alu instid0(VALU_DEP_1)
	v_cmpx_gt_i32_e64 s24, v3
	s_cbranch_execz .LBB25_10
; %bb.7:                                ;   in Loop: Header=BB25_6 Depth=1
	v_ashrrev_i32_e32 v4, 31, v3
	v_mov_b32_e32 v5, 0
	s_mov_b32 s25, 0
	s_delay_alu instid0(VALU_DEP_2) | instskip(SKIP_1) | instid1(VALU_DEP_3)
	v_lshlrev_b64_e32 v[6:7], 2, v[3:4]
	v_lshlrev_b64_e32 v[8:9], 3, v[3:4]
	v_mov_b32_e32 v4, v5
	s_delay_alu instid0(VALU_DEP_3) | instskip(SKIP_1) | instid1(VALU_DEP_4)
	v_add_co_u32 v6, s3, s10, v6
	s_wait_alu 0xf1ff
	v_add_co_ci_u32_e64 v7, null, s11, v7, s3
	s_delay_alu instid0(VALU_DEP_4)
	v_add_co_u32 v8, s3, s20, v8
	s_wait_alu 0xf1ff
	v_add_co_ci_u32_e64 v9, null, s21, v9, s3
.LBB25_8:                               ;   Parent Loop BB25_6 Depth=1
                                        ; =>  This Inner Loop Header: Depth=2
	global_load_b32 v12, v[6:7], off
	global_load_b64 v[14:15], v[8:9], off offset:-4
	s_wait_loadcnt 0x1
	v_subrev_nc_u32_e32 v12, s6, v12
	s_wait_loadcnt 0x0
	v_cndmask_b32_e64 v15, v15, -v15, s7
	s_delay_alu instid0(VALU_DEP_2) | instskip(NEXT) | instid1(VALU_DEP_1)
	v_ashrrev_i32_e32 v13, 31, v12
	v_lshlrev_b64_e32 v[12:13], 3, v[12:13]
	s_delay_alu instid0(VALU_DEP_1) | instskip(SKIP_1) | instid1(VALU_DEP_2)
	v_add_co_u32 v12, s3, s14, v12
	s_wait_alu 0xf1ff
	v_add_co_ci_u32_e64 v13, null, s15, v13, s3
	v_add_co_u32 v6, s3, 0x400, v6
	s_wait_alu 0xf1ff
	v_add_co_ci_u32_e64 v7, null, 0, v7, s3
	global_load_b64 v[12:13], v[12:13], off
	v_add_nc_u32_e32 v3, 0x100, v3
	v_add_co_u32 v8, s3, 0x800, v8
	s_wait_alu 0xf1ff
	v_add_co_ci_u32_e64 v9, null, 0, v9, s3
	s_wait_loadcnt 0x0
	v_fmac_f32_e32 v4, v14, v12
	v_fmac_f32_e32 v5, v15, v12
	v_cmp_le_i32_e64 s4, s24, v3
	s_delay_alu instid0(VALU_DEP_3) | instskip(NEXT) | instid1(VALU_DEP_3)
	v_fma_f32 v4, -v15, v13, v4
	v_fmac_f32_e32 v5, v14, v13
	s_wait_alu 0xfffe
	s_or_b32 s25, s4, s25
	s_wait_alu 0xfffe
	s_and_not1_b32 exec_lo, exec_lo, s25
	s_cbranch_execnz .LBB25_8
; %bb.9:                                ;   in Loop: Header=BB25_6 Depth=1
	s_or_b32 exec_lo, exec_lo, s25
.LBB25_10:                              ;   in Loop: Header=BB25_6 Depth=1
	s_wait_alu 0xfffe
	s_or_b32 exec_lo, exec_lo, s5
	ds_store_b64 v10, v[4:5]
	s_wait_loadcnt_dscnt 0x0
	s_barrier_signal -1
	s_barrier_wait -1
	global_inv scope:SCOPE_SE
	ds_load_2addr_stride64_b64 v[3:6], v10 offset1:4
	ds_load_2addr_stride64_b64 v[12:15], v10 offset0:8 offset1:12
	s_wait_dscnt 0x0
	v_dual_add_f32 v5, v12, v5 :: v_dual_add_f32 v6, v13, v6
	s_delay_alu instid0(VALU_DEP_1) | instskip(NEXT) | instid1(VALU_DEP_1)
	v_dual_add_f32 v5, v14, v5 :: v_dual_add_f32 v6, v15, v6
	v_dual_add_f32 v3, v5, v3 :: v_dual_add_f32 v4, v6, v4
	ds_store_b64 v10, v[3:4]
	s_wait_loadcnt_dscnt 0x0
	s_barrier_signal -1
	s_barrier_wait -1
	global_inv scope:SCOPE_SE
	s_and_saveexec_b32 s3, vcc_lo
	s_cbranch_execz .LBB25_12
; %bb.11:                               ;   in Loop: Header=BB25_6 Depth=1
	ds_load_2addr_stride64_b64 v[3:6], v10 offset1:1
	ds_load_2addr_stride64_b64 v[12:15], v10 offset0:2 offset1:3
	s_wait_dscnt 0x0
	v_dual_add_f32 v5, v12, v5 :: v_dual_add_f32 v6, v13, v6
	s_delay_alu instid0(VALU_DEP_1) | instskip(NEXT) | instid1(VALU_DEP_1)
	v_dual_add_f32 v5, v14, v5 :: v_dual_add_f32 v6, v15, v6
	v_dual_add_f32 v3, v5, v3 :: v_dual_add_f32 v4, v6, v4
	ds_store_b64 v10, v[3:4]
.LBB25_12:                              ;   in Loop: Header=BB25_6 Depth=1
	s_wait_alu 0xfffe
	s_or_b32 exec_lo, exec_lo, s3
	s_wait_loadcnt_dscnt 0x0
	s_barrier_signal -1
	s_barrier_wait -1
	global_inv scope:SCOPE_SE
	s_and_saveexec_b32 s3, s0
	s_cbranch_execz .LBB25_14
; %bb.13:                               ;   in Loop: Header=BB25_6 Depth=1
	ds_load_2addr_b64 v[3:6], v10 offset1:16
	ds_load_2addr_b64 v[12:15], v10 offset0:32 offset1:48
	s_wait_dscnt 0x0
	v_dual_add_f32 v5, v12, v5 :: v_dual_add_f32 v6, v13, v6
	s_delay_alu instid0(VALU_DEP_1) | instskip(NEXT) | instid1(VALU_DEP_1)
	v_dual_add_f32 v5, v14, v5 :: v_dual_add_f32 v6, v15, v6
	v_dual_add_f32 v3, v5, v3 :: v_dual_add_f32 v4, v6, v4
	ds_store_b64 v10, v[3:4]
.LBB25_14:                              ;   in Loop: Header=BB25_6 Depth=1
	s_wait_alu 0xfffe
	s_or_b32 exec_lo, exec_lo, s3
	s_wait_loadcnt_dscnt 0x0
	s_barrier_signal -1
	s_barrier_wait -1
	global_inv scope:SCOPE_SE
	s_and_saveexec_b32 s3, s1
	s_cbranch_execz .LBB25_16
; %bb.15:                               ;   in Loop: Header=BB25_6 Depth=1
	ds_load_2addr_b64 v[3:6], v10 offset1:4
	ds_load_2addr_b64 v[12:15], v10 offset0:8 offset1:12
	s_wait_dscnt 0x0
	v_dual_add_f32 v5, v12, v5 :: v_dual_add_f32 v6, v13, v6
	s_delay_alu instid0(VALU_DEP_1) | instskip(NEXT) | instid1(VALU_DEP_1)
	v_dual_add_f32 v5, v14, v5 :: v_dual_add_f32 v6, v15, v6
	v_dual_add_f32 v3, v5, v3 :: v_dual_add_f32 v4, v6, v4
	ds_store_b64 v10, v[3:4]
.LBB25_16:                              ;   in Loop: Header=BB25_6 Depth=1
	s_wait_alu 0xfffe
	s_or_b32 exec_lo, exec_lo, s3
	s_wait_loadcnt_dscnt 0x0
	s_barrier_signal -1
	s_barrier_wait -1
	global_inv scope:SCOPE_SE
	s_and_saveexec_b32 s3, s2
	s_cbranch_execz .LBB25_18
; %bb.17:                               ;   in Loop: Header=BB25_6 Depth=1
	ds_load_b128 v[3:6], v0 offset:16
	ds_load_b64 v[7:8], v0 offset:8
	ds_load_b64 v[12:13], v10
	s_wait_dscnt 0x1
	v_dual_add_f32 v3, v3, v7 :: v_dual_add_f32 v4, v4, v8
	s_delay_alu instid0(VALU_DEP_1) | instskip(SKIP_1) | instid1(VALU_DEP_1)
	v_dual_add_f32 v3, v5, v3 :: v_dual_add_f32 v4, v6, v4
	s_wait_dscnt 0x0
	v_dual_add_f32 v3, v3, v12 :: v_dual_add_f32 v4, v4, v13
	ds_store_b64 v10, v[3:4]
.LBB25_18:                              ;   in Loop: Header=BB25_6 Depth=1
	s_wait_alu 0xfffe
	s_or_b32 exec_lo, exec_lo, s3
	s_wait_loadcnt_dscnt 0x0
	s_barrier_signal -1
	s_barrier_wait -1
	global_inv scope:SCOPE_SE
	s_and_saveexec_b32 s24, s2
	s_cbranch_execz .LBB25_5
; %bb.19:                               ;   in Loop: Header=BB25_6 Depth=1
	ds_load_b64 v[3:4], v0
	s_mov_b32 s3, exec_lo
	s_brev_b32 s25, 1
	s_wait_dscnt 0x0
	v_mul_f32_e64 v5, v4, -v2
	s_delay_alu instid0(VALU_DEP_1)
	v_fmac_f32_e32 v5, v1, v3
.LBB25_20:                              ;   Parent Loop BB25_6 Depth=1
                                        ; =>  This Inner Loop Header: Depth=2
	s_wait_alu 0xfffe
	s_ctz_i32_b32 s4, s3
	s_wait_alu 0xfffe
	s_delay_alu instid0(VALU_DEP_1)
	v_readlane_b32 s5, v5, s4
	s_lshl_b32 s4, 1, s4
	s_wait_alu 0xfffe
	s_and_not1_b32 s3, s3, s4
	s_wait_alu 0xfffe
	s_cmp_lg_u32 s3, 0
	s_add_f32 s25, s25, s5
	s_cbranch_scc1 .LBB25_20
; %bb.21:                               ;   in Loop: Header=BB25_6 Depth=1
	v_mbcnt_lo_u32_b32 v5, exec_lo, 0
	s_lshl_b64 s[4:5], s[22:23], 3
	s_wait_alu 0xfffe
	s_add_nc_u64 s[4:5], s[18:19], s[4:5]
	s_delay_alu instid0(VALU_DEP_1)
	v_cmp_eq_u32_e64 s3, 0, v5
	s_and_saveexec_b32 s23, s3
	s_wait_alu 0xfffe
	s_xor_b32 s3, exec_lo, s23
	s_cbranch_execz .LBB25_23
; %bb.22:                               ;   in Loop: Header=BB25_6 Depth=1
	v_mov_b32_e32 v5, s25
	global_atomic_add_f32 v0, v5, s[4:5] scope:SCOPE_DEV
.LBB25_23:                              ;   in Loop: Header=BB25_6 Depth=1
	s_wait_alu 0xfffe
	s_or_b32 exec_lo, exec_lo, s3
	v_mul_f32_e32 v4, v1, v4
	s_mov_b32 s3, exec_lo
	s_brev_b32 s23, 1
	s_delay_alu instid0(VALU_DEP_1)
	v_fmac_f32_e32 v4, v2, v3
.LBB25_24:                              ;   Parent Loop BB25_6 Depth=1
                                        ; =>  This Inner Loop Header: Depth=2
	s_wait_alu 0xfffe
	s_ctz_i32_b32 s25, s3
	s_wait_alu 0xfffe
	s_delay_alu instid0(VALU_DEP_1)
	v_readlane_b32 s26, v4, s25
	s_lshl_b32 s25, 1, s25
	s_wait_alu 0xfffe
	s_and_not1_b32 s3, s3, s25
	s_wait_alu 0xfffe
	s_cmp_lg_u32 s3, 0
	s_add_f32 s23, s23, s26
	s_cbranch_scc1 .LBB25_24
; %bb.25:                               ;   in Loop: Header=BB25_6 Depth=1
	v_mbcnt_lo_u32_b32 v3, exec_lo, 0
	s_mov_b32 s25, exec_lo
	s_delay_alu instid0(VALU_DEP_1)
	v_cmpx_eq_u32_e32 0, v3
	s_wait_alu 0xfffe
	s_xor_b32 s25, exec_lo, s25
	s_cbranch_execz .LBB25_5
; %bb.26:                               ;   in Loop: Header=BB25_6 Depth=1
	v_mov_b32_e32 v3, s23
	global_atomic_add_f32 v0, v3, s[4:5] offset:4 scope:SCOPE_DEV
	s_branch .LBB25_5
.LBB25_27:
	s_ashr_i32 s1, s16, 31
	s_mov_b32 s0, s16
	s_ashr_i32 s3, s17, 31
	s_lshl_b64 s[0:1], s[0:1], 2
	s_mov_b32 s2, s17
	s_add_nc_u64 s[0:1], s[8:9], s[0:1]
	s_wait_alu 0xfffe
	s_lshl_b64 s[2:3], s[2:3], 2
	s_load_b32 s4, s[0:1], 0x0
	s_add_nc_u64 s[0:1], s[8:9], s[2:3]
	s_load_b32 s0, s[0:1], 0x0
	s_wait_kmcnt 0x0
	v_add_nc_u32_e32 v3, s4, v11
	s_sub_co_i32 s1, s0, s6
	s_delay_alu instid0(VALU_DEP_1) | instid1(SALU_CYCLE_1)
	v_cmp_gt_i32_e32 vcc_lo, s1, v3
	s_and_b32 exec_lo, exec_lo, vcc_lo
	s_cbranch_execz .LBB25_36
; %bb.28:
	s_add_co_i32 s2, s17, -1
	s_mov_b32 s4, 0
	s_wait_alu 0xfffe
	s_cmp_lt_i32 s16, s2
	s_cselect_b32 s0, -1, 0
	s_add_co_i32 s3, s17, -2
	s_wait_alu 0xfffe
	s_cmp_lg_u32 s16, s3
	s_cselect_b32 s3, -1, 0
	s_wait_alu 0xfffe
	s_and_b32 s3, s0, s3
	s_branch .LBB25_30
.LBB25_29:                              ;   in Loop: Header=BB25_30 Depth=1
	s_wait_alu 0xfffe
	s_or_b32 exec_lo, exec_lo, s0
	v_add_nc_u32_e32 v3, 0x100, v3
	s_delay_alu instid0(VALU_DEP_1)
	v_cmp_le_i32_e32 vcc_lo, s1, v3
	s_or_b32 s4, vcc_lo, s4
	s_wait_alu 0xfffe
	s_and_not1_b32 exec_lo, exec_lo, s4
	s_cbranch_execz .LBB25_36
.LBB25_30:                              ; =>This Loop Header: Depth=1
                                        ;     Child Loop BB25_32 Depth 2
	v_dual_mov_b32 v0, s16 :: v_dual_mov_b32 v5, s2
	s_wait_alu 0xfffe
	s_and_not1_b32 vcc_lo, exec_lo, s3
	s_wait_alu 0xfffe
	s_cbranch_vccnz .LBB25_34
; %bb.31:                               ;   in Loop: Header=BB25_30 Depth=1
	v_dual_mov_b32 v0, s16 :: v_dual_mov_b32 v5, s2
	s_mov_b32 s5, 0
.LBB25_32:                              ;   Parent Loop BB25_30 Depth=1
                                        ; =>  This Inner Loop Header: Depth=2
	s_delay_alu instid0(VALU_DEP_1) | instskip(NEXT) | instid1(VALU_DEP_1)
	v_add_nc_u32_e32 v4, v5, v0
	v_lshrrev_b32_e32 v6, 31, v4
	s_delay_alu instid0(VALU_DEP_1) | instskip(NEXT) | instid1(VALU_DEP_1)
	v_add_nc_u32_e32 v4, v4, v6
	v_ashrrev_i32_e32 v6, 1, v4
	s_delay_alu instid0(VALU_DEP_1) | instskip(NEXT) | instid1(VALU_DEP_1)
	v_ashrrev_i32_e32 v7, 31, v6
	v_lshlrev_b64_e32 v[7:8], 2, v[6:7]
	s_delay_alu instid0(VALU_DEP_1) | instskip(SKIP_1) | instid1(VALU_DEP_2)
	v_add_co_u32 v7, vcc_lo, s8, v7
	s_wait_alu 0xfffd
	v_add_co_ci_u32_e64 v8, null, s9, v8, vcc_lo
	global_load_b32 v4, v[7:8], off
	s_wait_loadcnt 0x0
	v_subrev_nc_u32_e32 v4, s6, v4
	s_delay_alu instid0(VALU_DEP_1) | instskip(SKIP_2) | instid1(VALU_DEP_1)
	v_cmp_lt_i32_e32 vcc_lo, v3, v4
	s_wait_alu 0xfffd
	v_dual_cndmask_b32 v5, v5, v6 :: v_dual_cndmask_b32 v0, v6, v0
	v_add_nc_u32_e32 v4, -1, v5
	s_delay_alu instid0(VALU_DEP_2) | instskip(NEXT) | instid1(VALU_DEP_2)
	v_cmp_ge_i32_e32 vcc_lo, v0, v5
	v_cmp_eq_u32_e64 s0, v0, v4
	s_or_b32 s0, vcc_lo, s0
	s_wait_alu 0xfffe
	s_and_b32 s0, exec_lo, s0
	s_wait_alu 0xfffe
	s_or_b32 s5, s0, s5
	s_wait_alu 0xfffe
	s_and_not1_b32 exec_lo, exec_lo, s5
	s_cbranch_execnz .LBB25_32
; %bb.33:                               ;   in Loop: Header=BB25_30 Depth=1
	s_or_b32 exec_lo, exec_lo, s5
.LBB25_34:                              ;   in Loop: Header=BB25_30 Depth=1
	v_ashrrev_i32_e32 v6, 31, v5
	v_ashrrev_i32_e32 v4, 31, v3
	s_mov_b32 s0, exec_lo
	s_delay_alu instid0(VALU_DEP_2) | instskip(NEXT) | instid1(VALU_DEP_2)
	v_lshlrev_b64_e32 v[6:7], 2, v[5:6]
	v_lshlrev_b64_e32 v[8:9], 2, v[3:4]
	s_delay_alu instid0(VALU_DEP_2) | instskip(SKIP_1) | instid1(VALU_DEP_3)
	v_add_co_u32 v6, vcc_lo, s8, v6
	s_wait_alu 0xfffd
	v_add_co_ci_u32_e64 v7, null, s9, v7, vcc_lo
	global_load_b32 v10, v[6:7], off
	v_add_co_u32 v6, vcc_lo, s10, v8
	s_wait_alu 0xfffd
	v_add_co_ci_u32_e64 v7, null, s11, v9, vcc_lo
	global_load_b32 v7, v[6:7], off
	s_wait_loadcnt 0x1
	v_subrev_nc_u32_e32 v6, s6, v10
	s_delay_alu instid0(VALU_DEP_1) | instskip(SKIP_4) | instid1(VALU_DEP_1)
	v_cmp_lt_i32_e32 vcc_lo, v3, v6
	s_wait_alu 0xfffd
	v_cndmask_b32_e32 v6, v5, v0, vcc_lo
	s_wait_loadcnt 0x0
	v_subrev_nc_u32_e32 v5, s6, v7
	v_cmpx_ne_u32_e64 v5, v6
	s_cbranch_execz .LBB25_29
; %bb.35:                               ;   in Loop: Header=BB25_30 Depth=1
	v_lshlrev_b64_e32 v[7:8], 3, v[3:4]
	s_delay_alu instid0(VALU_DEP_1) | instskip(SKIP_1) | instid1(VALU_DEP_2)
	v_add_co_u32 v9, vcc_lo, s12, v7
	s_wait_alu 0xfffd
	v_add_co_ci_u32_e64 v10, null, s13, v8, vcc_lo
	v_ashrrev_i32_e32 v7, 31, v6
	global_load_b64 v[8:9], v[9:10], off
	v_lshlrev_b64_e32 v[6:7], 3, v[6:7]
	s_delay_alu instid0(VALU_DEP_1) | instskip(SKIP_1) | instid1(VALU_DEP_2)
	v_add_co_u32 v6, vcc_lo, s14, v6
	s_wait_alu 0xfffd
	v_add_co_ci_u32_e64 v7, null, s15, v7, vcc_lo
	global_load_b64 v[10:11], v[6:7], off
	v_ashrrev_i32_e32 v6, 31, v5
	s_delay_alu instid0(VALU_DEP_1) | instskip(NEXT) | instid1(VALU_DEP_1)
	v_lshlrev_b64_e32 v[4:5], 3, v[5:6]
	v_add_co_u32 v4, vcc_lo, s18, v4
	s_wait_alu 0xfffd
	s_delay_alu instid0(VALU_DEP_2) | instskip(SKIP_2) | instid1(VALU_DEP_1)
	v_add_co_ci_u32_e64 v5, null, s19, v5, vcc_lo
	s_wait_loadcnt 0x1
	v_cndmask_b32_e64 v0, v9, -v9, s7
	v_mul_f32_e32 v7, v1, v0
	v_mul_f32_e64 v0, v0, -v2
	s_delay_alu instid0(VALU_DEP_2) | instskip(NEXT) | instid1(VALU_DEP_2)
	v_fmac_f32_e32 v7, v2, v8
	v_fmac_f32_e32 v0, v1, v8
	s_wait_loadcnt 0x0
	s_delay_alu instid0(VALU_DEP_2) | instskip(NEXT) | instid1(VALU_DEP_2)
	v_mul_f32_e64 v6, v11, -v7
	v_mul_f32_e32 v8, v11, v0
	s_delay_alu instid0(VALU_DEP_2) | instskip(NEXT) | instid1(VALU_DEP_2)
	v_fmac_f32_e32 v6, v0, v10
	v_fmac_f32_e32 v8, v7, v10
	s_clause 0x1
	global_atomic_add_f32 v[4:5], v6, off scope:SCOPE_DEV
	global_atomic_add_f32 v[4:5], v8, off offset:4 scope:SCOPE_DEV
	s_branch .LBB25_29
.LBB25_36:
	s_endpgm
	.section	.rodata,"a",@progbits
	.p2align	6, 0x0
	.amdhsa_kernel _ZL33csrmvn_symm_large_adaptive_kernelIii21rocsparse_complex_numIfES1_S1_S1_EvbT_PKS2_N9rocsparse24const_host_device_scalarIT4_EES4_PKT0_PKT1_PKT2_S8_PT3_21rocsparse_index_base_b
		.amdhsa_group_segment_fixed_size 8192
		.amdhsa_private_segment_fixed_size 0
		.amdhsa_kernarg_size 80
		.amdhsa_user_sgpr_count 2
		.amdhsa_user_sgpr_dispatch_ptr 0
		.amdhsa_user_sgpr_queue_ptr 0
		.amdhsa_user_sgpr_kernarg_segment_ptr 1
		.amdhsa_user_sgpr_dispatch_id 0
		.amdhsa_user_sgpr_private_segment_size 0
		.amdhsa_wavefront_size32 1
		.amdhsa_uses_dynamic_stack 0
		.amdhsa_enable_private_segment 0
		.amdhsa_system_sgpr_workgroup_id_x 1
		.amdhsa_system_sgpr_workgroup_id_y 0
		.amdhsa_system_sgpr_workgroup_id_z 0
		.amdhsa_system_sgpr_workgroup_info 0
		.amdhsa_system_vgpr_workitem_id 0
		.amdhsa_next_free_vgpr 16
		.amdhsa_next_free_sgpr 27
		.amdhsa_reserve_vcc 1
		.amdhsa_float_round_mode_32 0
		.amdhsa_float_round_mode_16_64 0
		.amdhsa_float_denorm_mode_32 3
		.amdhsa_float_denorm_mode_16_64 3
		.amdhsa_fp16_overflow 0
		.amdhsa_workgroup_processor_mode 1
		.amdhsa_memory_ordered 1
		.amdhsa_forward_progress 1
		.amdhsa_inst_pref_size 19
		.amdhsa_round_robin_scheduling 0
		.amdhsa_exception_fp_ieee_invalid_op 0
		.amdhsa_exception_fp_denorm_src 0
		.amdhsa_exception_fp_ieee_div_zero 0
		.amdhsa_exception_fp_ieee_overflow 0
		.amdhsa_exception_fp_ieee_underflow 0
		.amdhsa_exception_fp_ieee_inexact 0
		.amdhsa_exception_int_div_zero 0
	.end_amdhsa_kernel
	.section	.text._ZL33csrmvn_symm_large_adaptive_kernelIii21rocsparse_complex_numIfES1_S1_S1_EvbT_PKS2_N9rocsparse24const_host_device_scalarIT4_EES4_PKT0_PKT1_PKT2_S8_PT3_21rocsparse_index_base_b,"axG",@progbits,_ZL33csrmvn_symm_large_adaptive_kernelIii21rocsparse_complex_numIfES1_S1_S1_EvbT_PKS2_N9rocsparse24const_host_device_scalarIT4_EES4_PKT0_PKT1_PKT2_S8_PT3_21rocsparse_index_base_b,comdat
.Lfunc_end25:
	.size	_ZL33csrmvn_symm_large_adaptive_kernelIii21rocsparse_complex_numIfES1_S1_S1_EvbT_PKS2_N9rocsparse24const_host_device_scalarIT4_EES4_PKT0_PKT1_PKT2_S8_PT3_21rocsparse_index_base_b, .Lfunc_end25-_ZL33csrmvn_symm_large_adaptive_kernelIii21rocsparse_complex_numIfES1_S1_S1_EvbT_PKS2_N9rocsparse24const_host_device_scalarIT4_EES4_PKT0_PKT1_PKT2_S8_PT3_21rocsparse_index_base_b
                                        ; -- End function
	.set _ZL33csrmvn_symm_large_adaptive_kernelIii21rocsparse_complex_numIfES1_S1_S1_EvbT_PKS2_N9rocsparse24const_host_device_scalarIT4_EES4_PKT0_PKT1_PKT2_S8_PT3_21rocsparse_index_base_b.num_vgpr, 16
	.set _ZL33csrmvn_symm_large_adaptive_kernelIii21rocsparse_complex_numIfES1_S1_S1_EvbT_PKS2_N9rocsparse24const_host_device_scalarIT4_EES4_PKT0_PKT1_PKT2_S8_PT3_21rocsparse_index_base_b.num_agpr, 0
	.set _ZL33csrmvn_symm_large_adaptive_kernelIii21rocsparse_complex_numIfES1_S1_S1_EvbT_PKS2_N9rocsparse24const_host_device_scalarIT4_EES4_PKT0_PKT1_PKT2_S8_PT3_21rocsparse_index_base_b.numbered_sgpr, 27
	.set _ZL33csrmvn_symm_large_adaptive_kernelIii21rocsparse_complex_numIfES1_S1_S1_EvbT_PKS2_N9rocsparse24const_host_device_scalarIT4_EES4_PKT0_PKT1_PKT2_S8_PT3_21rocsparse_index_base_b.num_named_barrier, 0
	.set _ZL33csrmvn_symm_large_adaptive_kernelIii21rocsparse_complex_numIfES1_S1_S1_EvbT_PKS2_N9rocsparse24const_host_device_scalarIT4_EES4_PKT0_PKT1_PKT2_S8_PT3_21rocsparse_index_base_b.private_seg_size, 0
	.set _ZL33csrmvn_symm_large_adaptive_kernelIii21rocsparse_complex_numIfES1_S1_S1_EvbT_PKS2_N9rocsparse24const_host_device_scalarIT4_EES4_PKT0_PKT1_PKT2_S8_PT3_21rocsparse_index_base_b.uses_vcc, 1
	.set _ZL33csrmvn_symm_large_adaptive_kernelIii21rocsparse_complex_numIfES1_S1_S1_EvbT_PKS2_N9rocsparse24const_host_device_scalarIT4_EES4_PKT0_PKT1_PKT2_S8_PT3_21rocsparse_index_base_b.uses_flat_scratch, 0
	.set _ZL33csrmvn_symm_large_adaptive_kernelIii21rocsparse_complex_numIfES1_S1_S1_EvbT_PKS2_N9rocsparse24const_host_device_scalarIT4_EES4_PKT0_PKT1_PKT2_S8_PT3_21rocsparse_index_base_b.has_dyn_sized_stack, 0
	.set _ZL33csrmvn_symm_large_adaptive_kernelIii21rocsparse_complex_numIfES1_S1_S1_EvbT_PKS2_N9rocsparse24const_host_device_scalarIT4_EES4_PKT0_PKT1_PKT2_S8_PT3_21rocsparse_index_base_b.has_recursion, 0
	.set _ZL33csrmvn_symm_large_adaptive_kernelIii21rocsparse_complex_numIfES1_S1_S1_EvbT_PKS2_N9rocsparse24const_host_device_scalarIT4_EES4_PKT0_PKT1_PKT2_S8_PT3_21rocsparse_index_base_b.has_indirect_call, 0
	.section	.AMDGPU.csdata,"",@progbits
; Kernel info:
; codeLenInByte = 2316
; TotalNumSgprs: 29
; NumVgprs: 16
; ScratchSize: 0
; MemoryBound: 0
; FloatMode: 240
; IeeeMode: 1
; LDSByteSize: 8192 bytes/workgroup (compile time only)
; SGPRBlocks: 0
; VGPRBlocks: 1
; NumSGPRsForWavesPerEU: 29
; NumVGPRsForWavesPerEU: 16
; Occupancy: 16
; WaveLimiterHint : 1
; COMPUTE_PGM_RSRC2:SCRATCH_EN: 0
; COMPUTE_PGM_RSRC2:USER_SGPR: 2
; COMPUTE_PGM_RSRC2:TRAP_HANDLER: 0
; COMPUTE_PGM_RSRC2:TGID_X_EN: 1
; COMPUTE_PGM_RSRC2:TGID_Y_EN: 0
; COMPUTE_PGM_RSRC2:TGID_Z_EN: 0
; COMPUTE_PGM_RSRC2:TIDIG_COMP_CNT: 0
	.section	.text._ZN9rocsparseL22csrmvn_adaptive_kernelIli21rocsparse_complex_numIfES2_S2_S2_EEvbT_PKS3_PjPKT0_NS_24const_host_device_scalarIT4_EES5_S9_PKT1_PKT2_SC_PT3_21rocsparse_index_base_b,"axG",@progbits,_ZN9rocsparseL22csrmvn_adaptive_kernelIli21rocsparse_complex_numIfES2_S2_S2_EEvbT_PKS3_PjPKT0_NS_24const_host_device_scalarIT4_EES5_S9_PKT1_PKT2_SC_PT3_21rocsparse_index_base_b,comdat
	.globl	_ZN9rocsparseL22csrmvn_adaptive_kernelIli21rocsparse_complex_numIfES2_S2_S2_EEvbT_PKS3_PjPKT0_NS_24const_host_device_scalarIT4_EES5_S9_PKT1_PKT2_SC_PT3_21rocsparse_index_base_b ; -- Begin function _ZN9rocsparseL22csrmvn_adaptive_kernelIli21rocsparse_complex_numIfES2_S2_S2_EEvbT_PKS3_PjPKT0_NS_24const_host_device_scalarIT4_EES5_S9_PKT1_PKT2_SC_PT3_21rocsparse_index_base_b
	.p2align	8
	.type	_ZN9rocsparseL22csrmvn_adaptive_kernelIli21rocsparse_complex_numIfES2_S2_S2_EEvbT_PKS3_PjPKT0_NS_24const_host_device_scalarIT4_EES5_S9_PKT1_PKT2_SC_PT3_21rocsparse_index_base_b,@function
_ZN9rocsparseL22csrmvn_adaptive_kernelIli21rocsparse_complex_numIfES2_S2_S2_EEvbT_PKS3_PjPKT0_NS_24const_host_device_scalarIT4_EES5_S9_PKT1_PKT2_SC_PT3_21rocsparse_index_base_b: ; @_ZN9rocsparseL22csrmvn_adaptive_kernelIli21rocsparse_complex_numIfES2_S2_S2_EEvbT_PKS3_PjPKT0_NS_24const_host_device_scalarIT4_EES5_S9_PKT1_PKT2_SC_PT3_21rocsparse_index_base_b
; %bb.0:
	s_clause 0x2
	s_load_b64 s[34:35], s[0:1], 0x60
	s_load_b64 s[2:3], s[0:1], 0x28
	;; [unrolled: 1-line block ×3, first 2 shown]
	s_add_nc_u64 s[6:7], s[0:1], 40
	s_wait_kmcnt 0x0
	s_bitcmp1_b32 s35, 0
	s_cselect_b32 s2, s6, s2
	s_cselect_b32 s3, s7, s3
	s_delay_alu instid0(SALU_CYCLE_1)
	v_dual_mov_b32 v1, s2 :: v_dual_mov_b32 v2, s3
	s_add_nc_u64 s[2:3], s[0:1], 0x50
	s_wait_alu 0xfffe
	s_cselect_b32 s2, s2, s4
	s_cselect_b32 s3, s3, s5
	flat_load_b64 v[1:2], v[1:2]
	s_wait_alu 0xfffe
	v_dual_mov_b32 v3, s2 :: v_dual_mov_b32 v4, s3
	flat_load_b64 v[5:6], v[3:4]
	s_wait_loadcnt_dscnt 0x101
	v_cmp_eq_f32_e32 vcc_lo, 0, v1
	v_cmp_eq_f32_e64 s2, 0, v2
	s_and_b32 s4, vcc_lo, s2
	s_mov_b32 s2, -1
	s_and_saveexec_b32 s3, s4
	s_cbranch_execz .LBB26_2
; %bb.1:
	s_wait_loadcnt_dscnt 0x0
	v_cmp_neq_f32_e32 vcc_lo, 1.0, v5
	v_cmp_neq_f32_e64 s2, 0, v6
	s_wait_alu 0xfffe
	s_or_b32 s2, vcc_lo, s2
	s_wait_alu 0xfffe
	s_or_not1_b32 s2, s2, exec_lo
.LBB26_2:
	s_wait_alu 0xfffe
	s_or_b32 exec_lo, exec_lo, s3
	s_and_saveexec_b32 s3, s2
	s_cbranch_execz .LBB26_115
; %bb.3:
	s_clause 0x2
	s_load_b64 s[2:3], s[0:1], 0x20
	s_load_b32 s6, s[0:1], 0x0
	s_load_b64 s[4:5], s[0:1], 0x10
	s_mov_b32 s38, ttmp9
	s_wait_kmcnt 0x0
	s_bitcmp1_b32 s6, 0
	s_cselect_b32 s33, -1, 0
	s_ashr_i32 s39, ttmp9, 31
	s_delay_alu instid0(SALU_CYCLE_1)
	s_lshl_b64 s[6:7], s[38:39], 3
	s_lshl_b64 s[40:41], s[38:39], 2
	s_add_nc_u64 s[4:5], s[4:5], s[6:7]
	s_load_b128 s[20:23], s[4:5], 0x0
	s_clause 0x1
	s_load_b256 s[12:19], s[0:1], 0x30
	s_load_b64 s[24:25], s[0:1], 0x58
	s_add_nc_u64 s[2:3], s[2:3], s[40:41]
	s_wait_kmcnt 0x0
	s_lshl_b64 s[36:37], s[20:21], 3
	s_delay_alu instid0(SALU_CYCLE_1)
	s_add_nc_u64 s[28:29], s[12:13], s[36:37]
	s_load_b32 s26, s[2:3], 0x0
	s_load_b64 s[30:31], s[28:29], 0x0
	s_sub_co_i32 s3, s22, s20
	s_mov_b32 s2, -1
	s_wait_alu 0xfffe
	s_cmp_lt_i32 s3, 2
	s_cbranch_scc0 .LBB26_71
; %bb.4:
	s_cmp_lg_u32 s3, 1
	s_cselect_b32 s2, -1, 0
	s_wait_kmcnt 0x0
	s_cmp_lg_u32 s26, 0
	s_cselect_b32 s3, -1, 0
	s_wait_alu 0xfffe
	s_or_b32 s2, s2, s3
	s_wait_alu 0xfffe
	s_and_b32 vcc_lo, exec_lo, s2
	s_mov_b32 s2, -1
	s_cbranch_vccnz .LBB26_33
; %bb.5:
	v_cmp_le_i64_e64 s2, s[22:23], s[20:21]
	s_wait_alu 0xfffe
	s_and_b32 vcc_lo, exec_lo, s2
	s_cbranch_vccnz .LBB26_32
; %bb.6:
	v_sub_co_u32 v14, s2, v0, s34
	s_wait_loadcnt_dscnt 0x0
	v_cmp_neq_f32_e32 vcc_lo, 0, v5
	v_cmp_neq_f32_e64 s10, 0, v6
	v_dual_mov_b32 v13, 0 :: v_dual_lshlrev_b32 v16, 3, v0
	s_wait_alu 0xf1ff
	v_sub_co_ci_u32_e64 v15, null, 0, 0, s2
	v_cmp_gt_u32_e64 s2, 0x80, v0
	v_cmp_gt_u32_e64 s3, 64, v0
	;; [unrolled: 1-line block ×7, first 2 shown]
	v_cmp_eq_u32_e64 s9, 0, v0
	s_mov_b32 s35, 0
	s_or_b32 s27, vcc_lo, s10
	s_add_nc_u64 s[42:43], s[16:17], 4
	s_mov_b64 s[44:45], s[20:21]
	s_branch .LBB26_9
.LBB26_7:                               ;   in Loop: Header=BB26_9 Depth=1
	s_or_b32 exec_lo, exec_lo, s46
	s_wait_dscnt 0x0
	global_store_b64 v13, v[3:4], s[10:11]
.LBB26_8:                               ;   in Loop: Header=BB26_9 Depth=1
	s_or_b32 exec_lo, exec_lo, s39
	s_add_nc_u64 s[44:45], s[44:45], 1
	s_wait_alu 0xfffe
	v_cmp_ge_i64_e64 s10, s[44:45], s[22:23]
	s_and_b32 vcc_lo, exec_lo, s10
	s_wait_alu 0xfffe
	s_cbranch_vccnz .LBB26_32
.LBB26_9:                               ; =>This Loop Header: Depth=1
                                        ;     Child Loop BB26_11 Depth 2
	s_lshl_b64 s[46:47], s[44:45], 3
	v_dual_mov_b32 v8, 0 :: v_dual_mov_b32 v7, 0
	s_add_nc_u64 s[10:11], s[12:13], s[46:47]
	s_load_b128 s[48:51], s[10:11], 0x0
	s_mov_b32 s11, exec_lo
	s_wait_kmcnt 0x0
	v_add_co_u32 v3, vcc_lo, s48, v14
	s_wait_alu 0xfffd
	v_add_co_ci_u32_e64 v4, null, s49, v15, vcc_lo
	s_sub_nc_u64 s[48:49], s[50:51], s[34:35]
	s_wait_alu 0xfffe
	v_cmpx_gt_i64_e64 s[48:49], v[3:4]
	s_cbranch_execz .LBB26_13
; %bb.10:                               ;   in Loop: Header=BB26_9 Depth=1
	v_lshlrev_b64_e32 v[9:10], 3, v[3:4]
	v_lshlrev_b64_e32 v[11:12], 2, v[3:4]
	v_mov_b32_e32 v8, 0
	s_mov_b32 s39, 0
	s_delay_alu instid0(VALU_DEP_3)
	v_add_co_u32 v9, vcc_lo, s42, v9
	s_wait_alu 0xfffd
	v_add_co_ci_u32_e64 v10, null, s43, v10, vcc_lo
	v_add_co_u32 v11, vcc_lo, s14, v11
	s_wait_alu 0xfffd
	v_add_co_ci_u32_e64 v12, null, s15, v12, vcc_lo
	v_mov_b32_e32 v7, v8
.LBB26_11:                              ;   Parent Loop BB26_9 Depth=1
                                        ; =>  This Inner Loop Header: Depth=2
	global_load_b32 v17, v[11:12], off
	global_load_b64 v[19:20], v[9:10], off offset:-4
	s_wait_loadcnt 0x1
	v_subrev_nc_u32_e32 v17, s34, v17
	s_wait_loadcnt 0x0
	v_cndmask_b32_e64 v20, v20, -v20, s33
	s_delay_alu instid0(VALU_DEP_2) | instskip(NEXT) | instid1(VALU_DEP_2)
	v_ashrrev_i32_e32 v18, 31, v17
	v_mul_f32_e64 v21, v20, -v2
	v_mul_f32_e32 v20, v1, v20
	s_delay_alu instid0(VALU_DEP_3) | instskip(NEXT) | instid1(VALU_DEP_1)
	v_lshlrev_b64_e32 v[17:18], 3, v[17:18]
	v_add_co_u32 v17, vcc_lo, s18, v17
	s_wait_alu 0xfffd
	s_delay_alu instid0(VALU_DEP_2)
	v_add_co_ci_u32_e64 v18, null, s19, v18, vcc_lo
	v_add_co_u32 v3, vcc_lo, 0x100, v3
	s_wait_alu 0xfffd
	v_add_co_ci_u32_e64 v4, null, 0, v4, vcc_lo
	global_load_b64 v[17:18], v[17:18], off
	v_fmac_f32_e32 v20, v2, v19
	v_fmac_f32_e32 v21, v1, v19
	v_add_co_u32 v9, vcc_lo, 0x800, v9
	v_cmp_le_i64_e64 s10, s[48:49], v[3:4]
	s_wait_alu 0xfffd
	v_add_co_ci_u32_e64 v10, null, 0, v10, vcc_lo
	v_add_co_u32 v11, vcc_lo, 0x400, v11
	s_wait_alu 0xfffd
	v_add_co_ci_u32_e64 v12, null, 0, v12, vcc_lo
	s_or_b32 s39, s10, s39
	s_wait_loadcnt 0x0
	v_fmac_f32_e32 v8, v20, v17
	v_fmac_f32_e32 v7, v21, v17
	s_delay_alu instid0(VALU_DEP_2) | instskip(NEXT) | instid1(VALU_DEP_2)
	v_fmac_f32_e32 v8, v21, v18
	v_fma_f32 v7, -v20, v18, v7
	s_and_not1_b32 exec_lo, exec_lo, s39
	s_cbranch_execnz .LBB26_11
; %bb.12:                               ;   in Loop: Header=BB26_9 Depth=1
	s_or_b32 exec_lo, exec_lo, s39
.LBB26_13:                              ;   in Loop: Header=BB26_9 Depth=1
	s_delay_alu instid0(SALU_CYCLE_1)
	s_or_b32 exec_lo, exec_lo, s11
	ds_store_b64 v16, v[7:8]
	s_wait_dscnt 0x0
	s_barrier_signal -1
	s_barrier_wait -1
	global_inv scope:SCOPE_SE
	s_and_saveexec_b32 s10, s2
	s_cbranch_execz .LBB26_15
; %bb.14:                               ;   in Loop: Header=BB26_9 Depth=1
	ds_load_2addr_stride64_b64 v[7:10], v16 offset1:2
	s_wait_dscnt 0x0
	v_dual_add_f32 v3, v9, v7 :: v_dual_add_f32 v4, v10, v8
	ds_store_b64 v16, v[3:4]
.LBB26_15:                              ;   in Loop: Header=BB26_9 Depth=1
	s_or_b32 exec_lo, exec_lo, s10
	s_wait_loadcnt_dscnt 0x0
	s_barrier_signal -1
	s_barrier_wait -1
	global_inv scope:SCOPE_SE
	s_and_saveexec_b32 s10, s3
	s_cbranch_execz .LBB26_17
; %bb.16:                               ;   in Loop: Header=BB26_9 Depth=1
	ds_load_2addr_stride64_b64 v[7:10], v16 offset1:1
	s_wait_dscnt 0x0
	v_dual_add_f32 v3, v9, v7 :: v_dual_add_f32 v4, v10, v8
	ds_store_b64 v16, v[3:4]
.LBB26_17:                              ;   in Loop: Header=BB26_9 Depth=1
	s_or_b32 exec_lo, exec_lo, s10
	s_wait_loadcnt_dscnt 0x0
	s_barrier_signal -1
	s_barrier_wait -1
	global_inv scope:SCOPE_SE
	s_and_saveexec_b32 s10, s4
	s_cbranch_execz .LBB26_19
; %bb.18:                               ;   in Loop: Header=BB26_9 Depth=1
	ds_load_2addr_b64 v[7:10], v16 offset1:32
	s_wait_dscnt 0x0
	v_dual_add_f32 v3, v9, v7 :: v_dual_add_f32 v4, v10, v8
	ds_store_b64 v16, v[3:4]
.LBB26_19:                              ;   in Loop: Header=BB26_9 Depth=1
	s_or_b32 exec_lo, exec_lo, s10
	s_wait_loadcnt_dscnt 0x0
	s_barrier_signal -1
	s_barrier_wait -1
	global_inv scope:SCOPE_SE
	s_and_saveexec_b32 s10, s5
	s_cbranch_execz .LBB26_21
; %bb.20:                               ;   in Loop: Header=BB26_9 Depth=1
	ds_load_2addr_b64 v[7:10], v16 offset1:16
	s_wait_dscnt 0x0
	v_dual_add_f32 v3, v9, v7 :: v_dual_add_f32 v4, v10, v8
	ds_store_b64 v16, v[3:4]
.LBB26_21:                              ;   in Loop: Header=BB26_9 Depth=1
	;; [unrolled: 13-line block ×6, first 2 shown]
	s_or_b32 exec_lo, exec_lo, s10
	s_wait_loadcnt_dscnt 0x0
	s_barrier_signal -1
	s_barrier_wait -1
	global_inv scope:SCOPE_SE
	s_and_saveexec_b32 s39, s9
	s_cbranch_execz .LBB26_8
; %bb.30:                               ;   in Loop: Header=BB26_9 Depth=1
	ds_load_b64 v[3:4], v13
	s_add_nc_u64 s[10:11], s[24:25], s[46:47]
	s_and_saveexec_b32 s46, s27
	s_cbranch_execz .LBB26_7
; %bb.31:                               ;   in Loop: Header=BB26_9 Depth=1
	global_load_b64 v[7:8], v13, s[10:11]
	s_wait_loadcnt_dscnt 0x0
	v_fma_f32 v3, v5, v7, v3
	v_fmac_f32_e32 v4, v6, v7
	s_delay_alu instid0(VALU_DEP_2) | instskip(NEXT) | instid1(VALU_DEP_2)
	v_fma_f32 v3, -v6, v8, v3
	v_fmac_f32_e32 v4, v5, v8
	s_branch .LBB26_7
.LBB26_32:
	s_mov_b32 s2, 0
.LBB26_33:
	s_wait_alu 0xfffe
	s_and_not1_b32 vcc_lo, exec_lo, s2
	s_wait_alu 0xfffe
	s_cbranch_vccnz .LBB26_70
; %bb.34:
	s_load_b64 s[6:7], s[0:1], 0x18
	v_mov_b32_e32 v3, 0
	v_or_b32_e32 v4, s26, v0
	s_sub_co_i32 s8, s38, s26
	s_mov_b32 s35, 0
	s_delay_alu instid0(VALU_DEP_1)
	v_cmp_eq_u32_e32 vcc_lo, 0, v4
	v_mov_b32_e32 v4, 0
	s_wait_kmcnt 0x0
	s_add_nc_u64 s[4:5], s[6:7], s[40:41]
	global_load_b32 v13, v3, s[4:5]
	s_and_saveexec_b32 s2, vcc_lo
	s_cbranch_execz .LBB26_38
; %bb.35:
	s_wait_loadcnt_dscnt 0x100
	v_dual_mov_b32 v10, 0 :: v_dual_add_f32 v9, -1.0, v5
	s_add_nc_u64 s[10:11], s[24:25], s[36:37]
	s_mov_b32 s3, exec_lo
	s_wait_alu 0xfffe
	v_mbcnt_lo_u32_b32 v11, s3, 0
	global_load_b64 v[7:8], v10, s[10:11]
	s_mov_b32 s10, exec_lo
	s_wait_loadcnt 0x0
	s_wait_storecnt 0x0
	global_inv scope:SCOPE_DEV
	v_mul_f32_e64 v3, v8, -v6
	v_mul_f32_e32 v4, v9, v8
	v_cmpx_eq_u32_e32 0, v11
	s_cbranch_execz .LBB26_37
; %bb.36:
	s_bcnt1_i32_b32 s3, s3
	s_ashr_i32 s9, s8, 31
	s_wait_alu 0xfffe
	s_and_b32 s3, s3, 1
	s_lshl_b64 s[38:39], s[8:9], 2
	s_wait_alu 0xfffe
	v_mov_b32_e32 v8, s3
	s_add_nc_u64 s[38:39], s[6:7], s[38:39]
	global_atomic_xor_b32 v10, v8, s[38:39] scope:SCOPE_DEV
.LBB26_37:
	s_or_b32 exec_lo, exec_lo, s10
	v_fmac_f32_e32 v3, v9, v7
	v_fmac_f32_e32 v4, v6, v7
.LBB26_38:
	s_wait_alu 0xfffe
	s_or_b32 exec_lo, exec_lo, s2
	s_load_b64 s[2:3], s[28:29], 0x8
	s_ashr_i32 s27, s26, 31
	s_sub_nc_u64 s[38:39], s[30:31], s[34:35]
	s_wait_alu 0xfffe
	s_mul_u64 s[10:11], s[26:27], 0xc00
	s_delay_alu instid0(SALU_CYCLE_1) | instskip(NEXT) | instid1(SALU_CYCLE_1)
	s_add_nc_u64 s[10:11], s[38:39], s[10:11]
	v_add_co_u32 v7, s9, s10, v0
	s_delay_alu instid0(VALU_DEP_1)
	v_add_co_ci_u32_e64 v8, null, s11, 0, s9
	s_mov_b32 s9, exec_lo
	s_wait_kmcnt 0x0
	s_sub_nc_u64 s[2:3], s[2:3], s[34:35]
	s_wait_alu 0xfffe
	v_cmpx_gt_i64_e64 s[2:3], v[7:8]
	s_cbranch_execz .LBB26_42
; %bb.39:
	v_lshlrev_b64_e32 v[9:10], 3, v[7:8]
	v_lshlrev_b64_e32 v[11:12], 2, v[7:8]
	s_add_nc_u64 s[10:11], s[10:11], 0xc00
	s_wait_alu 0xfffe
	v_cmp_lt_i64_e64 s27, s[10:11], s[2:3]
	s_delay_alu instid0(VALU_DEP_3)
	v_add_co_u32 v9, vcc_lo, s16, v9
	s_wait_alu 0xfffd
	v_add_co_ci_u32_e64 v10, null, s17, v10, vcc_lo
	s_and_b32 s27, s27, exec_lo
	v_add_co_u32 v9, vcc_lo, v9, 4
	s_wait_alu 0xfffd
	v_add_co_ci_u32_e64 v10, null, 0, v10, vcc_lo
	v_add_co_u32 v11, vcc_lo, s14, v11
	s_wait_alu 0xfffd
	v_add_co_ci_u32_e64 v12, null, s15, v12, vcc_lo
	s_cselect_b32 s11, s11, s3
	s_cselect_b32 s10, s10, s2
	s_mov_b32 s3, 0
.LBB26_40:                              ; =>This Inner Loop Header: Depth=1
	global_load_b32 v14, v[11:12], off
	global_load_b64 v[16:17], v[9:10], off offset:-4
	s_wait_loadcnt 0x1
	v_subrev_nc_u32_e32 v14, s34, v14
	s_wait_loadcnt 0x0
	v_cndmask_b32_e64 v17, v17, -v17, s33
	s_delay_alu instid0(VALU_DEP_2) | instskip(NEXT) | instid1(VALU_DEP_2)
	v_ashrrev_i32_e32 v15, 31, v14
	v_mul_f32_e64 v18, v17, -v2
	s_delay_alu instid0(VALU_DEP_2) | instskip(NEXT) | instid1(VALU_DEP_2)
	v_lshlrev_b64_e32 v[14:15], 3, v[14:15]
	v_fmac_f32_e32 v18, v1, v16
	s_delay_alu instid0(VALU_DEP_2) | instskip(SKIP_1) | instid1(VALU_DEP_3)
	v_add_co_u32 v14, vcc_lo, s18, v14
	s_wait_alu 0xfffd
	v_add_co_ci_u32_e64 v15, null, s19, v15, vcc_lo
	v_add_co_u32 v7, vcc_lo, 0x100, v7
	s_wait_alu 0xfffd
	v_add_co_ci_u32_e64 v8, null, 0, v8, vcc_lo
	global_load_b64 v[14:15], v[14:15], off
	v_mul_f32_e32 v17, v1, v17
	v_add_co_u32 v9, vcc_lo, 0x800, v9
	s_wait_alu 0xfffe
	v_cmp_le_i64_e64 s2, s[10:11], v[7:8]
	s_wait_alu 0xfffd
	v_add_co_ci_u32_e64 v10, null, 0, v10, vcc_lo
	v_fmac_f32_e32 v17, v2, v16
	v_add_co_u32 v11, vcc_lo, 0x400, v11
	s_wait_alu 0xfffd
	v_add_co_ci_u32_e64 v12, null, 0, v12, vcc_lo
	s_or_b32 s3, s2, s3
	s_wait_loadcnt 0x0
	v_fmac_f32_e32 v3, v18, v14
	v_fmac_f32_e32 v4, v17, v14
	s_delay_alu instid0(VALU_DEP_2) | instskip(NEXT) | instid1(VALU_DEP_2)
	v_fma_f32 v3, -v17, v15, v3
	v_fmac_f32_e32 v4, v18, v15
	s_wait_alu 0xfffe
	s_and_not1_b32 exec_lo, exec_lo, s3
	s_cbranch_execnz .LBB26_40
; %bb.41:
	s_or_b32 exec_lo, exec_lo, s3
.LBB26_42:
	s_delay_alu instid0(SALU_CYCLE_1)
	s_or_b32 exec_lo, exec_lo, s9
	v_lshlrev_b32_e32 v7, 3, v0
	s_mov_b32 s2, exec_lo
	ds_store_b64 v7, v[3:4]
	s_wait_storecnt 0x0
	s_wait_loadcnt_dscnt 0x0
	s_barrier_signal -1
	s_barrier_wait -1
	global_inv scope:SCOPE_SE
	v_cmpx_gt_u32_e32 0x80, v0
	s_cbranch_execz .LBB26_44
; %bb.43:
	ds_load_2addr_stride64_b64 v[8:11], v7 offset1:2
	s_wait_dscnt 0x0
	v_dual_add_f32 v3, v10, v8 :: v_dual_add_f32 v4, v11, v9
	ds_store_b64 v7, v[3:4]
.LBB26_44:
	s_wait_alu 0xfffe
	s_or_b32 exec_lo, exec_lo, s2
	s_delay_alu instid0(SALU_CYCLE_1)
	s_mov_b32 s2, exec_lo
	s_wait_loadcnt_dscnt 0x0
	s_barrier_signal -1
	s_barrier_wait -1
	global_inv scope:SCOPE_SE
	v_cmpx_gt_u32_e32 64, v0
	s_cbranch_execz .LBB26_46
; %bb.45:
	ds_load_2addr_stride64_b64 v[8:11], v7 offset1:1
	s_wait_dscnt 0x0
	v_dual_add_f32 v3, v10, v8 :: v_dual_add_f32 v4, v11, v9
	ds_store_b64 v7, v[3:4]
.LBB26_46:
	s_wait_alu 0xfffe
	s_or_b32 exec_lo, exec_lo, s2
	s_delay_alu instid0(SALU_CYCLE_1)
	s_mov_b32 s2, exec_lo
	s_wait_loadcnt_dscnt 0x0
	s_barrier_signal -1
	s_barrier_wait -1
	global_inv scope:SCOPE_SE
	v_cmpx_gt_u32_e32 32, v0
	s_cbranch_execz .LBB26_48
; %bb.47:
	ds_load_2addr_b64 v[8:11], v7 offset1:32
	s_wait_dscnt 0x0
	v_dual_add_f32 v3, v10, v8 :: v_dual_add_f32 v4, v11, v9
	ds_store_b64 v7, v[3:4]
.LBB26_48:
	s_wait_alu 0xfffe
	s_or_b32 exec_lo, exec_lo, s2
	s_delay_alu instid0(SALU_CYCLE_1)
	s_mov_b32 s2, exec_lo
	s_wait_loadcnt_dscnt 0x0
	s_barrier_signal -1
	s_barrier_wait -1
	global_inv scope:SCOPE_SE
	v_cmpx_gt_u32_e32 16, v0
	s_cbranch_execz .LBB26_50
; %bb.49:
	ds_load_2addr_b64 v[8:11], v7 offset1:16
	s_wait_dscnt 0x0
	v_dual_add_f32 v3, v10, v8 :: v_dual_add_f32 v4, v11, v9
	ds_store_b64 v7, v[3:4]
.LBB26_50:
	;; [unrolled: 16-line block ×5, first 2 shown]
	s_wait_alu 0xfffe
	s_or_b32 exec_lo, exec_lo, s2
	v_cmp_eq_u32_e32 vcc_lo, 0, v0
	s_wait_loadcnt_dscnt 0x0
	s_barrier_signal -1
	s_barrier_wait -1
	global_inv scope:SCOPE_SE
	s_and_saveexec_b32 s2, vcc_lo
	s_cbranch_execz .LBB26_58
; %bb.57:
	v_mov_b32_e32 v11, 0
	ds_load_2addr_b64 v[7:10], v11 offset1:1
	s_wait_dscnt 0x0
	v_dual_add_f32 v3, v9, v7 :: v_dual_add_f32 v4, v10, v8
	ds_store_b64 v11, v[3:4]
.LBB26_58:
	s_wait_alu 0xfffe
	s_or_b32 exec_lo, exec_lo, s2
	s_wait_loadcnt_dscnt 0x0
	s_barrier_signal -1
	s_barrier_wait -1
	global_inv scope:SCOPE_SE
	s_and_saveexec_b32 s10, vcc_lo
	s_cbranch_execz .LBB26_69
; %bb.59:
	s_cmp_eq_u32 s26, 0
	s_cbranch_scc1 .LBB26_65
; %bb.60:
	s_ashr_i32 s9, s8, 31
	v_mov_b32_e32 v3, 0
	s_wait_alu 0xfffe
	s_lshl_b64 s[2:3], s[8:9], 2
	s_wait_alu 0xfffe
	s_add_nc_u64 s[2:3], s[6:7], s[2:3]
	s_branch .LBB26_62
.LBB26_61:                              ;   in Loop: Header=BB26_62 Depth=1
	s_wait_alu 0xfffe
	s_or_b32 exec_lo, exec_lo, s6
	s_wait_loadcnt 0x0
	v_readfirstlane_b32 s6, v4
	s_wait_alu 0xf1ff
	s_delay_alu instid0(VALU_DEP_1)
	v_cmp_eq_u32_e32 vcc_lo, s6, v13
	s_cbranch_vccz .LBB26_64
.LBB26_62:                              ; =>This Inner Loop Header: Depth=1
	v_mbcnt_lo_u32_b32 v4, exec_lo, 0
	s_delay_alu instid0(VALU_DEP_1)
	v_cmp_eq_u32_e32 vcc_lo, 0, v4
                                        ; implicit-def: $vgpr4
	s_and_saveexec_b32 s6, vcc_lo
	s_cbranch_execz .LBB26_61
; %bb.63:                               ;   in Loop: Header=BB26_62 Depth=1
	global_load_b32 v4, v3, s[2:3] scope:SCOPE_DEV
	s_branch .LBB26_61
.LBB26_64:
	v_mov_b32_e32 v3, 0
	global_load_u16 v4, v3, s[4:5]
	s_wait_loadcnt 0x0
	v_xor_b32_e32 v4, 1, v4
	global_store_b16 v3, v4, s[4:5]
.LBB26_65:
	v_mov_b32_e32 v7, 0
	s_mov_b32 s4, exec_lo
	s_add_nc_u64 s[2:3], s[24:25], s[36:37]
	v_mbcnt_lo_u32_b32 v8, s4, 0
	s_mov_b32 s5, exec_lo
	ds_load_b64 v[3:4], v7
	v_cmpx_eq_u32_e32 0, v8
	s_cbranch_execz .LBB26_67
; %bb.66:
	s_bcnt1_i32_b32 s4, s4
	s_wait_alu 0xfffe
	v_cvt_f32_ubyte0_e32 v8, s4
	s_wait_dscnt 0x0
	s_delay_alu instid0(VALU_DEP_1)
	v_mul_f32_e32 v3, v3, v8
	global_atomic_add_f32 v7, v3, s[2:3] scope:SCOPE_DEV
.LBB26_67:
	s_wait_alu 0xfffe
	s_or_b32 exec_lo, exec_lo, s5
	s_delay_alu instid0(SALU_CYCLE_1) | instskip(SKIP_3) | instid1(VALU_DEP_1)
	s_mov_b32 s4, exec_lo
	s_wait_dscnt 0x0
	s_wait_alu 0xfffe
	v_mbcnt_lo_u32_b32 v3, s4, 0
	v_cmp_eq_u32_e32 vcc_lo, 0, v3
	s_and_b32 s5, exec_lo, vcc_lo
	s_wait_alu 0xfffe
	s_mov_b32 exec_lo, s5
	s_cbranch_execz .LBB26_69
; %bb.68:
	s_bcnt1_i32_b32 s4, s4
	s_wait_alu 0xfffe
	v_cvt_f32_ubyte0_e32 v3, s4
	s_delay_alu instid0(VALU_DEP_1)
	v_dual_mul_f32 v3, v4, v3 :: v_dual_mov_b32 v4, 0
	global_atomic_add_f32 v4, v3, s[2:3] offset:4 scope:SCOPE_DEV
.LBB26_69:
	s_wait_alu 0xfffe
	s_or_b32 exec_lo, exec_lo, s10
.LBB26_70:
	s_mov_b32 s2, 0
.LBB26_71:
	s_wait_alu 0xfffe
	s_and_not1_b32 vcc_lo, exec_lo, s2
	s_wait_alu 0xfffe
	s_cbranch_vccnz .LBB26_115
; %bb.72:
	s_load_b64 s[0:1], s[0:1], 0x8
	v_sub_co_u32 v3, s2, v0, s34
	s_wait_alu 0xf1ff
	v_sub_co_ci_u32_e64 v4, null, 0, 0, s2
	v_lshlrev_b32_e32 v11, 3, v0
	s_wait_kmcnt 0x0
	v_add_co_u32 v3, vcc_lo, s30, v3
	s_wait_alu 0xfffd
	v_add_co_ci_u32_e64 v4, null, s31, v4, vcc_lo
	s_mov_b32 s35, 0
	v_add_co_u32 v7, vcc_lo, 0x300, v3
	s_wait_alu 0xfffd
	v_add_co_ci_u32_e64 v8, null, 0, v4, vcc_lo
	s_delay_alu instid0(VALU_DEP_1)
	v_cmp_le_i64_e32 vcc_lo, s[0:1], v[7:8]
	s_and_saveexec_b32 s0, vcc_lo
	s_wait_alu 0xfffe
	s_xor_b32 s1, exec_lo, s0
	s_cbranch_execz .LBB26_77
; %bb.73:
	s_lshl_b64 s[2:3], s[22:23], 3
	s_mov_b32 s4, exec_lo
	s_wait_alu 0xfffe
	s_add_nc_u64 s[2:3], s[12:13], s[2:3]
	s_load_b64 s[2:3], s[2:3], 0x0
	s_wait_kmcnt 0x0
	s_sub_nc_u64 s[2:3], s[2:3], s[34:35]
	s_wait_alu 0xfffe
	v_cmpx_gt_i64_e64 s[2:3], v[3:4]
	s_cbranch_execz .LBB26_76
; %bb.74:
	v_lshlrev_b64_e32 v[7:8], 3, v[3:4]
	v_lshlrev_b64_e32 v[9:10], 2, v[3:4]
	v_mov_b32_e32 v12, v11
	s_mov_b32 s5, 0
	s_delay_alu instid0(VALU_DEP_3) | instskip(SKIP_2) | instid1(VALU_DEP_2)
	v_add_co_u32 v7, vcc_lo, s16, v7
	s_wait_alu 0xfffd
	v_add_co_ci_u32_e64 v8, null, s17, v8, vcc_lo
	v_add_co_u32 v7, vcc_lo, v7, 4
	s_wait_alu 0xfffd
	s_delay_alu instid0(VALU_DEP_2)
	v_add_co_ci_u32_e64 v8, null, 0, v8, vcc_lo
	v_add_co_u32 v9, vcc_lo, s14, v9
	s_wait_alu 0xfffd
	v_add_co_ci_u32_e64 v10, null, s15, v10, vcc_lo
.LBB26_75:                              ; =>This Inner Loop Header: Depth=1
	global_load_b32 v15, v[9:10], off
	global_load_b64 v[13:14], v[7:8], off offset:-4
	s_wait_loadcnt 0x1
	v_subrev_nc_u32_e32 v15, s34, v15
	s_wait_loadcnt 0x0
	v_cndmask_b32_e64 v14, v14, -v14, s33
	s_delay_alu instid0(VALU_DEP_2) | instskip(NEXT) | instid1(VALU_DEP_2)
	v_ashrrev_i32_e32 v16, 31, v15
	v_mul_f32_e32 v17, v1, v14
	v_mul_f32_e64 v18, v14, -v2
	s_delay_alu instid0(VALU_DEP_3) | instskip(NEXT) | instid1(VALU_DEP_2)
	v_lshlrev_b64_e32 v[15:16], 3, v[15:16]
	v_fmac_f32_e32 v18, v1, v13
	s_delay_alu instid0(VALU_DEP_2) | instskip(SKIP_1) | instid1(VALU_DEP_3)
	v_add_co_u32 v15, vcc_lo, s18, v15
	s_wait_alu 0xfffd
	v_add_co_ci_u32_e64 v16, null, s19, v16, vcc_lo
	v_add_co_u32 v3, vcc_lo, 0x100, v3
	s_wait_alu 0xfffd
	v_add_co_ci_u32_e64 v4, null, 0, v4, vcc_lo
	global_load_b64 v[15:16], v[15:16], off
	v_fmac_f32_e32 v17, v2, v13
	v_add_co_u32 v7, vcc_lo, 0x800, v7
	v_cmp_le_i64_e64 s0, s[2:3], v[3:4]
	s_wait_alu 0xfffd
	v_add_co_ci_u32_e64 v8, null, 0, v8, vcc_lo
	v_add_co_u32 v9, vcc_lo, 0x400, v9
	s_wait_alu 0xfffd
	v_add_co_ci_u32_e64 v10, null, 0, v10, vcc_lo
	s_wait_alu 0xfffe
	s_or_b32 s5, s0, s5
	s_wait_loadcnt 0x0
	v_mul_f32_e32 v14, v16, v18
	v_mul_f32_e64 v13, v16, -v17
	s_delay_alu instid0(VALU_DEP_2) | instskip(NEXT) | instid1(VALU_DEP_2)
	v_fmac_f32_e32 v14, v17, v15
	v_fmac_f32_e32 v13, v18, v15
	ds_store_b64 v12, v[13:14]
	v_add_nc_u32_e32 v12, 0x800, v12
	s_wait_alu 0xfffe
	s_and_not1_b32 exec_lo, exec_lo, s5
	s_cbranch_execnz .LBB26_75
.LBB26_76:
	s_or_b32 exec_lo, exec_lo, s4
                                        ; implicit-def: $vgpr3_vgpr4
                                        ; implicit-def: $vgpr1_vgpr2
.LBB26_77:
	s_wait_alu 0xfffe
	s_and_not1_saveexec_b32 s0, s1
	s_cbranch_execz .LBB26_79
; %bb.78:
	v_lshlrev_b64_e32 v[7:8], 2, v[3:4]
	v_lshlrev_b64_e32 v[3:4], 3, v[3:4]
	s_delay_alu instid0(VALU_DEP_2) | instskip(SKIP_1) | instid1(VALU_DEP_3)
	v_add_co_u32 v7, vcc_lo, s14, v7
	s_wait_alu 0xfffd
	v_add_co_ci_u32_e64 v8, null, s15, v8, vcc_lo
	s_delay_alu instid0(VALU_DEP_3)
	v_add_co_u32 v3, vcc_lo, s16, v3
	s_wait_alu 0xfffd
	v_add_co_ci_u32_e64 v4, null, s17, v4, vcc_lo
	s_clause 0x3
	global_load_b32 v9, v[7:8], off
	global_load_b32 v10, v[7:8], off offset:1024
	global_load_b32 v12, v[7:8], off offset:2048
	global_load_b32 v8, v[7:8], off offset:3072
	s_clause 0x3
	global_load_b64 v[16:17], v[3:4], off
	global_load_b64 v[18:19], v[3:4], off offset:2048
	global_load_b64 v[20:21], v[3:4], off offset:4096
	global_load_b64 v[3:4], v[3:4], off offset:6144
	s_wait_loadcnt 0x7
	v_subrev_nc_u32_e32 v7, s34, v9
	s_wait_loadcnt 0x6
	v_subrev_nc_u32_e32 v9, s34, v10
	;; [unrolled: 2-line block ×4, first 2 shown]
	s_wait_loadcnt 0x3
	v_cndmask_b32_e64 v17, v17, -v17, s33
	v_ashrrev_i32_e32 v8, 31, v7
	v_ashrrev_i32_e32 v10, 31, v9
	;; [unrolled: 1-line block ×4, first 2 shown]
	s_wait_loadcnt 0x0
	v_cndmask_b32_e64 v4, v4, -v4, s33
	v_lshlrev_b64_e32 v[7:8], 3, v[7:8]
	v_lshlrev_b64_e32 v[9:10], 3, v[9:10]
	;; [unrolled: 1-line block ×4, first 2 shown]
	v_cndmask_b32_e64 v19, v19, -v19, s33
	v_mul_f32_e64 v22, v17, -v2
	v_add_co_u32 v7, vcc_lo, s18, v7
	s_wait_alu 0xfffd
	v_add_co_ci_u32_e64 v8, null, s19, v8, vcc_lo
	v_add_co_u32 v9, vcc_lo, s18, v9
	s_wait_alu 0xfffd
	v_add_co_ci_u32_e64 v10, null, s19, v10, vcc_lo
	;; [unrolled: 3-line block ×4, first 2 shown]
	s_clause 0x3
	global_load_b64 v[7:8], v[7:8], off
	global_load_b64 v[9:10], v[9:10], off
	;; [unrolled: 1-line block ×4, first 2 shown]
	v_mul_f32_e64 v27, v4, -v2
	v_cndmask_b32_e64 v21, v21, -v21, s33
	v_mul_f32_e64 v24, v19, -v2
	s_delay_alu instid0(VALU_DEP_3)
	v_fmac_f32_e32 v27, v1, v3
	v_fmac_f32_e32 v22, v1, v16
	v_mul_f32_e32 v25, v1, v19
	v_mul_f32_e32 v28, v1, v4
	v_mul_f32_e64 v26, v21, -v2
	v_fmac_f32_e32 v24, v1, v18
	v_mul_f32_e32 v21, v1, v21
	v_fmac_f32_e32 v25, v2, v18
	v_dual_mul_f32 v23, v1, v17 :: v_dual_fmac_f32 v28, v2, v3
	s_delay_alu instid0(VALU_DEP_1)
	v_fmac_f32_e32 v23, v2, v16
	s_wait_loadcnt 0x2
	v_mul_f32_e32 v4, v10, v24
	v_fmac_f32_e32 v21, v2, v20
	s_wait_loadcnt 0x0
	v_dual_mul_f32 v19, v15, v27 :: v_dual_mul_f32 v2, v8, v22
	v_fmac_f32_e32 v26, v1, v20
	v_mul_f32_e64 v1, v8, -v23
	v_mul_f32_e64 v3, v10, -v25
	;; [unrolled: 1-line block ×3, first 2 shown]
	v_fmac_f32_e32 v2, v23, v7
	v_mul_f32_e64 v16, v13, -v21
	v_fmac_f32_e32 v1, v22, v7
	v_mul_f32_e32 v17, v13, v26
	v_dual_fmac_f32 v4, v25, v9 :: v_dual_fmac_f32 v19, v28, v14
	s_delay_alu instid0(VALU_DEP_4) | instskip(NEXT) | instid1(VALU_DEP_3)
	v_dual_fmac_f32 v16, v26, v12 :: v_dual_fmac_f32 v3, v24, v9
	v_dual_fmac_f32 v18, v27, v14 :: v_dual_fmac_f32 v17, v21, v12
	ds_store_2addr_stride64_b64 v11, v[1:2], v[3:4] offset1:4
	ds_store_2addr_stride64_b64 v11, v[16:17], v[18:19] offset0:8 offset1:12
.LBB26_79:
	s_wait_alu 0xfffe
	s_or_b32 exec_lo, exec_lo, s0
	s_cmp_lt_i32 s26, 2
	s_mov_b32 s0, -1
	s_wait_storecnt 0x0
	s_wait_loadcnt_dscnt 0x0
	s_barrier_signal -1
	s_barrier_wait -1
	global_inv scope:SCOPE_SE
	s_cbranch_scc0 .LBB26_90
; %bb.80:
	v_add_co_u32 v7, s0, s20, v0
	s_wait_alu 0xf1fe
	v_add_co_ci_u32_e64 v8, null, s21, 0, s0
	s_mov_b32 s1, exec_lo
	v_cmpx_gt_i64_e64 s[22:23], v[7:8]
	s_cbranch_execz .LBB26_89
; %bb.81:
	v_cmp_neq_f32_e32 vcc_lo, 0, v5
	v_cmp_neq_f32_e64 s0, 0, v6
	s_lshl_b32 s4, s30, 3
	s_mov_b32 s2, 0
	s_wait_alu 0xfffe
	s_sub_co_i32 s4, 0, s4
	s_or_b32 s3, vcc_lo, s0
	s_branch .LBB26_83
.LBB26_82:                              ;   in Loop: Header=BB26_83 Depth=1
	s_wait_alu 0xfffe
	s_or_b32 exec_lo, exec_lo, s0
	v_add_co_u32 v7, vcc_lo, 0x100, v7
	s_wait_alu 0xfffd
	v_add_co_ci_u32_e64 v8, null, 0, v8, vcc_lo
	v_add_co_u32 v9, s0, s24, v9
	s_wait_alu 0xf1ff
	v_add_co_ci_u32_e64 v10, null, s25, v10, s0
	s_delay_alu instid0(VALU_DEP_3)
	v_cmp_le_i64_e32 vcc_lo, s[22:23], v[7:8]
	global_store_b64 v[9:10], v[2:3], off
	s_or_b32 s2, vcc_lo, s2
	s_wait_alu 0xfffe
	s_and_not1_b32 exec_lo, exec_lo, s2
	s_cbranch_execz .LBB26_89
.LBB26_83:                              ; =>This Loop Header: Depth=1
                                        ;     Child Loop BB26_85 Depth 2
	v_lshlrev_b64_e32 v[9:10], 3, v[7:8]
	s_mov_b32 s0, exec_lo
	s_delay_alu instid0(VALU_DEP_1) | instskip(SKIP_1) | instid1(VALU_DEP_2)
	v_add_co_u32 v1, vcc_lo, s12, v9
	s_wait_alu 0xfffd
	v_add_co_ci_u32_e64 v2, null, s13, v10, vcc_lo
	global_load_b128 v[1:4], v[1:2], off
	s_wait_loadcnt 0x0
	v_mov_b32_e32 v2, 0
	v_subrev_nc_u32_e32 v4, s30, v1
	v_subrev_nc_u32_e32 v12, s30, v3
	v_mov_b32_e32 v3, 0
	s_delay_alu instid0(VALU_DEP_2)
	v_cmpx_lt_i32_e64 v4, v12
	s_cbranch_execz .LBB26_87
; %bb.84:                               ;   in Loop: Header=BB26_83 Depth=1
	v_mov_b32_e32 v3, 0
	s_wait_alu 0xfffe
	v_lshl_add_u32 v1, v1, 3, s4
	s_mov_b32 s5, 0
	s_delay_alu instid0(VALU_DEP_2)
	v_mov_b32_e32 v2, v3
.LBB26_85:                              ;   Parent Loop BB26_83 Depth=1
                                        ; =>  This Inner Loop Header: Depth=2
	ds_load_b64 v[13:14], v1
	v_add_nc_u32_e32 v4, 1, v4
	v_add_nc_u32_e32 v1, 8, v1
	s_wait_dscnt 0x0
	v_add_f32_e32 v3, v3, v14
	s_delay_alu instid0(VALU_DEP_3)
	v_cmp_ge_i32_e32 vcc_lo, v4, v12
	v_add_f32_e32 v2, v2, v13
	s_wait_alu 0xfffe
	s_or_b32 s5, vcc_lo, s5
	s_wait_alu 0xfffe
	s_and_not1_b32 exec_lo, exec_lo, s5
	s_cbranch_execnz .LBB26_85
; %bb.86:                               ;   in Loop: Header=BB26_83 Depth=1
	s_or_b32 exec_lo, exec_lo, s5
.LBB26_87:                              ;   in Loop: Header=BB26_83 Depth=1
	s_wait_alu 0xfffe
	s_or_b32 exec_lo, exec_lo, s0
	s_and_saveexec_b32 s0, s3
	s_cbranch_execz .LBB26_82
; %bb.88:                               ;   in Loop: Header=BB26_83 Depth=1
	v_add_co_u32 v12, vcc_lo, s24, v9
	s_wait_alu 0xfffd
	v_add_co_ci_u32_e64 v13, null, s25, v10, vcc_lo
	global_load_b64 v[12:13], v[12:13], off
	s_wait_loadcnt 0x0
	v_fmac_f32_e32 v2, v5, v12
	v_fmac_f32_e32 v3, v6, v12
	s_delay_alu instid0(VALU_DEP_2) | instskip(NEXT) | instid1(VALU_DEP_2)
	v_fma_f32 v2, -v6, v13, v2
	v_fmac_f32_e32 v3, v5, v13
	s_branch .LBB26_82
.LBB26_89:
	s_wait_alu 0xfffe
	s_or_b32 exec_lo, exec_lo, s1
	s_mov_b32 s0, 0
.LBB26_90:
	s_wait_alu 0xfffe
	s_and_not1_b32 vcc_lo, exec_lo, s0
	s_wait_alu 0xfffe
	s_cbranch_vccnz .LBB26_115
; %bb.91:
	s_clz_i32_u32 s0, s26
	s_mov_b32 s1, exec_lo
	s_wait_alu 0xfffe
	s_xor_b32 s0, s0, 31
	s_wait_alu 0xfffe
	v_lshrrev_b32_e32 v7, s0, v0
	s_delay_alu instid0(VALU_DEP_1)
	v_add_co_u32 v1, s0, s20, v7
	s_wait_alu 0xf1ff
	v_add_co_ci_u32_e64 v2, null, s21, 0, s0
	s_add_co_i32 s0, s26, -1
	s_wait_alu 0xfffe
	v_dual_mov_b32 v3, 0 :: v_dual_and_b32 v0, s0, v0
	v_cmp_le_i64_e32 vcc_lo, s[22:23], v[1:2]
	s_delay_alu instid0(VALU_DEP_2)
	v_mov_b32_e32 v4, v3
	v_cmpx_gt_i64_e64 s[22:23], v[1:2]
	s_cbranch_execz .LBB26_97
; %bb.92:
	v_lshlrev_b32_e32 v3, 3, v7
	s_mov_b32 s2, exec_lo
	s_clause 0x1
	global_load_b32 v4, v3, s[28:29]
	global_load_b32 v3, v3, s[28:29] offset:8
	s_wait_loadcnt 0x1
	v_subrev_nc_u32_e32 v4, s30, v4
	s_wait_loadcnt 0x0
	v_subrev_nc_u32_e32 v7, s30, v3
	s_delay_alu instid0(VALU_DEP_2) | instskip(SKIP_1) | instid1(VALU_DEP_2)
	v_dual_mov_b32 v3, 0 :: v_dual_add_nc_u32 v8, v0, v4
	v_mov_b32_e32 v4, 0
	v_cmpx_lt_i32_e64 v8, v7
	s_cbranch_execz .LBB26_96
; %bb.93:
	v_dual_mov_b32 v4, 0 :: v_dual_lshlrev_b32 v9, 3, v8
	s_lshl_b32 s4, s26, 3
	s_mov_b32 s3, 0
	s_delay_alu instid0(VALU_DEP_1)
	v_mov_b32_e32 v3, v4
.LBB26_94:                              ; =>This Inner Loop Header: Depth=1
	ds_load_b64 v[12:13], v9
	v_add_nc_u32_e32 v8, s26, v8
	s_wait_alu 0xfffe
	v_add_nc_u32_e32 v9, s4, v9
	s_delay_alu instid0(VALU_DEP_2)
	v_cmp_ge_i32_e64 s0, v8, v7
	s_or_b32 s3, s0, s3
	s_wait_dscnt 0x0
	v_dual_add_f32 v3, v3, v12 :: v_dual_add_f32 v4, v4, v13
	s_wait_alu 0xfffe
	s_and_not1_b32 exec_lo, exec_lo, s3
	s_cbranch_execnz .LBB26_94
; %bb.95:
	s_or_b32 exec_lo, exec_lo, s3
.LBB26_96:
	s_wait_alu 0xfffe
	s_or_b32 exec_lo, exec_lo, s2
.LBB26_97:
	s_delay_alu instid0(SALU_CYCLE_1)
	s_or_b32 exec_lo, exec_lo, s1
	s_cmp_lt_u32 s26, 0x81
	s_wait_loadcnt 0x0
	s_wait_storecnt 0x0
	s_barrier_signal -1
	s_barrier_wait -1
	global_inv scope:SCOPE_SE
	ds_store_b64 v11, v[3:4]
	s_wait_loadcnt_dscnt 0x0
	s_barrier_signal -1
	s_barrier_wait -1
	global_inv scope:SCOPE_SE
	s_cbranch_scc1 .LBB26_99
; %bb.98:
	ds_load_b64 v[7:8], v11 offset:1024
	s_wait_loadcnt_dscnt 0x0
	s_barrier_signal -1
	s_barrier_wait -1
	global_inv scope:SCOPE_SE
	v_dual_add_f32 v3, v3, v7 :: v_dual_add_f32 v4, v4, v8
	ds_store_b64 v11, v[3:4]
.LBB26_99:
	s_cmp_lt_u32 s26, 0x41
	s_wait_loadcnt_dscnt 0x0
	s_barrier_signal -1
	s_barrier_wait -1
	global_inv scope:SCOPE_SE
	s_cbranch_scc1 .LBB26_101
; %bb.100:
	ds_load_b64 v[7:8], v11 offset:512
	s_wait_loadcnt_dscnt 0x0
	s_barrier_signal -1
	s_barrier_wait -1
	global_inv scope:SCOPE_SE
	v_dual_add_f32 v3, v3, v7 :: v_dual_add_f32 v4, v4, v8
	ds_store_b64 v11, v[3:4]
.LBB26_101:
	s_cmp_lt_u32 s26, 33
	s_wait_loadcnt_dscnt 0x0
	s_barrier_signal -1
	s_barrier_wait -1
	global_inv scope:SCOPE_SE
	s_cbranch_scc1 .LBB26_103
; %bb.102:
	ds_load_b64 v[7:8], v11 offset:256
	s_wait_loadcnt_dscnt 0x0
	s_barrier_signal -1
	s_barrier_wait -1
	global_inv scope:SCOPE_SE
	v_dual_add_f32 v3, v3, v7 :: v_dual_add_f32 v4, v4, v8
	ds_store_b64 v11, v[3:4]
.LBB26_103:
	s_cmp_lt_u32 s26, 17
	s_wait_loadcnt_dscnt 0x0
	s_barrier_signal -1
	s_barrier_wait -1
	global_inv scope:SCOPE_SE
	s_cbranch_scc1 .LBB26_105
; %bb.104:
	ds_load_b64 v[7:8], v11 offset:128
	s_wait_loadcnt_dscnt 0x0
	s_barrier_signal -1
	s_barrier_wait -1
	global_inv scope:SCOPE_SE
	v_dual_add_f32 v3, v3, v7 :: v_dual_add_f32 v4, v4, v8
	ds_store_b64 v11, v[3:4]
.LBB26_105:
	s_cmp_lt_u32 s26, 9
	s_wait_loadcnt_dscnt 0x0
	s_barrier_signal -1
	s_barrier_wait -1
	global_inv scope:SCOPE_SE
	s_cbranch_scc1 .LBB26_107
; %bb.106:
	ds_load_b64 v[7:8], v11 offset:64
	s_wait_loadcnt_dscnt 0x0
	s_barrier_signal -1
	s_barrier_wait -1
	global_inv scope:SCOPE_SE
	v_dual_add_f32 v3, v3, v7 :: v_dual_add_f32 v4, v4, v8
	ds_store_b64 v11, v[3:4]
.LBB26_107:
	s_cmp_lt_u32 s26, 5
	s_wait_loadcnt_dscnt 0x0
	s_barrier_signal -1
	s_barrier_wait -1
	global_inv scope:SCOPE_SE
	s_cbranch_scc1 .LBB26_109
; %bb.108:
	ds_load_b64 v[7:8], v11 offset:32
	s_wait_loadcnt_dscnt 0x0
	s_barrier_signal -1
	s_barrier_wait -1
	global_inv scope:SCOPE_SE
	v_dual_add_f32 v3, v3, v7 :: v_dual_add_f32 v4, v4, v8
	ds_store_b64 v11, v[3:4]
.LBB26_109:
	s_cmp_eq_u32 s26, 2
	s_wait_loadcnt_dscnt 0x0
	s_barrier_signal -1
	s_barrier_wait -1
	global_inv scope:SCOPE_SE
	s_cbranch_scc1 .LBB26_111
; %bb.110:
	ds_load_b64 v[7:8], v11 offset:16
	s_wait_loadcnt_dscnt 0x0
	s_barrier_signal -1
	s_barrier_wait -1
	global_inv scope:SCOPE_SE
	v_dual_add_f32 v3, v3, v7 :: v_dual_add_f32 v4, v4, v8
	ds_store_b64 v11, v[3:4]
.LBB26_111:
	s_wait_loadcnt_dscnt 0x0
	s_barrier_signal -1
	s_barrier_wait -1
	global_inv scope:SCOPE_SE
	ds_load_b64 v[7:8], v11 offset:8
	v_cmp_eq_u32_e64 s0, 0, v0
	s_xor_b32 s1, vcc_lo, -1
	s_wait_loadcnt_dscnt 0x0
	s_barrier_signal -1
	s_barrier_wait -1
	s_wait_alu 0xfffe
	s_and_b32 s0, s0, s1
	global_inv scope:SCOPE_SE
	v_dual_add_f32 v3, v3, v7 :: v_dual_add_f32 v4, v4, v8
	ds_store_b64 v11, v[3:4]
	s_wait_alu 0xfffe
	s_and_b32 exec_lo, exec_lo, s0
	s_cbranch_execz .LBB26_115
; %bb.112:
	v_cmp_neq_f32_e32 vcc_lo, 0, v5
	v_cmp_neq_f32_e64 s0, 0, v6
	v_lshlrev_b64_e32 v[0:1], 3, v[1:2]
	s_or_b32 s1, vcc_lo, s0
	s_wait_alu 0xfffe
	s_and_saveexec_b32 s0, s1
	s_cbranch_execz .LBB26_114
; %bb.113:
	s_delay_alu instid0(VALU_DEP_1)
	v_add_co_u32 v7, vcc_lo, s24, v0
	s_wait_alu 0xfffd
	v_add_co_ci_u32_e64 v8, null, s25, v1, vcc_lo
	global_load_b64 v[7:8], v[7:8], off
	s_wait_loadcnt 0x0
	v_fmac_f32_e32 v3, v5, v7
	v_fmac_f32_e32 v4, v6, v7
	s_delay_alu instid0(VALU_DEP_2) | instskip(NEXT) | instid1(VALU_DEP_2)
	v_fma_f32 v3, -v6, v8, v3
	v_fmac_f32_e32 v4, v5, v8
.LBB26_114:
	s_wait_alu 0xfffe
	s_or_b32 exec_lo, exec_lo, s0
	v_add_co_u32 v0, vcc_lo, s24, v0
	s_wait_alu 0xfffd
	v_add_co_ci_u32_e64 v1, null, s25, v1, vcc_lo
	global_store_b64 v[0:1], v[3:4], off
.LBB26_115:
	s_endpgm
	.section	.rodata,"a",@progbits
	.p2align	6, 0x0
	.amdhsa_kernel _ZN9rocsparseL22csrmvn_adaptive_kernelIli21rocsparse_complex_numIfES2_S2_S2_EEvbT_PKS3_PjPKT0_NS_24const_host_device_scalarIT4_EES5_S9_PKT1_PKT2_SC_PT3_21rocsparse_index_base_b
		.amdhsa_group_segment_fixed_size 8192
		.amdhsa_private_segment_fixed_size 0
		.amdhsa_kernarg_size 104
		.amdhsa_user_sgpr_count 2
		.amdhsa_user_sgpr_dispatch_ptr 0
		.amdhsa_user_sgpr_queue_ptr 0
		.amdhsa_user_sgpr_kernarg_segment_ptr 1
		.amdhsa_user_sgpr_dispatch_id 0
		.amdhsa_user_sgpr_private_segment_size 0
		.amdhsa_wavefront_size32 1
		.amdhsa_uses_dynamic_stack 0
		.amdhsa_enable_private_segment 0
		.amdhsa_system_sgpr_workgroup_id_x 1
		.amdhsa_system_sgpr_workgroup_id_y 0
		.amdhsa_system_sgpr_workgroup_id_z 0
		.amdhsa_system_sgpr_workgroup_info 0
		.amdhsa_system_vgpr_workitem_id 0
		.amdhsa_next_free_vgpr 29
		.amdhsa_next_free_sgpr 52
		.amdhsa_reserve_vcc 1
		.amdhsa_float_round_mode_32 0
		.amdhsa_float_round_mode_16_64 0
		.amdhsa_float_denorm_mode_32 3
		.amdhsa_float_denorm_mode_16_64 3
		.amdhsa_fp16_overflow 0
		.amdhsa_workgroup_processor_mode 1
		.amdhsa_memory_ordered 1
		.amdhsa_forward_progress 1
		.amdhsa_inst_pref_size 47
		.amdhsa_round_robin_scheduling 0
		.amdhsa_exception_fp_ieee_invalid_op 0
		.amdhsa_exception_fp_denorm_src 0
		.amdhsa_exception_fp_ieee_div_zero 0
		.amdhsa_exception_fp_ieee_overflow 0
		.amdhsa_exception_fp_ieee_underflow 0
		.amdhsa_exception_fp_ieee_inexact 0
		.amdhsa_exception_int_div_zero 0
	.end_amdhsa_kernel
	.section	.text._ZN9rocsparseL22csrmvn_adaptive_kernelIli21rocsparse_complex_numIfES2_S2_S2_EEvbT_PKS3_PjPKT0_NS_24const_host_device_scalarIT4_EES5_S9_PKT1_PKT2_SC_PT3_21rocsparse_index_base_b,"axG",@progbits,_ZN9rocsparseL22csrmvn_adaptive_kernelIli21rocsparse_complex_numIfES2_S2_S2_EEvbT_PKS3_PjPKT0_NS_24const_host_device_scalarIT4_EES5_S9_PKT1_PKT2_SC_PT3_21rocsparse_index_base_b,comdat
.Lfunc_end26:
	.size	_ZN9rocsparseL22csrmvn_adaptive_kernelIli21rocsparse_complex_numIfES2_S2_S2_EEvbT_PKS3_PjPKT0_NS_24const_host_device_scalarIT4_EES5_S9_PKT1_PKT2_SC_PT3_21rocsparse_index_base_b, .Lfunc_end26-_ZN9rocsparseL22csrmvn_adaptive_kernelIli21rocsparse_complex_numIfES2_S2_S2_EEvbT_PKS3_PjPKT0_NS_24const_host_device_scalarIT4_EES5_S9_PKT1_PKT2_SC_PT3_21rocsparse_index_base_b
                                        ; -- End function
	.set _ZN9rocsparseL22csrmvn_adaptive_kernelIli21rocsparse_complex_numIfES2_S2_S2_EEvbT_PKS3_PjPKT0_NS_24const_host_device_scalarIT4_EES5_S9_PKT1_PKT2_SC_PT3_21rocsparse_index_base_b.num_vgpr, 29
	.set _ZN9rocsparseL22csrmvn_adaptive_kernelIli21rocsparse_complex_numIfES2_S2_S2_EEvbT_PKS3_PjPKT0_NS_24const_host_device_scalarIT4_EES5_S9_PKT1_PKT2_SC_PT3_21rocsparse_index_base_b.num_agpr, 0
	.set _ZN9rocsparseL22csrmvn_adaptive_kernelIli21rocsparse_complex_numIfES2_S2_S2_EEvbT_PKS3_PjPKT0_NS_24const_host_device_scalarIT4_EES5_S9_PKT1_PKT2_SC_PT3_21rocsparse_index_base_b.numbered_sgpr, 52
	.set _ZN9rocsparseL22csrmvn_adaptive_kernelIli21rocsparse_complex_numIfES2_S2_S2_EEvbT_PKS3_PjPKT0_NS_24const_host_device_scalarIT4_EES5_S9_PKT1_PKT2_SC_PT3_21rocsparse_index_base_b.num_named_barrier, 0
	.set _ZN9rocsparseL22csrmvn_adaptive_kernelIli21rocsparse_complex_numIfES2_S2_S2_EEvbT_PKS3_PjPKT0_NS_24const_host_device_scalarIT4_EES5_S9_PKT1_PKT2_SC_PT3_21rocsparse_index_base_b.private_seg_size, 0
	.set _ZN9rocsparseL22csrmvn_adaptive_kernelIli21rocsparse_complex_numIfES2_S2_S2_EEvbT_PKS3_PjPKT0_NS_24const_host_device_scalarIT4_EES5_S9_PKT1_PKT2_SC_PT3_21rocsparse_index_base_b.uses_vcc, 1
	.set _ZN9rocsparseL22csrmvn_adaptive_kernelIli21rocsparse_complex_numIfES2_S2_S2_EEvbT_PKS3_PjPKT0_NS_24const_host_device_scalarIT4_EES5_S9_PKT1_PKT2_SC_PT3_21rocsparse_index_base_b.uses_flat_scratch, 0
	.set _ZN9rocsparseL22csrmvn_adaptive_kernelIli21rocsparse_complex_numIfES2_S2_S2_EEvbT_PKS3_PjPKT0_NS_24const_host_device_scalarIT4_EES5_S9_PKT1_PKT2_SC_PT3_21rocsparse_index_base_b.has_dyn_sized_stack, 0
	.set _ZN9rocsparseL22csrmvn_adaptive_kernelIli21rocsparse_complex_numIfES2_S2_S2_EEvbT_PKS3_PjPKT0_NS_24const_host_device_scalarIT4_EES5_S9_PKT1_PKT2_SC_PT3_21rocsparse_index_base_b.has_recursion, 0
	.set _ZN9rocsparseL22csrmvn_adaptive_kernelIli21rocsparse_complex_numIfES2_S2_S2_EEvbT_PKS3_PjPKT0_NS_24const_host_device_scalarIT4_EES5_S9_PKT1_PKT2_SC_PT3_21rocsparse_index_base_b.has_indirect_call, 0
	.section	.AMDGPU.csdata,"",@progbits
; Kernel info:
; codeLenInByte = 5984
; TotalNumSgprs: 54
; NumVgprs: 29
; ScratchSize: 0
; MemoryBound: 0
; FloatMode: 240
; IeeeMode: 1
; LDSByteSize: 8192 bytes/workgroup (compile time only)
; SGPRBlocks: 0
; VGPRBlocks: 3
; NumSGPRsForWavesPerEU: 54
; NumVGPRsForWavesPerEU: 29
; Occupancy: 16
; WaveLimiterHint : 1
; COMPUTE_PGM_RSRC2:SCRATCH_EN: 0
; COMPUTE_PGM_RSRC2:USER_SGPR: 2
; COMPUTE_PGM_RSRC2:TRAP_HANDLER: 0
; COMPUTE_PGM_RSRC2:TGID_X_EN: 1
; COMPUTE_PGM_RSRC2:TGID_Y_EN: 0
; COMPUTE_PGM_RSRC2:TGID_Z_EN: 0
; COMPUTE_PGM_RSRC2:TIDIG_COMP_CNT: 0
	.section	.text._ZN9rocsparseL27csrmvn_symm_adaptive_kernelIli21rocsparse_complex_numIfES2_S2_S2_EEvbT_S3_PKS3_NS_24const_host_device_scalarIT4_EES5_PKT0_PKT1_PKT2_S8_PT3_21rocsparse_index_base_b,"axG",@progbits,_ZN9rocsparseL27csrmvn_symm_adaptive_kernelIli21rocsparse_complex_numIfES2_S2_S2_EEvbT_S3_PKS3_NS_24const_host_device_scalarIT4_EES5_PKT0_PKT1_PKT2_S8_PT3_21rocsparse_index_base_b,comdat
	.globl	_ZN9rocsparseL27csrmvn_symm_adaptive_kernelIli21rocsparse_complex_numIfES2_S2_S2_EEvbT_S3_PKS3_NS_24const_host_device_scalarIT4_EES5_PKT0_PKT1_PKT2_S8_PT3_21rocsparse_index_base_b ; -- Begin function _ZN9rocsparseL27csrmvn_symm_adaptive_kernelIli21rocsparse_complex_numIfES2_S2_S2_EEvbT_S3_PKS3_NS_24const_host_device_scalarIT4_EES5_PKT0_PKT1_PKT2_S8_PT3_21rocsparse_index_base_b
	.p2align	8
	.type	_ZN9rocsparseL27csrmvn_symm_adaptive_kernelIli21rocsparse_complex_numIfES2_S2_S2_EEvbT_S3_PKS3_NS_24const_host_device_scalarIT4_EES5_PKT0_PKT1_PKT2_S8_PT3_21rocsparse_index_base_b,@function
_ZN9rocsparseL27csrmvn_symm_adaptive_kernelIli21rocsparse_complex_numIfES2_S2_S2_EEvbT_S3_PKS3_NS_24const_host_device_scalarIT4_EES5_PKT0_PKT1_PKT2_S8_PT3_21rocsparse_index_base_b: ; @_ZN9rocsparseL27csrmvn_symm_adaptive_kernelIli21rocsparse_complex_numIfES2_S2_S2_EEvbT_S3_PKS3_NS_24const_host_device_scalarIT4_EES5_PKT0_PKT1_PKT2_S8_PT3_21rocsparse_index_base_b
; %bb.0:
	s_clause 0x1
	s_load_b64 s[24:25], s[0:1], 0x58
	s_load_b64 s[4:5], s[0:1], 0x20
	s_add_nc_u64 s[6:7], s[0:1], 32
	s_wait_kmcnt 0x0
	s_bitcmp1_b32 s25, 0
	s_cselect_b32 s3, -1, 0
	s_delay_alu instid0(SALU_CYCLE_1) | instskip(SKIP_2) | instid1(SALU_CYCLE_1)
	s_and_b32 s2, s3, exec_lo
	s_cselect_b32 s2, s6, s4
	s_cselect_b32 s4, s7, s5
	v_dual_mov_b32 v1, s2 :: v_dual_mov_b32 v2, s4
	flat_load_b64 v[6:7], v[1:2]
	s_wait_loadcnt_dscnt 0x0
	v_cmp_eq_f32_e32 vcc_lo, 0, v6
	v_cmp_eq_f32_e64 s2, 0, v7
	s_and_b32 s5, vcc_lo, s2
	s_mov_b32 s2, -1
	s_wait_alu 0xfffe
	s_and_saveexec_b32 s4, s5
	s_cbranch_execz .LBB27_2
; %bb.1:
	s_load_b64 s[6:7], s[0:1], 0x48
	s_add_nc_u64 s[8:9], s[0:1], 0x48
	s_and_b32 s2, s3, exec_lo
	s_wait_kmcnt 0x0
	s_cselect_b32 s2, s8, s6
	s_cselect_b32 s3, s9, s7
	s_wait_alu 0xfffe
	v_dual_mov_b32 v1, s2 :: v_dual_mov_b32 v2, s3
	flat_load_b64 v[1:2], v[1:2]
	s_wait_loadcnt_dscnt 0x0
	v_cmp_neq_f32_e32 vcc_lo, 1.0, v1
	v_cmp_neq_f32_e64 s2, 0, v2
	s_or_b32 s2, vcc_lo, s2
	s_wait_alu 0xfffe
	s_or_not1_b32 s2, s2, exec_lo
.LBB27_2:
	s_wait_alu 0xfffe
	s_or_b32 exec_lo, exec_lo, s4
	s_and_saveexec_b32 s3, s2
	s_cbranch_execz .LBB27_141
; %bb.3:
	s_clause 0x1
	s_load_b32 s3, s[0:1], 0x0
	s_load_b64 s[4:5], s[0:1], 0x18
	s_mov_b32 s25, 0
	s_mov_b32 s2, ttmp9
	s_mov_b32 s6, s25
	s_mov_b32 s7, s25
	v_dual_mov_b32 v1, s6 :: v_dual_lshlrev_b32 v16, 3, v0
	v_mov_b32_e32 v2, s7
	ds_store_2addr_stride64_b64 v16, v[1:2], v[1:2] offset1:4
	ds_store_2addr_stride64_b64 v16, v[1:2], v[1:2] offset0:8 offset1:12
	s_wait_dscnt 0x0
	s_barrier_signal -1
	s_barrier_wait -1
	global_inv scope:SCOPE_SE
	s_wait_kmcnt 0x0
	s_bitcmp1_b32 s3, 0
	s_cselect_b32 s33, -1, 0
	s_ashr_i32 s3, ttmp9, 31
	s_wait_alu 0xfffe
	s_lshl_b64 s[2:3], s[2:3], 3
	s_wait_alu 0xfffe
	s_add_nc_u64 s[2:3], s[4:5], s[2:3]
	s_load_b128 s[16:19], s[2:3], 0x0
	s_clause 0x1
	s_load_b256 s[8:15], s[0:1], 0x28
	s_load_b64 s[20:21], s[0:1], 0x50
	s_wait_kmcnt 0x0
	s_sub_nc_u64 s[22:23], s[18:19], s[16:17]
	s_delay_alu instid0(SALU_CYCLE_1)
	v_cmp_gt_i64_e64 s2, s[22:23], 2
	s_and_b32 vcc_lo, exec_lo, s2
	s_mov_b32 s2, -1
	s_cbranch_vccnz .LBB27_40
; %bb.4:
	v_cmp_le_i64_e64 s2, s[18:19], s[16:17]
	v_sub_co_u32 v5, s3, v0, s24
	v_mov_b32_e32 v13, 0
	s_wait_alu 0xf1ff
	v_sub_co_ci_u32_e64 v12, null, 0, 0, s3
	s_wait_alu 0xfffe
	s_and_b32 vcc_lo, exec_lo, s2
	s_cbranch_vccnz .LBB27_30
; %bb.5:
	v_cmp_gt_u32_e64 s2, 0x100, v0
	v_cmp_gt_u32_e64 s3, 64, v0
	v_cmp_gt_u32_e64 s4, 16, v0
	v_cmp_gt_u32_e64 s5, 4, v0
	v_cmp_eq_u32_e64 s6, 0, v0
	s_add_nc_u64 s[26:27], s[12:13], 4
	s_mov_b64 s[28:29], s[16:17]
	s_branch .LBB27_7
.LBB27_6:                               ;   in Loop: Header=BB27_7 Depth=1
	s_wait_alu 0xfffe
	s_or_b32 exec_lo, exec_lo, s7
	s_add_nc_u64 s[28:29], s[28:29], 1
	s_wait_alu 0xfffe
	v_cmp_ge_i64_e64 s7, s[28:29], s[18:19]
	s_and_b32 vcc_lo, exec_lo, s7
	s_wait_alu 0xfffe
	s_cbranch_vccnz .LBB27_30
.LBB27_7:                               ; =>This Loop Header: Depth=1
                                        ;     Child Loop BB27_9 Depth 2
                                        ;     Child Loop BB27_23 Depth 2
	;; [unrolled: 1-line block ×3, first 2 shown]
	s_lshl_b64 s[30:31], s[28:29], 3
	v_dual_mov_b32 v4, 0 :: v_dual_mov_b32 v3, 0
	s_add_nc_u64 s[34:35], s[8:9], s[30:31]
	s_load_b128 s[36:39], s[34:35], 0x0
	s_wait_kmcnt 0x0
	v_add_co_u32 v1, vcc_lo, s36, v5
	s_wait_alu 0xfffd
	v_add_co_ci_u32_e64 v2, null, s37, v12, vcc_lo
	s_sub_nc_u64 s[34:35], s[38:39], s[24:25]
	s_mov_b32 s36, exec_lo
	s_wait_alu 0xfffe
	v_cmpx_gt_i64_e64 s[34:35], v[1:2]
	s_cbranch_execz .LBB27_11
; %bb.8:                                ;   in Loop: Header=BB27_7 Depth=1
	v_lshlrev_b64_e32 v[8:9], 2, v[1:2]
	v_lshlrev_b64_e32 v[10:11], 3, v[1:2]
	v_mov_b32_e32 v4, 0
	s_mov_b32 s37, 0
	s_delay_alu instid0(VALU_DEP_3)
	v_add_co_u32 v8, vcc_lo, s10, v8
	s_wait_alu 0xfffd
	v_add_co_ci_u32_e64 v9, null, s11, v9, vcc_lo
	v_add_co_u32 v10, vcc_lo, s26, v10
	s_wait_alu 0xfffd
	v_add_co_ci_u32_e64 v11, null, s27, v11, vcc_lo
	v_mov_b32_e32 v3, v4
.LBB27_9:                               ;   Parent Loop BB27_7 Depth=1
                                        ; =>  This Inner Loop Header: Depth=2
	global_load_b32 v14, v[8:9], off
	global_load_b64 v[17:18], v[10:11], off offset:-4
	s_wait_loadcnt 0x1
	v_subrev_nc_u32_e32 v14, s24, v14
	s_wait_loadcnt 0x0
	v_cndmask_b32_e64 v18, v18, -v18, s33
	s_delay_alu instid0(VALU_DEP_2) | instskip(NEXT) | instid1(VALU_DEP_1)
	v_ashrrev_i32_e32 v15, 31, v14
	v_lshlrev_b64_e32 v[14:15], 3, v[14:15]
	s_delay_alu instid0(VALU_DEP_1) | instskip(SKIP_1) | instid1(VALU_DEP_2)
	v_add_co_u32 v14, vcc_lo, s14, v14
	s_wait_alu 0xfffd
	v_add_co_ci_u32_e64 v15, null, s15, v15, vcc_lo
	v_add_co_u32 v1, vcc_lo, 0x100, v1
	s_wait_alu 0xfffd
	v_add_co_ci_u32_e64 v2, null, 0, v2, vcc_lo
	global_load_b64 v[14:15], v[14:15], off
	v_add_co_u32 v8, vcc_lo, 0x400, v8
	v_cmp_le_i64_e64 s7, s[34:35], v[1:2]
	s_wait_alu 0xfffd
	v_add_co_ci_u32_e64 v9, null, 0, v9, vcc_lo
	v_add_co_u32 v10, vcc_lo, 0x800, v10
	s_wait_alu 0xfffd
	v_add_co_ci_u32_e64 v11, null, 0, v11, vcc_lo
	s_wait_alu 0xfffe
	s_or_b32 s37, s7, s37
	s_wait_loadcnt 0x0
	v_fmac_f32_e32 v3, v17, v14
	v_fmac_f32_e32 v4, v18, v14
	s_delay_alu instid0(VALU_DEP_2) | instskip(NEXT) | instid1(VALU_DEP_2)
	v_fma_f32 v3, -v18, v15, v3
	v_fmac_f32_e32 v4, v17, v15
	s_wait_alu 0xfffe
	s_and_not1_b32 exec_lo, exec_lo, s37
	s_cbranch_execnz .LBB27_9
; %bb.10:                               ;   in Loop: Header=BB27_7 Depth=1
	s_or_b32 exec_lo, exec_lo, s37
.LBB27_11:                              ;   in Loop: Header=BB27_7 Depth=1
	s_wait_alu 0xfffe
	s_or_b32 exec_lo, exec_lo, s36
	ds_store_b64 v16, v[3:4]
	s_wait_loadcnt_dscnt 0x0
	s_barrier_signal -1
	s_barrier_wait -1
	global_inv scope:SCOPE_SE
	s_and_saveexec_b32 s7, s2
	s_cbranch_execz .LBB27_13
; %bb.12:                               ;   in Loop: Header=BB27_7 Depth=1
	ds_load_2addr_stride64_b64 v[1:4], v16 offset1:4
	ds_load_2addr_stride64_b64 v[8:11], v16 offset0:8 offset1:12
	s_wait_dscnt 0x0
	v_dual_add_f32 v3, v8, v3 :: v_dual_add_f32 v4, v9, v4
	s_delay_alu instid0(VALU_DEP_1) | instskip(NEXT) | instid1(VALU_DEP_1)
	v_dual_add_f32 v3, v10, v3 :: v_dual_add_f32 v4, v11, v4
	v_dual_add_f32 v1, v3, v1 :: v_dual_add_f32 v2, v4, v2
	ds_store_b64 v16, v[1:2]
.LBB27_13:                              ;   in Loop: Header=BB27_7 Depth=1
	s_wait_alu 0xfffe
	s_or_b32 exec_lo, exec_lo, s7
	s_wait_loadcnt_dscnt 0x0
	s_barrier_signal -1
	s_barrier_wait -1
	global_inv scope:SCOPE_SE
	s_and_saveexec_b32 s7, s3
	s_cbranch_execz .LBB27_15
; %bb.14:                               ;   in Loop: Header=BB27_7 Depth=1
	ds_load_2addr_stride64_b64 v[1:4], v16 offset1:1
	ds_load_2addr_stride64_b64 v[8:11], v16 offset0:2 offset1:3
	s_wait_dscnt 0x0
	v_dual_add_f32 v3, v8, v3 :: v_dual_add_f32 v4, v9, v4
	s_delay_alu instid0(VALU_DEP_1) | instskip(NEXT) | instid1(VALU_DEP_1)
	v_dual_add_f32 v3, v10, v3 :: v_dual_add_f32 v4, v11, v4
	v_dual_add_f32 v1, v3, v1 :: v_dual_add_f32 v2, v4, v2
	ds_store_b64 v16, v[1:2]
.LBB27_15:                              ;   in Loop: Header=BB27_7 Depth=1
	s_wait_alu 0xfffe
	s_or_b32 exec_lo, exec_lo, s7
	s_wait_loadcnt_dscnt 0x0
	s_barrier_signal -1
	s_barrier_wait -1
	global_inv scope:SCOPE_SE
	s_and_saveexec_b32 s7, s4
	s_cbranch_execz .LBB27_17
; %bb.16:                               ;   in Loop: Header=BB27_7 Depth=1
	ds_load_2addr_b64 v[1:4], v16 offset1:16
	ds_load_2addr_b64 v[8:11], v16 offset0:32 offset1:48
	s_wait_dscnt 0x0
	v_dual_add_f32 v3, v8, v3 :: v_dual_add_f32 v4, v9, v4
	s_delay_alu instid0(VALU_DEP_1) | instskip(NEXT) | instid1(VALU_DEP_1)
	v_dual_add_f32 v3, v10, v3 :: v_dual_add_f32 v4, v11, v4
	v_dual_add_f32 v1, v3, v1 :: v_dual_add_f32 v2, v4, v2
	ds_store_b64 v16, v[1:2]
.LBB27_17:                              ;   in Loop: Header=BB27_7 Depth=1
	s_wait_alu 0xfffe
	s_or_b32 exec_lo, exec_lo, s7
	s_wait_loadcnt_dscnt 0x0
	s_barrier_signal -1
	s_barrier_wait -1
	global_inv scope:SCOPE_SE
	s_and_saveexec_b32 s7, s5
	s_cbranch_execz .LBB27_19
; %bb.18:                               ;   in Loop: Header=BB27_7 Depth=1
	ds_load_2addr_b64 v[1:4], v16 offset1:4
	ds_load_2addr_b64 v[8:11], v16 offset0:8 offset1:12
	s_wait_dscnt 0x0
	v_dual_add_f32 v3, v8, v3 :: v_dual_add_f32 v4, v9, v4
	s_delay_alu instid0(VALU_DEP_1) | instskip(NEXT) | instid1(VALU_DEP_1)
	v_dual_add_f32 v3, v10, v3 :: v_dual_add_f32 v4, v11, v4
	v_dual_add_f32 v1, v3, v1 :: v_dual_add_f32 v2, v4, v2
	ds_store_b64 v16, v[1:2]
.LBB27_19:                              ;   in Loop: Header=BB27_7 Depth=1
	s_wait_alu 0xfffe
	s_or_b32 exec_lo, exec_lo, s7
	s_wait_loadcnt_dscnt 0x0
	s_barrier_signal -1
	s_barrier_wait -1
	global_inv scope:SCOPE_SE
	s_and_saveexec_b32 s7, s6
	s_cbranch_execz .LBB27_21
; %bb.20:                               ;   in Loop: Header=BB27_7 Depth=1
	ds_load_b128 v[1:4], v13 offset:16
	ds_load_b64 v[8:9], v13 offset:8
	ds_load_b64 v[10:11], v16
	s_wait_dscnt 0x1
	v_dual_add_f32 v1, v1, v8 :: v_dual_add_f32 v2, v2, v9
	s_delay_alu instid0(VALU_DEP_1) | instskip(SKIP_1) | instid1(VALU_DEP_1)
	v_dual_add_f32 v1, v3, v1 :: v_dual_add_f32 v2, v4, v2
	s_wait_dscnt 0x0
	v_dual_add_f32 v1, v1, v10 :: v_dual_add_f32 v2, v2, v11
	ds_store_b64 v16, v[1:2]
.LBB27_21:                              ;   in Loop: Header=BB27_7 Depth=1
	s_wait_alu 0xfffe
	s_or_b32 exec_lo, exec_lo, s7
	s_wait_loadcnt_dscnt 0x0
	s_barrier_signal -1
	s_barrier_wait -1
	global_inv scope:SCOPE_SE
	s_and_saveexec_b32 s7, s6
	s_cbranch_execz .LBB27_6
; %bb.22:                               ;   in Loop: Header=BB27_7 Depth=1
	ds_load_b64 v[1:2], v13
	s_mov_b32 s35, exec_lo
	s_brev_b32 s34, 1
	s_wait_dscnt 0x0
	v_mul_f32_e64 v3, v2, -v7
	s_delay_alu instid0(VALU_DEP_1)
	v_fmac_f32_e32 v3, v6, v1
.LBB27_23:                              ;   Parent Loop BB27_7 Depth=1
                                        ; =>  This Inner Loop Header: Depth=2
	s_wait_alu 0xfffe
	s_ctz_i32_b32 s36, s35
	s_wait_alu 0xfffe
	s_delay_alu instid0(VALU_DEP_1)
	v_readlane_b32 s37, v3, s36
	s_lshl_b32 s36, 1, s36
	s_wait_alu 0xfffe
	s_and_not1_b32 s35, s35, s36
	s_wait_alu 0xfffe
	s_cmp_lg_u32 s35, 0
	s_add_f32 s34, s34, s37
	s_cbranch_scc1 .LBB27_23
; %bb.24:                               ;   in Loop: Header=BB27_7 Depth=1
	v_mbcnt_lo_u32_b32 v3, exec_lo, 0
	s_add_nc_u64 s[30:31], s[20:21], s[30:31]
	s_mov_b32 s35, exec_lo
	s_delay_alu instid0(VALU_DEP_1)
	v_cmpx_eq_u32_e32 0, v3
	s_wait_alu 0xfffe
	s_xor_b32 s35, exec_lo, s35
	s_cbranch_execz .LBB27_26
; %bb.25:                               ;   in Loop: Header=BB27_7 Depth=1
	v_mov_b32_e32 v3, s34
	global_atomic_add_f32 v13, v3, s[30:31] scope:SCOPE_DEV
.LBB27_26:                              ;   in Loop: Header=BB27_7 Depth=1
	s_wait_alu 0xfffe
	s_or_b32 exec_lo, exec_lo, s35
	v_mul_f32_e32 v2, v6, v2
	s_mov_b32 s35, exec_lo
	s_brev_b32 s34, 1
	s_delay_alu instid0(VALU_DEP_1)
	v_fmac_f32_e32 v2, v7, v1
.LBB27_27:                              ;   Parent Loop BB27_7 Depth=1
                                        ; =>  This Inner Loop Header: Depth=2
	s_wait_alu 0xfffe
	s_ctz_i32_b32 s36, s35
	s_wait_alu 0xfffe
	s_delay_alu instid0(VALU_DEP_1)
	v_readlane_b32 s37, v2, s36
	s_lshl_b32 s36, 1, s36
	s_wait_alu 0xfffe
	s_and_not1_b32 s35, s35, s36
	s_wait_alu 0xfffe
	s_cmp_lg_u32 s35, 0
	s_add_f32 s34, s34, s37
	s_cbranch_scc1 .LBB27_27
; %bb.28:                               ;   in Loop: Header=BB27_7 Depth=1
	v_mbcnt_lo_u32_b32 v1, exec_lo, 0
	s_mov_b32 s35, exec_lo
	s_delay_alu instid0(VALU_DEP_1)
	v_cmpx_eq_u32_e32 0, v1
	s_wait_alu 0xfffe
	s_xor_b32 s35, exec_lo, s35
	s_cbranch_execz .LBB27_6
; %bb.29:                               ;   in Loop: Header=BB27_7 Depth=1
	v_mov_b32_e32 v1, s34
	global_atomic_add_f32 v13, v1, s[30:31] offset:4 scope:SCOPE_DEV
	s_branch .LBB27_6
.LBB27_30:
	s_lshl_b64 s[2:3], s[16:17], 3
	s_lshl_b64 s[4:5], s[18:19], 3
	s_wait_alu 0xfffe
	s_add_nc_u64 s[2:3], s[8:9], s[2:3]
	s_add_nc_u64 s[4:5], s[8:9], s[4:5]
	s_clause 0x1
	s_load_b64 s[2:3], s[2:3], 0x0
	s_load_b64 s[4:5], s[4:5], 0x0
	s_wait_kmcnt 0x0
	v_add_co_u32 v1, vcc_lo, s2, v5
	s_wait_alu 0xfffd
	v_add_co_ci_u32_e64 v2, null, s3, v12, vcc_lo
	s_sub_nc_u64 s[4:5], s[4:5], s[24:25]
	s_mov_b32 s3, exec_lo
	s_wait_alu 0xfffe
	v_cmpx_gt_i64_e64 s[4:5], v[1:2]
	s_cbranch_execz .LBB27_39
; %bb.31:
	s_add_nc_u64 s[6:7], s[18:19], -1
	s_add_nc_u64 s[26:27], s[18:19], -2
	s_wait_alu 0xfffe
	v_cmp_lt_i64_e64 s2, s[16:17], s[6:7]
	s_cmp_lg_u64 s[16:17], s[26:27]
	s_mov_b32 s26, 0
	s_cselect_b32 s25, -1, 0
	s_wait_alu 0xfffe
	s_and_b32 s25, s2, s25
	s_branch .LBB27_33
.LBB27_32:                              ;   in Loop: Header=BB27_33 Depth=1
	s_wait_alu 0xfffe
	s_or_b32 exec_lo, exec_lo, s2
	v_add_co_u32 v1, vcc_lo, 0x100, v1
	s_wait_alu 0xfffd
	v_add_co_ci_u32_e64 v2, null, 0, v2, vcc_lo
	s_delay_alu instid0(VALU_DEP_1)
	v_cmp_le_i64_e32 vcc_lo, s[4:5], v[1:2]
	s_or_b32 s26, vcc_lo, s26
	s_wait_alu 0xfffe
	s_and_not1_b32 exec_lo, exec_lo, s26
	s_cbranch_execz .LBB27_39
.LBB27_33:                              ; =>This Loop Header: Depth=1
                                        ;     Child Loop BB27_35 Depth 2
	v_dual_mov_b32 v3, s16 :: v_dual_mov_b32 v4, s17
	v_dual_mov_b32 v9, s7 :: v_dual_mov_b32 v8, s6
	s_wait_alu 0xfffe
	s_and_not1_b32 vcc_lo, exec_lo, s25
	s_wait_alu 0xfffe
	s_cbranch_vccnz .LBB27_37
; %bb.34:                               ;   in Loop: Header=BB27_33 Depth=1
	v_dual_mov_b32 v3, s16 :: v_dual_mov_b32 v4, s17
	v_dual_mov_b32 v9, s7 :: v_dual_mov_b32 v8, s6
	s_mov_b32 s27, 0
.LBB27_35:                              ;   Parent Loop BB27_33 Depth=1
                                        ; =>  This Inner Loop Header: Depth=2
	s_delay_alu instid0(VALU_DEP_1) | instskip(SKIP_1) | instid1(VALU_DEP_2)
	v_add_co_u32 v5, vcc_lo, v8, v3
	s_wait_alu 0xfffd
	v_add_co_ci_u32_e64 v11, null, v9, v4, vcc_lo
	s_delay_alu instid0(VALU_DEP_1) | instskip(NEXT) | instid1(VALU_DEP_1)
	v_lshrrev_b32_e32 v10, 31, v11
	v_add_co_u32 v10, vcc_lo, v5, v10
	s_wait_alu 0xfffd
	v_add_co_ci_u32_e64 v11, null, 0, v11, vcc_lo
	s_delay_alu instid0(VALU_DEP_1) | instskip(NEXT) | instid1(VALU_DEP_1)
	v_ashrrev_i64 v[10:11], 1, v[10:11]
	v_lshlrev_b64_e32 v[12:13], 3, v[10:11]
	s_delay_alu instid0(VALU_DEP_1) | instskip(SKIP_1) | instid1(VALU_DEP_2)
	v_add_co_u32 v12, vcc_lo, s8, v12
	s_wait_alu 0xfffd
	v_add_co_ci_u32_e64 v13, null, s9, v13, vcc_lo
	global_load_b64 v[12:13], v[12:13], off
	s_wait_loadcnt 0x0
	v_sub_co_u32 v12, vcc_lo, v12, s24
	s_wait_alu 0xfffd
	v_subrev_co_ci_u32_e64 v13, null, 0, v13, vcc_lo
	s_delay_alu instid0(VALU_DEP_1) | instskip(SKIP_3) | instid1(VALU_DEP_2)
	v_cmp_lt_i64_e32 vcc_lo, v[1:2], v[12:13]
	s_wait_alu 0xfffd
	v_dual_cndmask_b32 v9, v9, v11 :: v_dual_cndmask_b32 v8, v8, v10
	v_dual_cndmask_b32 v4, v11, v4 :: v_dual_cndmask_b32 v3, v10, v3
	v_add_co_u32 v10, vcc_lo, v8, -1
	s_wait_alu 0xfffd
	s_delay_alu instid0(VALU_DEP_3) | instskip(NEXT) | instid1(VALU_DEP_3)
	v_add_co_ci_u32_e64 v11, null, -1, v9, vcc_lo
	v_cmp_ge_i64_e32 vcc_lo, v[3:4], v[8:9]
	s_delay_alu instid0(VALU_DEP_2)
	v_cmp_eq_u64_e64 s2, v[3:4], v[10:11]
	s_or_b32 s2, vcc_lo, s2
	s_wait_alu 0xfffe
	s_and_b32 s2, exec_lo, s2
	s_wait_alu 0xfffe
	s_or_b32 s27, s2, s27
	s_wait_alu 0xfffe
	s_and_not1_b32 exec_lo, exec_lo, s27
	s_cbranch_execnz .LBB27_35
; %bb.36:                               ;   in Loop: Header=BB27_33 Depth=1
	s_or_b32 exec_lo, exec_lo, s27
.LBB27_37:                              ;   in Loop: Header=BB27_33 Depth=1
	v_lshlrev_b64_e32 v[10:11], 3, v[8:9]
	v_lshlrev_b64_e32 v[12:13], 2, v[1:2]
	s_mov_b32 s2, exec_lo
	s_delay_alu instid0(VALU_DEP_2) | instskip(SKIP_1) | instid1(VALU_DEP_3)
	v_add_co_u32 v10, vcc_lo, s8, v10
	s_wait_alu 0xfffd
	v_add_co_ci_u32_e64 v11, null, s9, v11, vcc_lo
	s_delay_alu instid0(VALU_DEP_3)
	v_add_co_u32 v12, vcc_lo, s10, v12
	s_wait_alu 0xfffd
	v_add_co_ci_u32_e64 v13, null, s11, v13, vcc_lo
	global_load_b64 v[10:11], v[10:11], off
	global_load_b32 v5, v[12:13], off
	s_wait_loadcnt 0x1
	v_sub_co_u32 v10, vcc_lo, v10, s24
	s_wait_alu 0xfffd
	v_subrev_co_ci_u32_e64 v11, null, 0, v11, vcc_lo
	s_delay_alu instid0(VALU_DEP_1) | instskip(SKIP_2) | instid1(VALU_DEP_1)
	v_cmp_lt_i64_e32 vcc_lo, v[1:2], v[10:11]
	s_wait_loadcnt 0x0
	v_subrev_nc_u32_e32 v10, s24, v5
	v_ashrrev_i32_e32 v11, 31, v10
	s_wait_alu 0xfffd
	v_dual_cndmask_b32 v4, v9, v4 :: v_dual_cndmask_b32 v3, v8, v3
	s_delay_alu instid0(VALU_DEP_1)
	v_cmpx_ne_u64_e64 v[3:4], v[10:11]
	s_cbranch_execz .LBB27_32
; %bb.38:                               ;   in Loop: Header=BB27_33 Depth=1
	v_lshlrev_b64_e32 v[8:9], 3, v[1:2]
	v_lshlrev_b64_e32 v[3:4], 3, v[3:4]
	s_delay_alu instid0(VALU_DEP_2) | instskip(SKIP_1) | instid1(VALU_DEP_3)
	v_add_co_u32 v8, vcc_lo, s12, v8
	s_wait_alu 0xfffd
	v_add_co_ci_u32_e64 v9, null, s13, v9, vcc_lo
	s_delay_alu instid0(VALU_DEP_3)
	v_add_co_u32 v3, vcc_lo, s14, v3
	s_wait_alu 0xfffd
	v_add_co_ci_u32_e64 v4, null, s15, v4, vcc_lo
	global_load_b64 v[8:9], v[8:9], off
	global_load_b64 v[3:4], v[3:4], off
	s_wait_loadcnt 0x1
	v_cndmask_b32_e64 v5, v9, -v9, s33
	s_delay_alu instid0(VALU_DEP_1) | instskip(SKIP_1) | instid1(VALU_DEP_1)
	v_mul_f32_e32 v12, v6, v5
	v_mul_f32_e64 v13, v5, -v7
	v_fmac_f32_e32 v13, v6, v8
	s_delay_alu instid0(VALU_DEP_3) | instskip(SKIP_2) | instid1(VALU_DEP_3)
	v_fmac_f32_e32 v12, v7, v8
	v_lshlrev_b64_e32 v[8:9], 3, v[10:11]
	s_wait_loadcnt 0x0
	v_mul_f32_e32 v11, v4, v13
	s_delay_alu instid0(VALU_DEP_3) | instskip(NEXT) | instid1(VALU_DEP_3)
	v_mul_f32_e64 v10, v4, -v12
	v_add_co_u32 v4, vcc_lo, s20, v8
	s_wait_alu 0xfffd
	v_add_co_ci_u32_e64 v5, null, s21, v9, vcc_lo
	s_delay_alu instid0(VALU_DEP_3)
	v_fmac_f32_e32 v10, v13, v3
	v_fmac_f32_e32 v11, v12, v3
	s_clause 0x1
	global_atomic_add_f32 v[4:5], v10, off scope:SCOPE_DEV
	global_atomic_add_f32 v[4:5], v11, off offset:4 scope:SCOPE_DEV
	s_branch .LBB27_32
.LBB27_39:
	s_or_b32 exec_lo, exec_lo, s3
	s_mov_b32 s2, 0
.LBB27_40:
	s_wait_alu 0xfffe
	s_and_b32 vcc_lo, exec_lo, s2
	s_wait_alu 0xfffe
	s_cbranch_vccz .LBB27_141
; %bb.41:
	s_load_b32 s2, s[0:1], 0x6c
	s_mov_b32 s25, 0
	s_mov_b64 s[28:29], 0
	s_wait_alu 0xfffe
	s_mov_b32 s7, s25
	s_wait_kmcnt 0x0
	s_and_b32 s6, s2, 0xffff
	s_wait_alu 0xfffe
	v_cmp_lt_u64_e64 s2, s[6:7], s[22:23]
	s_and_b32 vcc_lo, exec_lo, s2
	s_wait_alu 0xfffe
	s_cbranch_vccnz .LBB27_43
; %bb.42:
	v_cvt_f32_u32_e32 v1, s22
	s_sub_co_i32 s3, 0, s22
	s_delay_alu instid0(VALU_DEP_1) | instskip(NEXT) | instid1(TRANS32_DEP_1)
	v_rcp_iflag_f32_e32 v1, v1
	v_mul_f32_e32 v1, 0x4f7ffffe, v1
	s_delay_alu instid0(VALU_DEP_1) | instskip(NEXT) | instid1(VALU_DEP_1)
	v_cvt_u32_f32_e32 v1, v1
	v_readfirstlane_b32 s2, v1
	s_wait_alu 0xfffe
	s_mul_i32 s3, s3, s2
	s_wait_alu 0xfffe
	s_mul_hi_u32 s3, s2, s3
	s_wait_alu 0xfffe
	s_add_co_i32 s2, s2, s3
	s_wait_alu 0xfffe
	s_mul_hi_u32 s2, s6, s2
	s_wait_alu 0xfffe
	s_mul_i32 s3, s2, s22
	s_add_co_i32 s4, s2, 1
	s_wait_alu 0xfffe
	s_sub_co_i32 s3, s6, s3
	s_wait_alu 0xfffe
	s_sub_co_i32 s5, s3, s22
	s_cmp_ge_u32 s3, s22
	s_cselect_b32 s2, s4, s2
	s_wait_alu 0xfffe
	s_cselect_b32 s3, s5, s3
	s_add_co_i32 s4, s2, 1
	s_wait_alu 0xfffe
	s_cmp_ge_u32 s3, s22
	s_cselect_b32 s28, s4, s2
.LBB27_43:
	s_lshl_b64 s[2:3], s[16:17], 3
	v_sub_co_u32 v1, s7, v0, s24
	s_wait_alu 0xfffe
	s_add_nc_u64 s[26:27], s[8:9], s[2:3]
	s_load_b64 s[4:5], s[26:27], 0x0
	s_load_b128 s[0:3], s[0:1], 0x8
	v_sub_co_ci_u32_e64 v2, null, 0, 0, s7
	s_wait_kmcnt 0x0
	v_add_co_u32 v4, vcc_lo, s4, v1
	s_wait_alu 0xfffd
	s_delay_alu instid0(VALU_DEP_2) | instskip(SKIP_1) | instid1(VALU_DEP_3)
	v_add_co_ci_u32_e64 v5, null, s5, v2, vcc_lo
	v_mov_b32_e32 v1, 0
	v_add_co_u32 v2, vcc_lo, 0x300, v4
	s_wait_alu 0xfffd
	s_delay_alu instid0(VALU_DEP_3) | instskip(NEXT) | instid1(VALU_DEP_1)
	v_add_co_ci_u32_e64 v3, null, 0, v5, vcc_lo
	v_cmp_le_i64_e32 vcc_lo, s[0:1], v[2:3]
	s_and_saveexec_b32 s0, vcc_lo
	s_wait_alu 0xfffe
	s_xor_b32 s7, exec_lo, s0
	s_cbranch_execz .LBB27_48
; %bb.44:
	s_lshl_b64 s[0:1], s[18:19], 3
	s_mov_b32 s29, exec_lo
	s_wait_alu 0xfffe
	s_add_nc_u64 s[0:1], s[8:9], s[0:1]
	s_load_b64 s[0:1], s[0:1], 0x0
	s_wait_kmcnt 0x0
	s_sub_nc_u64 s[30:31], s[0:1], s[4:5]
	s_delay_alu instid0(SALU_CYCLE_1)
	v_cmpx_gt_i64_e64 s[30:31], v[0:1]
	s_cbranch_execz .LBB27_47
; %bb.45:
	v_lshlrev_b64_e32 v[8:9], 3, v[4:5]
	v_dual_mov_b32 v12, v16 :: v_dual_mov_b32 v11, v1
	v_mov_b32_e32 v10, v0
	s_mov_b32 s34, 0
	s_delay_alu instid0(VALU_DEP_3) | instskip(SKIP_2) | instid1(VALU_DEP_2)
	v_add_co_u32 v8, s0, s12, v8
	s_wait_alu 0xf1ff
	v_add_co_ci_u32_e64 v9, null, s13, v9, s0
	v_add_co_u32 v8, s0, v8, 4
	s_wait_alu 0xf1ff
	s_delay_alu instid0(VALU_DEP_2)
	v_add_co_ci_u32_e64 v9, null, 0, v9, s0
.LBB27_46:                              ; =>This Inner Loop Header: Depth=1
	global_load_b64 v[13:14], v[8:9], off offset:-4
	v_add_co_u32 v10, s0, 0x100, v10
	s_wait_alu 0xf1ff
	v_add_co_ci_u32_e64 v11, null, 0, v11, s0
	v_add_co_u32 v8, s0, 0x800, v8
	s_wait_alu 0xf1ff
	v_add_co_ci_u32_e64 v9, null, 0, v9, s0
	s_delay_alu instid0(VALU_DEP_3) | instskip(SKIP_4) | instid1(VALU_DEP_1)
	v_cmp_le_i64_e64 s1, s[30:31], v[10:11]
	s_wait_alu 0xfffe
	s_or_b32 s34, s1, s34
	s_wait_loadcnt 0x0
	v_cndmask_b32_e64 v15, v14, -v14, s33
	v_mul_f32_e64 v14, v15, -v7
	v_mul_f32_e32 v15, v6, v15
	s_delay_alu instid0(VALU_DEP_2) | instskip(NEXT) | instid1(VALU_DEP_2)
	v_fmac_f32_e32 v14, v6, v13
	v_fmac_f32_e32 v15, v7, v13
	ds_store_b64 v12, v[14:15]
	v_add_nc_u32_e32 v12, 0x800, v12
	s_wait_alu 0xfffe
	s_and_not1_b32 exec_lo, exec_lo, s34
	s_cbranch_execnz .LBB27_46
.LBB27_47:
	s_or_b32 exec_lo, exec_lo, s29
                                        ; implicit-def: $vgpr6_vgpr7
.LBB27_48:
	s_wait_alu 0xfffe
	s_and_not1_saveexec_b32 s1, s7
	s_cbranch_execz .LBB27_50
; %bb.49:
	v_lshlrev_b64_e32 v[8:9], 3, v[4:5]
	s_delay_alu instid0(VALU_DEP_1) | instskip(SKIP_1) | instid1(VALU_DEP_2)
	v_add_co_u32 v8, s0, s12, v8
	s_wait_alu 0xf1ff
	v_add_co_ci_u32_e64 v9, null, s13, v9, s0
	s_clause 0x3
	global_load_b64 v[10:11], v[8:9], off
	global_load_b64 v[12:13], v[8:9], off offset:2048
	global_load_b64 v[14:15], v[8:9], off offset:4096
	;; [unrolled: 1-line block ×3, first 2 shown]
	s_wait_loadcnt 0x3
	v_cndmask_b32_e64 v11, v11, -v11, s33
	s_wait_loadcnt 0x2
	v_cndmask_b32_e64 v13, v13, -v13, s33
	;; [unrolled: 2-line block ×4, first 2 shown]
	v_mul_f32_e64 v17, v11, -v7
	v_mul_f32_e32 v18, v6, v11
	v_mul_f32_e64 v19, v13, -v7
	v_mul_f32_e32 v20, v6, v13
	;; [unrolled: 2-line block ×4, first 2 shown]
	v_dual_fmac_f32 v17, v6, v10 :: v_dual_fmac_f32 v20, v7, v12
	v_dual_fmac_f32 v18, v7, v10 :: v_dual_fmac_f32 v19, v6, v12
	s_delay_alu instid0(VALU_DEP_3)
	v_dual_fmac_f32 v21, v6, v14 :: v_dual_fmac_f32 v24, v7, v8
	v_dual_fmac_f32 v22, v7, v14 :: v_dual_fmac_f32 v23, v6, v8
	ds_store_2addr_stride64_b64 v16, v[17:18], v[19:20] offset1:4
	ds_store_2addr_stride64_b64 v16, v[21:22], v[23:24] offset0:8 offset1:12
.LBB27_50:
	s_wait_alu 0xfffe
	s_or_b32 exec_lo, exec_lo, s1
	v_lshl_add_u32 v17, v0, 3, 0x2000
	s_mov_b32 s1, exec_lo
	v_cmpx_gt_i64_e64 s[2:3], v[0:1]
	s_cbranch_execz .LBB27_53
; %bb.51:
	v_mov_b32_e32 v7, v1
	v_lshl_add_u32 v8, v0, 3, 0x2000
	v_dual_mov_b32 v9, 0 :: v_dual_mov_b32 v6, v0
	s_mov_b32 s7, 0
.LBB27_52:                              ; =>This Inner Loop Header: Depth=1
	s_delay_alu instid0(VALU_DEP_1)
	v_add_co_u32 v6, s0, 0x100, v6
	s_wait_alu 0xf1ff
	v_add_co_ci_u32_e64 v7, null, 0, v7, s0
	ds_store_2addr_b32 v8, v9, v9 offset1:1
	v_add_nc_u32_e32 v8, 0x800, v8
	v_cmp_le_i64_e64 s0, s[2:3], v[6:7]
	s_wait_alu 0xfffe
	s_or_b32 s7, s0, s7
	s_wait_alu 0xfffe
	s_and_not1_b32 exec_lo, exec_lo, s7
	s_cbranch_execnz .LBB27_52
.LBB27_53:
	s_wait_alu 0xfffe
	s_or_b32 exec_lo, exec_lo, s1
	v_cmp_ge_i64_e64 s7, s[18:19], s[2:3]
	s_sub_nc_u64 s[0:1], s[18:19], s[2:3]
	s_wait_storecnt 0x0
	s_wait_loadcnt_dscnt 0x0
	s_barrier_signal -1
	s_barrier_wait -1
	global_inv scope:SCOPE_SE
	s_and_b32 s7, s7, exec_lo
	s_wait_alu 0xfffe
	s_cselect_b32 s13, s1, 0
	s_cselect_b32 s12, s0, 0
	s_and_saveexec_b32 s0, vcc_lo
	s_wait_alu 0xfffe
	s_xor_b32 s7, exec_lo, s0
	s_cbranch_execz .LBB27_70
; %bb.54:
	s_lshl_b64 s[0:1], s[18:19], 3
	s_mov_b32 s29, exec_lo
	s_wait_alu 0xfffe
	s_add_nc_u64 s[0:1], s[8:9], s[0:1]
	s_load_b64 s[0:1], s[0:1], 0x0
	s_wait_kmcnt 0x0
	s_sub_nc_u64 s[30:31], s[0:1], s[4:5]
	s_wait_alu 0xfffe
	v_cmpx_gt_i64_e64 s[30:31], v[0:1]
	s_cbranch_execz .LBB27_69
; %bb.55:
	s_add_nc_u64 s[34:35], s[18:19], -2
	s_sub_nc_u64 s[36:37], s[0:1], s[24:25]
	s_wait_alu 0xfffe
	s_cmp_lg_u64 s[16:17], s[34:35]
	s_add_nc_u64 s[34:35], s[18:19], -1
	s_cselect_b32 s33, -1, 0
	s_mov_b64 s[38:39], 0
	s_mov_b32 s1, 0
	s_branch .LBB27_58
.LBB27_56:                              ;   in Loop: Header=BB27_58 Depth=1
	s_wait_alu 0xfffe
	s_or_b32 exec_lo, exec_lo, s0
.LBB27_57:                              ;   in Loop: Header=BB27_58 Depth=1
	s_delay_alu instid0(SALU_CYCLE_1)
	s_or_b32 exec_lo, exec_lo, s40
	v_lshlrev_b64_e32 v[2:3], 3, v[2:3]
	v_lshlrev_b32_e32 v11, 3, v10
	s_add_nc_u64 s[38:39], s[38:39], 0x100
	s_wait_alu 0xfffe
	v_add_co_u32 v7, s0, s38, v0
	s_delay_alu instid0(VALU_DEP_3)
	v_add_co_u32 v2, vcc_lo, s14, v2
	s_wait_alu 0xfffd
	v_add_co_ci_u32_e64 v3, null, s15, v3, vcc_lo
	ds_load_b32 v12, v11 offset:4
	s_wait_alu 0xf1ff
	v_add_co_ci_u32_e64 v8, null, s39, 0, s0
	global_load_b64 v[2:3], v[2:3], off
	v_cmp_le_i64_e32 vcc_lo, s[30:31], v[7:8]
	s_or_b32 s1, vcc_lo, s1
	s_wait_loadcnt_dscnt 0x0
	v_mul_f32_e64 v9, v3, -v12
	v_mul_f32_e32 v10, v3, v6
	s_delay_alu instid0(VALU_DEP_2) | instskip(NEXT) | instid1(VALU_DEP_2)
	v_fmac_f32_e32 v9, v6, v2
	v_fmac_f32_e32 v10, v12, v2
	ds_store_b64 v11, v[9:10]
	s_wait_alu 0xfffe
	s_and_not1_b32 exec_lo, exec_lo, s1
	s_cbranch_execz .LBB27_69
.LBB27_58:                              ; =>This Loop Header: Depth=1
                                        ;     Child Loop BB27_60 Depth 2
	v_add_co_u32 v6, vcc_lo, s38, v4
	s_wait_alu 0xfffd
	v_add_co_ci_u32_e64 v7, null, s39, v5, vcc_lo
	v_dual_mov_b32 v8, s16 :: v_dual_mov_b32 v9, s17
	s_wait_alu 0xfffe
	v_dual_mov_b32 v10, s34 :: v_dual_mov_b32 v11, s35
	s_and_not1_b32 vcc_lo, exec_lo, s33
	s_wait_alu 0xfffe
	s_cbranch_vccnz .LBB27_62
; %bb.59:                               ;   in Loop: Header=BB27_58 Depth=1
	v_dual_mov_b32 v8, s16 :: v_dual_mov_b32 v9, s17
	v_dual_mov_b32 v10, s34 :: v_dual_mov_b32 v11, s35
	s_mov_b32 s40, 0
.LBB27_60:                              ;   Parent Loop BB27_58 Depth=1
                                        ; =>  This Inner Loop Header: Depth=2
	s_delay_alu instid0(VALU_DEP_1) | instskip(SKIP_1) | instid1(VALU_DEP_2)
	v_add_co_u32 v2, vcc_lo, v10, v8
	s_wait_alu 0xfffd
	v_add_co_ci_u32_e64 v3, null, v11, v9, vcc_lo
	s_delay_alu instid0(VALU_DEP_1) | instskip(NEXT) | instid1(VALU_DEP_1)
	v_lshrrev_b32_e32 v12, 31, v3
	v_add_co_u32 v2, vcc_lo, v2, v12
	s_wait_alu 0xfffd
	v_add_co_ci_u32_e64 v3, null, 0, v3, vcc_lo
	s_delay_alu instid0(VALU_DEP_1) | instskip(NEXT) | instid1(VALU_DEP_1)
	v_ashrrev_i64 v[2:3], 1, v[2:3]
	v_lshlrev_b64_e32 v[12:13], 3, v[2:3]
	s_delay_alu instid0(VALU_DEP_1) | instskip(SKIP_1) | instid1(VALU_DEP_2)
	v_add_co_u32 v12, vcc_lo, s8, v12
	s_wait_alu 0xfffd
	v_add_co_ci_u32_e64 v13, null, s9, v13, vcc_lo
	global_load_b64 v[12:13], v[12:13], off
	s_wait_loadcnt 0x0
	v_sub_co_u32 v12, vcc_lo, v12, s24
	s_wait_alu 0xfffd
	v_subrev_co_ci_u32_e64 v13, null, 0, v13, vcc_lo
	s_delay_alu instid0(VALU_DEP_1) | instskip(SKIP_3) | instid1(VALU_DEP_2)
	v_cmp_lt_i64_e32 vcc_lo, v[6:7], v[12:13]
	s_wait_alu 0xfffd
	v_dual_cndmask_b32 v11, v11, v3 :: v_dual_cndmask_b32 v10, v10, v2
	v_dual_cndmask_b32 v9, v3, v9 :: v_dual_cndmask_b32 v8, v2, v8
	v_add_co_u32 v2, vcc_lo, v10, -1
	s_wait_alu 0xfffd
	s_delay_alu instid0(VALU_DEP_3) | instskip(NEXT) | instid1(VALU_DEP_3)
	v_add_co_ci_u32_e64 v3, null, -1, v11, vcc_lo
	v_cmp_ge_i64_e32 vcc_lo, v[8:9], v[10:11]
	s_delay_alu instid0(VALU_DEP_2)
	v_cmp_eq_u64_e64 s0, v[8:9], v[2:3]
	s_or_b32 s0, vcc_lo, s0
	s_wait_alu 0xfffe
	s_and_b32 s0, exec_lo, s0
	s_wait_alu 0xfffe
	s_or_b32 s40, s0, s40
	s_delay_alu instid0(SALU_CYCLE_1)
	s_and_not1_b32 exec_lo, exec_lo, s40
	s_cbranch_execnz .LBB27_60
; %bb.61:                               ;   in Loop: Header=BB27_58 Depth=1
	s_or_b32 exec_lo, exec_lo, s40
.LBB27_62:                              ;   in Loop: Header=BB27_58 Depth=1
	s_delay_alu instid0(VALU_DEP_1) | instskip(SKIP_2) | instid1(VALU_DEP_3)
	v_lshlrev_b64_e32 v[2:3], 3, v[10:11]
	v_lshlrev_b64_e32 v[12:13], 2, v[6:7]
	v_cmp_le_i64_e64 s0, s[36:37], v[6:7]
	v_add_co_u32 v2, vcc_lo, s8, v2
	s_wait_alu 0xfffd
	s_delay_alu instid0(VALU_DEP_4) | instskip(NEXT) | instid1(VALU_DEP_4)
	v_add_co_ci_u32_e64 v3, null, s9, v3, vcc_lo
	v_add_co_u32 v12, vcc_lo, s10, v12
	s_wait_alu 0xfffd
	v_add_co_ci_u32_e64 v13, null, s11, v13, vcc_lo
	global_load_b64 v[2:3], v[2:3], off
	global_load_b32 v14, v[12:13], off
	s_wait_loadcnt 0x1
	v_sub_co_u32 v12, vcc_lo, v2, s24
	s_wait_alu 0xfffd
	v_subrev_co_ci_u32_e64 v13, null, 0, v3, vcc_lo
	s_wait_loadcnt 0x0
	v_subrev_nc_u32_e32 v2, s24, v14
	s_delay_alu instid0(VALU_DEP_2) | instskip(NEXT) | instid1(VALU_DEP_2)
	v_cmp_lt_i64_e32 vcc_lo, v[6:7], v[12:13]
                                        ; implicit-def: $vgpr6
	v_ashrrev_i32_e32 v3, 31, v2
	s_wait_alu 0xfffd
	v_dual_cndmask_b32 v9, v11, v9 :: v_dual_cndmask_b32 v8, v10, v8
	v_add_co_u32 v10, null, s38, v0
	s_delay_alu instid0(VALU_DEP_2) | instskip(NEXT) | instid1(VALU_DEP_2)
	v_cmp_eq_u64_e32 vcc_lo, v[8:9], v[2:3]
	v_lshlrev_b32_e32 v11, 3, v10
	s_or_b32 s0, vcc_lo, s0
	s_wait_alu 0xfffe
	s_and_saveexec_b32 s40, s0
	s_delay_alu instid0(SALU_CYCLE_1)
	s_xor_b32 s0, exec_lo, s40
; %bb.63:                               ;   in Loop: Header=BB27_58 Depth=1
	ds_load_b32 v6, v11
                                        ; implicit-def: $vgpr11
                                        ; implicit-def: $vgpr8_vgpr9
; %bb.64:                               ;   in Loop: Header=BB27_58 Depth=1
	s_wait_alu 0xfffe
	s_and_not1_saveexec_b32 s40, s0
	s_cbranch_execz .LBB27_57
; %bb.65:                               ;   in Loop: Header=BB27_58 Depth=1
	v_cmp_gt_i64_e32 vcc_lo, s[12:13], v[2:3]
	v_cmp_le_i64_e64 s0, s[18:19], v[2:3]
	v_lshlrev_b64_e32 v[7:8], 3, v[8:9]
                                        ; implicit-def: $vgpr6
	s_or_b32 s0, vcc_lo, s0
	s_wait_alu 0xfffe
	s_and_saveexec_b32 s41, s0
	s_delay_alu instid0(SALU_CYCLE_1)
	s_xor_b32 s0, exec_lo, s41
	s_cbranch_execz .LBB27_67
; %bb.66:                               ;   in Loop: Header=BB27_58 Depth=1
	s_wait_dscnt 0x0
	v_add_co_u32 v6, vcc_lo, s14, v7
	s_wait_alu 0xfffd
	v_add_co_ci_u32_e64 v7, null, s15, v8, vcc_lo
	global_load_b64 v[8:9], v[6:7], off
	ds_load_b64 v[6:7], v11
	v_lshlrev_b64_e32 v[11:12], 3, v[2:3]
	s_delay_alu instid0(VALU_DEP_1) | instskip(SKIP_1) | instid1(VALU_DEP_2)
	v_add_co_u32 v11, vcc_lo, s20, v11
	s_wait_alu 0xfffd
	v_add_co_ci_u32_e64 v12, null, s21, v12, vcc_lo
	s_wait_loadcnt_dscnt 0x0
	v_mul_f32_e64 v13, v9, -v7
	v_mul_f32_e32 v9, v9, v6
	s_delay_alu instid0(VALU_DEP_2) | instskip(NEXT) | instid1(VALU_DEP_2)
	v_fmac_f32_e32 v13, v6, v8
	v_fmac_f32_e32 v9, v7, v8
                                        ; implicit-def: $vgpr7_vgpr8
	s_clause 0x1
	global_atomic_add_f32 v[11:12], v13, off scope:SCOPE_DEV
	global_atomic_add_f32 v[11:12], v9, off offset:4 scope:SCOPE_DEV
                                        ; implicit-def: $vgpr11
.LBB27_67:                              ;   in Loop: Header=BB27_58 Depth=1
	s_wait_alu 0xfffe
	s_and_not1_saveexec_b32 s0, s0
	s_cbranch_execz .LBB27_56
; %bb.68:                               ;   in Loop: Header=BB27_58 Depth=1
	s_wait_dscnt 0x0
	v_add_co_u32 v6, vcc_lo, s14, v7
	s_wait_alu 0xfffd
	v_add_co_ci_u32_e64 v7, null, s15, v8, vcc_lo
	global_load_b64 v[8:9], v[6:7], off
	ds_load_b64 v[6:7], v11
	v_subrev_nc_u32_e32 v11, s12, v2
	s_delay_alu instid0(VALU_DEP_1) | instskip(SKIP_2) | instid1(VALU_DEP_1)
	v_lshl_add_u32 v11, v11, 3, 0x2000
	s_wait_loadcnt_dscnt 0x0
	v_mul_f32_e64 v12, v9, -v7
	v_dual_mul_f32 v9, v9, v6 :: v_dual_fmac_f32 v12, v6, v8
	s_delay_alu instid0(VALU_DEP_1)
	v_fmac_f32_e32 v9, v7, v8
	ds_add_f32 v11, v12
	ds_add_f32 v11, v9 offset:4
	s_branch .LBB27_56
.LBB27_69:
	s_or_b32 exec_lo, exec_lo, s29
                                        ; implicit-def: $vgpr2_vgpr3
                                        ; implicit-def: $vgpr4
.LBB27_70:
	s_wait_alu 0xfffe
	s_and_not1_saveexec_b32 s1, s7
	s_cbranch_execz .LBB27_112
; %bb.71:
	s_add_nc_u64 s[30:31], s[18:19], -1
	s_add_nc_u64 s[34:35], s[18:19], -2
	v_dual_mov_b32 v8, s16 :: v_dual_mov_b32 v9, s17
	s_wait_alu 0xfffe
	v_dual_mov_b32 v10, s30 :: v_dual_mov_b32 v11, s31
	s_cmp_lg_u64 s[16:17], s[34:35]
	s_cselect_b32 s7, -1, 0
	s_cmp_eq_u64 s[16:17], s[34:35]
	s_cbranch_scc1 .LBB27_75
; %bb.72:
	v_dual_mov_b32 v8, s16 :: v_dual_mov_b32 v9, s17
	v_dual_mov_b32 v10, s30 :: v_dual_mov_b32 v11, s31
	s_mov_b32 s29, 0
.LBB27_73:                              ; =>This Inner Loop Header: Depth=1
	s_delay_alu instid0(VALU_DEP_1) | instskip(SKIP_1) | instid1(VALU_DEP_2)
	v_add_co_u32 v6, vcc_lo, v10, v8
	s_wait_alu 0xfffd
	v_add_co_ci_u32_e64 v7, null, v11, v9, vcc_lo
	s_delay_alu instid0(VALU_DEP_1) | instskip(NEXT) | instid1(VALU_DEP_1)
	v_lshrrev_b32_e32 v12, 31, v7
	v_add_co_u32 v6, vcc_lo, v6, v12
	s_wait_alu 0xfffd
	v_add_co_ci_u32_e64 v7, null, 0, v7, vcc_lo
	s_delay_alu instid0(VALU_DEP_1) | instskip(NEXT) | instid1(VALU_DEP_1)
	v_ashrrev_i64 v[6:7], 1, v[6:7]
	v_lshlrev_b64_e32 v[12:13], 3, v[6:7]
	s_delay_alu instid0(VALU_DEP_1) | instskip(SKIP_1) | instid1(VALU_DEP_2)
	v_add_co_u32 v12, vcc_lo, s8, v12
	s_wait_alu 0xfffd
	v_add_co_ci_u32_e64 v13, null, s9, v13, vcc_lo
	global_load_b64 v[12:13], v[12:13], off
	s_wait_loadcnt 0x0
	v_sub_co_u32 v12, vcc_lo, v12, s24
	s_wait_alu 0xfffd
	v_subrev_co_ci_u32_e64 v13, null, 0, v13, vcc_lo
	s_delay_alu instid0(VALU_DEP_1) | instskip(SKIP_3) | instid1(VALU_DEP_2)
	v_cmp_lt_i64_e32 vcc_lo, v[4:5], v[12:13]
	s_wait_alu 0xfffd
	v_dual_cndmask_b32 v11, v11, v7 :: v_dual_cndmask_b32 v10, v10, v6
	v_dual_cndmask_b32 v9, v7, v9 :: v_dual_cndmask_b32 v8, v6, v8
	v_add_co_u32 v6, vcc_lo, v10, -1
	s_wait_alu 0xfffd
	s_delay_alu instid0(VALU_DEP_3) | instskip(NEXT) | instid1(VALU_DEP_3)
	v_add_co_ci_u32_e64 v7, null, -1, v11, vcc_lo
	v_cmp_ge_i64_e32 vcc_lo, v[8:9], v[10:11]
	s_delay_alu instid0(VALU_DEP_2)
	v_cmp_eq_u64_e64 s0, v[8:9], v[6:7]
	s_or_b32 s0, vcc_lo, s0
	s_wait_alu 0xfffe
	s_and_b32 s0, exec_lo, s0
	s_wait_alu 0xfffe
	s_or_b32 s29, s0, s29
	s_wait_alu 0xfffe
	s_and_not1_b32 exec_lo, exec_lo, s29
	s_cbranch_execnz .LBB27_73
; %bb.74:
	s_or_b32 exec_lo, exec_lo, s29
.LBB27_75:
	v_lshlrev_b64_e32 v[6:7], 3, v[10:11]
	v_lshlrev_b64_e32 v[12:13], 2, v[4:5]
	s_mov_b32 s29, exec_lo
	s_delay_alu instid0(VALU_DEP_2) | instskip(SKIP_1) | instid1(VALU_DEP_3)
	v_add_co_u32 v6, vcc_lo, s8, v6
	s_wait_alu 0xfffd
	v_add_co_ci_u32_e64 v7, null, s9, v7, vcc_lo
	global_load_b64 v[14:15], v[6:7], off
	v_add_co_u32 v6, vcc_lo, s10, v12
	s_wait_alu 0xfffd
	v_add_co_ci_u32_e64 v7, null, s11, v13, vcc_lo
	s_lshl_b64 s[10:11], s[18:19], 3
	s_wait_alu 0xfffe
	s_add_nc_u64 s[10:11], s[8:9], s[10:11]
	global_load_b32 v18, v[6:7], off
	s_wait_loadcnt 0x1
	v_sub_co_u32 v12, vcc_lo, v14, s24
	s_wait_alu 0xfffd
	v_subrev_co_ci_u32_e64 v13, null, 0, v15, vcc_lo
	s_delay_alu instid0(VALU_DEP_1) | instskip(SKIP_2) | instid1(VALU_DEP_1)
	v_cmp_lt_i64_e32 vcc_lo, v[4:5], v[12:13]
	s_wait_loadcnt 0x0
	v_subrev_nc_u32_e32 v12, s24, v18
	v_ashrrev_i32_e32 v13, 31, v12
	s_wait_alu 0xfffd
	v_dual_cndmask_b32 v9, v11, v9 :: v_dual_cndmask_b32 v8, v10, v8
	s_delay_alu instid0(VALU_DEP_1)
	v_cmpx_ne_u64_e64 v[8:9], v[12:13]
	s_cbranch_execz .LBB27_81
; %bb.76:
	s_load_b64 s[34:35], s[10:11], 0x0
	s_wait_kmcnt 0x0
	s_sub_nc_u64 s[34:35], s[34:35], s[24:25]
	s_wait_alu 0xfffe
	v_cmp_gt_i64_e32 vcc_lo, s[34:35], v[4:5]
	s_and_b32 exec_lo, exec_lo, vcc_lo
	s_cbranch_execz .LBB27_81
; %bb.77:
	v_cmp_gt_i64_e32 vcc_lo, s[12:13], v[12:13]
	v_cmp_le_i64_e64 s0, s[18:19], v[12:13]
	v_lshlrev_b64_e32 v[8:9], 3, v[8:9]
	s_or_b32 s0, vcc_lo, s0
	s_wait_alu 0xfffe
	s_and_saveexec_b32 s33, s0
	s_wait_alu 0xfffe
	s_xor_b32 s0, exec_lo, s33
	s_cbranch_execz .LBB27_79
; %bb.78:
	v_add_co_u32 v8, vcc_lo, s14, v8
	s_wait_alu 0xfffd
	v_add_co_ci_u32_e64 v9, null, s15, v9, vcc_lo
	ds_load_b64 v[10:11], v16
	v_lshlrev_b64_e32 v[14:15], 3, v[12:13]
	global_load_b64 v[8:9], v[8:9], off
	v_add_co_u32 v14, vcc_lo, s20, v14
	s_wait_alu 0xfffd
	v_add_co_ci_u32_e64 v15, null, s21, v15, vcc_lo
	s_wait_loadcnt_dscnt 0x0
	v_mul_f32_e64 v18, v9, -v11
	s_delay_alu instid0(VALU_DEP_1) | instskip(NEXT) | instid1(VALU_DEP_1)
	v_dual_mul_f32 v9, v9, v10 :: v_dual_fmac_f32 v18, v10, v8
	v_fmac_f32_e32 v9, v11, v8
	s_clause 0x1
	global_atomic_add_f32 v[14:15], v18, off scope:SCOPE_DEV
	global_atomic_add_f32 v[14:15], v9, off offset:4 scope:SCOPE_DEV
                                        ; implicit-def: $vgpr8_vgpr9
.LBB27_79:
	s_wait_alu 0xfffe
	s_and_not1_saveexec_b32 s0, s0
	s_cbranch_execz .LBB27_81
; %bb.80:
	v_add_co_u32 v8, vcc_lo, s14, v8
	s_wait_alu 0xfffd
	v_add_co_ci_u32_e64 v9, null, s15, v9, vcc_lo
	ds_load_b64 v[10:11], v16
	v_subrev_nc_u32_e32 v14, s12, v12
	global_load_b64 v[8:9], v[8:9], off
	v_lshl_add_u32 v14, v14, 3, 0x2000
	s_wait_loadcnt_dscnt 0x0
	v_mul_f32_e64 v15, v9, -v11
	v_mul_f32_e32 v9, v9, v10
	s_delay_alu instid0(VALU_DEP_2) | instskip(NEXT) | instid1(VALU_DEP_2)
	v_fmac_f32_e32 v15, v10, v8
	v_fmac_f32_e32 v9, v11, v8
	ds_add_f32 v14, v15
	ds_add_f32 v14, v9 offset:4
.LBB27_81:
	s_or_b32 exec_lo, exec_lo, s29
	v_lshlrev_b64_e32 v[8:9], 3, v[12:13]
	ds_load_b64 v[12:13], v16
	v_cndmask_b32_e64 v18, 0, 1, s7
	v_add_co_u32 v8, vcc_lo, s14, v8
	s_wait_alu 0xfffd
	v_add_co_ci_u32_e64 v9, null, s15, v9, vcc_lo
	global_load_b64 v[10:11], v[8:9], off
	v_add_co_u32 v8, vcc_lo, 0x100, v4
	s_wait_alu 0xfffd
	v_add_co_ci_u32_e64 v9, null, 0, v5, vcc_lo
	s_and_not1_b32 vcc_lo, exec_lo, s7
	s_wait_loadcnt_dscnt 0x0
	v_mul_f32_e64 v14, v11, -v13
	s_delay_alu instid0(VALU_DEP_1) | instskip(NEXT) | instid1(VALU_DEP_1)
	v_dual_mul_f32 v15, v11, v12 :: v_dual_fmac_f32 v14, v12, v10
	v_dual_fmac_f32 v15, v13, v10 :: v_dual_mov_b32 v10, s16
	v_dual_mov_b32 v11, s17 :: v_dual_mov_b32 v12, s30
	v_mov_b32_e32 v13, s31
	ds_store_b64 v16, v[14:15]
	s_wait_alu 0xfffe
	s_cbranch_vccnz .LBB27_85
; %bb.82:
	v_dual_mov_b32 v10, s16 :: v_dual_mov_b32 v11, s17
	v_dual_mov_b32 v12, s30 :: v_dual_mov_b32 v13, s31
	s_mov_b32 s7, 0
.LBB27_83:                              ; =>This Inner Loop Header: Depth=1
	s_delay_alu instid0(VALU_DEP_1) | instskip(SKIP_1) | instid1(VALU_DEP_2)
	v_add_co_u32 v14, vcc_lo, v12, v10
	s_wait_alu 0xfffd
	v_add_co_ci_u32_e64 v15, null, v13, v11, vcc_lo
	s_delay_alu instid0(VALU_DEP_1) | instskip(NEXT) | instid1(VALU_DEP_1)
	v_lshrrev_b32_e32 v19, 31, v15
	v_add_co_u32 v14, vcc_lo, v14, v19
	s_wait_alu 0xfffd
	v_add_co_ci_u32_e64 v15, null, 0, v15, vcc_lo
	s_delay_alu instid0(VALU_DEP_1) | instskip(NEXT) | instid1(VALU_DEP_1)
	v_ashrrev_i64 v[14:15], 1, v[14:15]
	v_lshlrev_b64_e32 v[19:20], 3, v[14:15]
	s_delay_alu instid0(VALU_DEP_1) | instskip(SKIP_1) | instid1(VALU_DEP_2)
	v_add_co_u32 v19, vcc_lo, s8, v19
	s_wait_alu 0xfffd
	v_add_co_ci_u32_e64 v20, null, s9, v20, vcc_lo
	global_load_b64 v[19:20], v[19:20], off
	s_wait_loadcnt 0x0
	v_sub_co_u32 v19, vcc_lo, v19, s24
	s_wait_alu 0xfffd
	v_subrev_co_ci_u32_e64 v20, null, 0, v20, vcc_lo
	s_delay_alu instid0(VALU_DEP_1) | instskip(SKIP_3) | instid1(VALU_DEP_2)
	v_cmp_lt_i64_e32 vcc_lo, v[8:9], v[19:20]
	s_wait_alu 0xfffd
	v_dual_cndmask_b32 v13, v13, v15 :: v_dual_cndmask_b32 v12, v12, v14
	v_dual_cndmask_b32 v11, v15, v11 :: v_dual_cndmask_b32 v10, v14, v10
	v_add_co_u32 v14, vcc_lo, v12, -1
	s_wait_alu 0xfffd
	s_delay_alu instid0(VALU_DEP_3) | instskip(NEXT) | instid1(VALU_DEP_3)
	v_add_co_ci_u32_e64 v15, null, -1, v13, vcc_lo
	v_cmp_ge_i64_e32 vcc_lo, v[10:11], v[12:13]
	s_delay_alu instid0(VALU_DEP_2)
	v_cmp_eq_u64_e64 s0, v[10:11], v[14:15]
	s_or_b32 s0, vcc_lo, s0
	s_wait_alu 0xfffe
	s_and_b32 s0, exec_lo, s0
	s_wait_alu 0xfffe
	s_or_b32 s7, s0, s7
	s_wait_alu 0xfffe
	s_and_not1_b32 exec_lo, exec_lo, s7
	s_cbranch_execnz .LBB27_83
; %bb.84:
	s_or_b32 exec_lo, exec_lo, s7
.LBB27_85:
	v_lshlrev_b64_e32 v[14:15], 3, v[12:13]
	s_mov_b32 s7, exec_lo
	s_delay_alu instid0(VALU_DEP_1) | instskip(SKIP_1) | instid1(VALU_DEP_2)
	v_add_co_u32 v14, vcc_lo, s8, v14
	s_wait_alu 0xfffd
	v_add_co_ci_u32_e64 v15, null, s9, v15, vcc_lo
	global_load_b64 v[14:15], v[14:15], off
	global_load_b32 v19, v[6:7], off offset:1024
	s_wait_loadcnt 0x1
	v_sub_co_u32 v14, vcc_lo, v14, s24
	s_wait_alu 0xfffd
	v_subrev_co_ci_u32_e64 v15, null, 0, v15, vcc_lo
	s_delay_alu instid0(VALU_DEP_1) | instskip(SKIP_2) | instid1(VALU_DEP_1)
	v_cmp_lt_i64_e32 vcc_lo, v[8:9], v[14:15]
	s_wait_loadcnt 0x0
	v_subrev_nc_u32_e32 v14, s24, v19
	v_ashrrev_i32_e32 v15, 31, v14
	s_wait_alu 0xfffd
	v_dual_cndmask_b32 v11, v13, v11 :: v_dual_cndmask_b32 v10, v12, v10
	s_delay_alu instid0(VALU_DEP_1)
	v_cmpx_ne_u64_e64 v[10:11], v[14:15]
	s_cbranch_execz .LBB27_91
; %bb.86:
	s_load_b64 s[34:35], s[10:11], 0x0
	s_wait_kmcnt 0x0
	s_sub_nc_u64 s[34:35], s[34:35], s[24:25]
	s_wait_alu 0xfffe
	v_cmp_gt_i64_e32 vcc_lo, s[34:35], v[8:9]
	s_and_b32 exec_lo, exec_lo, vcc_lo
	s_cbranch_execz .LBB27_91
; %bb.87:
	v_cmp_gt_i64_e32 vcc_lo, s[12:13], v[14:15]
	v_cmp_le_i64_e64 s0, s[18:19], v[14:15]
	v_lshlrev_b64_e32 v[8:9], 3, v[10:11]
	s_or_b32 s0, vcc_lo, s0
	s_wait_alu 0xfffe
	s_and_saveexec_b32 s29, s0
	s_wait_alu 0xfffe
	s_xor_b32 s0, exec_lo, s29
	s_cbranch_execz .LBB27_89
; %bb.88:
	v_add_co_u32 v8, vcc_lo, s14, v8
	s_wait_alu 0xfffd
	v_add_co_ci_u32_e64 v9, null, s15, v9, vcc_lo
	ds_load_b64 v[10:11], v16 offset:2048
	v_lshlrev_b64_e32 v[12:13], 3, v[14:15]
	global_load_b64 v[8:9], v[8:9], off
	v_add_co_u32 v12, vcc_lo, s20, v12
	s_wait_alu 0xfffd
	v_add_co_ci_u32_e64 v13, null, s21, v13, vcc_lo
	s_wait_loadcnt_dscnt 0x0
	v_mul_f32_e64 v19, v9, -v11
	v_mul_f32_e32 v9, v9, v10
	s_delay_alu instid0(VALU_DEP_2) | instskip(NEXT) | instid1(VALU_DEP_2)
	v_fmac_f32_e32 v19, v10, v8
	v_fmac_f32_e32 v9, v11, v8
	s_clause 0x1
	global_atomic_add_f32 v[12:13], v19, off scope:SCOPE_DEV
	global_atomic_add_f32 v[12:13], v9, off offset:4 scope:SCOPE_DEV
                                        ; implicit-def: $vgpr8_vgpr9
.LBB27_89:
	s_wait_alu 0xfffe
	s_and_not1_saveexec_b32 s0, s0
	s_cbranch_execz .LBB27_91
; %bb.90:
	v_add_co_u32 v8, vcc_lo, s14, v8
	s_wait_alu 0xfffd
	v_add_co_ci_u32_e64 v9, null, s15, v9, vcc_lo
	ds_load_b64 v[10:11], v16 offset:2048
	v_subrev_nc_u32_e32 v12, s12, v14
	global_load_b64 v[8:9], v[8:9], off
	v_lshl_add_u32 v12, v12, 3, 0x2000
	s_wait_loadcnt_dscnt 0x0
	v_mul_f32_e64 v13, v9, -v11
	v_mul_f32_e32 v9, v9, v10
	s_delay_alu instid0(VALU_DEP_2) | instskip(NEXT) | instid1(VALU_DEP_2)
	v_fmac_f32_e32 v13, v10, v8
	v_fmac_f32_e32 v9, v11, v8
	ds_add_f32 v12, v13
	ds_add_f32 v12, v9 offset:4
.LBB27_91:
	s_wait_alu 0xfffe
	s_or_b32 exec_lo, exec_lo, s7
	v_lshlrev_b64_e32 v[8:9], 3, v[14:15]
	ds_load_b64 v[10:11], v16 offset:2048
	v_add_co_u32 v8, vcc_lo, s14, v8
	s_wait_alu 0xfffd
	v_add_co_ci_u32_e64 v9, null, s15, v9, vcc_lo
	v_add_co_u32 v4, vcc_lo, 0x200, v4
	s_wait_alu 0xfffd
	v_add_co_ci_u32_e64 v5, null, 0, v5, vcc_lo
	global_load_b64 v[8:9], v[8:9], off
	v_cmp_ne_u32_e32 vcc_lo, 1, v18
	s_and_b32 vcc_lo, exec_lo, vcc_lo
	s_wait_loadcnt_dscnt 0x0
	v_mul_f32_e64 v12, v9, -v11
	s_delay_alu instid0(VALU_DEP_1) | instskip(NEXT) | instid1(VALU_DEP_1)
	v_dual_mul_f32 v13, v9, v10 :: v_dual_fmac_f32 v12, v10, v8
	v_dual_fmac_f32 v13, v11, v8 :: v_dual_mov_b32 v8, s16
	v_dual_mov_b32 v9, s17 :: v_dual_mov_b32 v10, s30
	v_mov_b32_e32 v11, s31
	ds_store_b64 v16, v[12:13] offset:2048
	s_wait_alu 0xfffe
	s_cbranch_vccnz .LBB27_95
; %bb.92:
	v_dual_mov_b32 v8, s16 :: v_dual_mov_b32 v9, s17
	v_dual_mov_b32 v10, s30 :: v_dual_mov_b32 v11, s31
	s_mov_b32 s7, 0
.LBB27_93:                              ; =>This Inner Loop Header: Depth=1
	s_delay_alu instid0(VALU_DEP_1) | instskip(SKIP_1) | instid1(VALU_DEP_2)
	v_add_co_u32 v12, vcc_lo, v10, v8
	s_wait_alu 0xfffd
	v_add_co_ci_u32_e64 v13, null, v11, v9, vcc_lo
	s_delay_alu instid0(VALU_DEP_1) | instskip(NEXT) | instid1(VALU_DEP_1)
	v_lshrrev_b32_e32 v14, 31, v13
	v_add_co_u32 v12, vcc_lo, v12, v14
	s_wait_alu 0xfffd
	v_add_co_ci_u32_e64 v13, null, 0, v13, vcc_lo
	s_delay_alu instid0(VALU_DEP_1) | instskip(NEXT) | instid1(VALU_DEP_1)
	v_ashrrev_i64 v[12:13], 1, v[12:13]
	v_lshlrev_b64_e32 v[14:15], 3, v[12:13]
	s_delay_alu instid0(VALU_DEP_1) | instskip(SKIP_1) | instid1(VALU_DEP_2)
	v_add_co_u32 v14, vcc_lo, s8, v14
	s_wait_alu 0xfffd
	v_add_co_ci_u32_e64 v15, null, s9, v15, vcc_lo
	global_load_b64 v[14:15], v[14:15], off
	s_wait_loadcnt 0x0
	v_sub_co_u32 v14, vcc_lo, v14, s24
	s_wait_alu 0xfffd
	v_subrev_co_ci_u32_e64 v15, null, 0, v15, vcc_lo
	s_delay_alu instid0(VALU_DEP_1) | instskip(SKIP_3) | instid1(VALU_DEP_2)
	v_cmp_lt_i64_e32 vcc_lo, v[4:5], v[14:15]
	s_wait_alu 0xfffd
	v_dual_cndmask_b32 v11, v11, v13 :: v_dual_cndmask_b32 v10, v10, v12
	v_dual_cndmask_b32 v9, v13, v9 :: v_dual_cndmask_b32 v8, v12, v8
	v_add_co_u32 v12, vcc_lo, v10, -1
	s_wait_alu 0xfffd
	s_delay_alu instid0(VALU_DEP_3) | instskip(NEXT) | instid1(VALU_DEP_3)
	v_add_co_ci_u32_e64 v13, null, -1, v11, vcc_lo
	v_cmp_ge_i64_e32 vcc_lo, v[8:9], v[10:11]
	s_delay_alu instid0(VALU_DEP_2)
	v_cmp_eq_u64_e64 s0, v[8:9], v[12:13]
	s_or_b32 s0, vcc_lo, s0
	s_wait_alu 0xfffe
	s_and_b32 s0, exec_lo, s0
	s_wait_alu 0xfffe
	s_or_b32 s7, s0, s7
	s_wait_alu 0xfffe
	s_and_not1_b32 exec_lo, exec_lo, s7
	s_cbranch_execnz .LBB27_93
; %bb.94:
	s_or_b32 exec_lo, exec_lo, s7
.LBB27_95:
	v_lshlrev_b64_e32 v[12:13], 3, v[10:11]
	s_mov_b32 s7, exec_lo
	s_delay_alu instid0(VALU_DEP_1) | instskip(SKIP_1) | instid1(VALU_DEP_2)
	v_add_co_u32 v12, vcc_lo, s8, v12
	s_wait_alu 0xfffd
	v_add_co_ci_u32_e64 v13, null, s9, v13, vcc_lo
	global_load_b64 v[12:13], v[12:13], off
	global_load_b32 v14, v[6:7], off offset:2048
	s_wait_loadcnt 0x1
	v_sub_co_u32 v12, vcc_lo, v12, s24
	s_wait_alu 0xfffd
	v_subrev_co_ci_u32_e64 v13, null, 0, v13, vcc_lo
	s_delay_alu instid0(VALU_DEP_1) | instskip(SKIP_2) | instid1(VALU_DEP_1)
	v_cmp_lt_i64_e32 vcc_lo, v[4:5], v[12:13]
	s_wait_loadcnt 0x0
	v_subrev_nc_u32_e32 v12, s24, v14
	v_ashrrev_i32_e32 v13, 31, v12
	s_wait_alu 0xfffd
	v_dual_cndmask_b32 v9, v11, v9 :: v_dual_cndmask_b32 v8, v10, v8
	s_delay_alu instid0(VALU_DEP_1)
	v_cmpx_ne_u64_e64 v[8:9], v[12:13]
	s_cbranch_execz .LBB27_101
; %bb.96:
	s_load_b64 s[34:35], s[10:11], 0x0
	s_wait_kmcnt 0x0
	s_sub_nc_u64 s[34:35], s[34:35], s[24:25]
	s_wait_alu 0xfffe
	v_cmp_gt_i64_e32 vcc_lo, s[34:35], v[4:5]
	s_and_b32 exec_lo, exec_lo, vcc_lo
	s_cbranch_execz .LBB27_101
; %bb.97:
	v_cmp_gt_i64_e32 vcc_lo, s[12:13], v[12:13]
	v_cmp_le_i64_e64 s0, s[18:19], v[12:13]
	v_lshlrev_b64_e32 v[4:5], 3, v[8:9]
	s_or_b32 s0, vcc_lo, s0
	s_wait_alu 0xfffe
	s_and_saveexec_b32 s29, s0
	s_wait_alu 0xfffe
	s_xor_b32 s0, exec_lo, s29
	s_cbranch_execz .LBB27_99
; %bb.98:
	v_add_co_u32 v4, vcc_lo, s14, v4
	s_wait_alu 0xfffd
	v_add_co_ci_u32_e64 v5, null, s15, v5, vcc_lo
	ds_load_b64 v[8:9], v16 offset:4096
	v_lshlrev_b64_e32 v[10:11], 3, v[12:13]
	global_load_b64 v[4:5], v[4:5], off
	v_add_co_u32 v10, vcc_lo, s20, v10
	s_wait_alu 0xfffd
	v_add_co_ci_u32_e64 v11, null, s21, v11, vcc_lo
	s_wait_loadcnt_dscnt 0x0
	v_mul_f32_e64 v14, v5, -v9
	v_mul_f32_e32 v5, v5, v8
	s_delay_alu instid0(VALU_DEP_2) | instskip(NEXT) | instid1(VALU_DEP_2)
	v_fmac_f32_e32 v14, v8, v4
	v_fmac_f32_e32 v5, v9, v4
	s_clause 0x1
	global_atomic_add_f32 v[10:11], v14, off scope:SCOPE_DEV
	global_atomic_add_f32 v[10:11], v5, off offset:4 scope:SCOPE_DEV
                                        ; implicit-def: $vgpr4_vgpr5
.LBB27_99:
	s_wait_alu 0xfffe
	s_and_not1_saveexec_b32 s0, s0
	s_cbranch_execz .LBB27_101
; %bb.100:
	v_add_co_u32 v4, vcc_lo, s14, v4
	s_wait_alu 0xfffd
	v_add_co_ci_u32_e64 v5, null, s15, v5, vcc_lo
	ds_load_b64 v[8:9], v16 offset:4096
	v_subrev_nc_u32_e32 v10, s12, v12
	global_load_b64 v[4:5], v[4:5], off
	v_lshl_add_u32 v10, v10, 3, 0x2000
	s_wait_loadcnt_dscnt 0x0
	v_mul_f32_e64 v11, v5, -v9
	v_mul_f32_e32 v5, v5, v8
	s_delay_alu instid0(VALU_DEP_2) | instskip(NEXT) | instid1(VALU_DEP_2)
	v_fmac_f32_e32 v11, v8, v4
	v_fmac_f32_e32 v5, v9, v4
	ds_add_f32 v10, v11
	ds_add_f32 v10, v5 offset:4
.LBB27_101:
	s_wait_alu 0xfffe
	s_or_b32 exec_lo, exec_lo, s7
	v_lshlrev_b64_e32 v[4:5], 3, v[12:13]
	ds_load_b64 v[8:9], v16 offset:4096
	v_add_co_u32 v4, vcc_lo, s14, v4
	s_wait_alu 0xfffd
	v_add_co_ci_u32_e64 v5, null, s15, v5, vcc_lo
	v_cmp_ne_u32_e32 vcc_lo, 1, v18
	global_load_b64 v[4:5], v[4:5], off
	s_and_b32 vcc_lo, exec_lo, vcc_lo
	s_wait_loadcnt_dscnt 0x0
	v_mul_f32_e64 v10, v5, -v9
	v_mul_f32_e32 v11, v5, v8
	s_delay_alu instid0(VALU_DEP_2) | instskip(NEXT) | instid1(VALU_DEP_2)
	v_fmac_f32_e32 v10, v8, v4
	v_dual_fmac_f32 v11, v9, v4 :: v_dual_mov_b32 v8, s30
	v_dual_mov_b32 v4, s16 :: v_dual_mov_b32 v5, s17
	v_mov_b32_e32 v9, s31
	ds_store_b64 v16, v[10:11] offset:4096
	s_wait_alu 0xfffe
	s_cbranch_vccnz .LBB27_105
; %bb.102:
	v_dual_mov_b32 v4, s16 :: v_dual_mov_b32 v5, s17
	v_dual_mov_b32 v8, s30 :: v_dual_mov_b32 v9, s31
	s_mov_b32 s7, 0
.LBB27_103:                             ; =>This Inner Loop Header: Depth=1
	s_delay_alu instid0(VALU_DEP_1) | instskip(SKIP_1) | instid1(VALU_DEP_2)
	v_add_co_u32 v10, vcc_lo, v8, v4
	s_wait_alu 0xfffd
	v_add_co_ci_u32_e64 v11, null, v9, v5, vcc_lo
	s_delay_alu instid0(VALU_DEP_1) | instskip(NEXT) | instid1(VALU_DEP_1)
	v_lshrrev_b32_e32 v12, 31, v11
	v_add_co_u32 v10, vcc_lo, v10, v12
	s_wait_alu 0xfffd
	v_add_co_ci_u32_e64 v11, null, 0, v11, vcc_lo
	s_delay_alu instid0(VALU_DEP_1) | instskip(NEXT) | instid1(VALU_DEP_1)
	v_ashrrev_i64 v[10:11], 1, v[10:11]
	v_lshlrev_b64_e32 v[12:13], 3, v[10:11]
	s_delay_alu instid0(VALU_DEP_1) | instskip(SKIP_1) | instid1(VALU_DEP_2)
	v_add_co_u32 v12, vcc_lo, s8, v12
	s_wait_alu 0xfffd
	v_add_co_ci_u32_e64 v13, null, s9, v13, vcc_lo
	global_load_b64 v[12:13], v[12:13], off
	s_wait_loadcnt 0x0
	v_sub_co_u32 v12, vcc_lo, v12, s24
	s_wait_alu 0xfffd
	v_subrev_co_ci_u32_e64 v13, null, 0, v13, vcc_lo
	s_delay_alu instid0(VALU_DEP_1) | instskip(SKIP_3) | instid1(VALU_DEP_2)
	v_cmp_lt_i64_e32 vcc_lo, v[2:3], v[12:13]
	s_wait_alu 0xfffd
	v_dual_cndmask_b32 v9, v9, v11 :: v_dual_cndmask_b32 v8, v8, v10
	v_dual_cndmask_b32 v5, v11, v5 :: v_dual_cndmask_b32 v4, v10, v4
	v_add_co_u32 v10, vcc_lo, v8, -1
	s_wait_alu 0xfffd
	s_delay_alu instid0(VALU_DEP_3) | instskip(NEXT) | instid1(VALU_DEP_3)
	v_add_co_ci_u32_e64 v11, null, -1, v9, vcc_lo
	v_cmp_ge_i64_e32 vcc_lo, v[4:5], v[8:9]
	s_delay_alu instid0(VALU_DEP_2)
	v_cmp_eq_u64_e64 s0, v[4:5], v[10:11]
	s_or_b32 s0, vcc_lo, s0
	s_wait_alu 0xfffe
	s_and_b32 s0, exec_lo, s0
	s_wait_alu 0xfffe
	s_or_b32 s7, s0, s7
	s_wait_alu 0xfffe
	s_and_not1_b32 exec_lo, exec_lo, s7
	s_cbranch_execnz .LBB27_103
; %bb.104:
	s_or_b32 exec_lo, exec_lo, s7
.LBB27_105:
	v_lshlrev_b64_e32 v[10:11], 3, v[8:9]
	s_mov_b32 s7, exec_lo
	s_delay_alu instid0(VALU_DEP_1) | instskip(SKIP_1) | instid1(VALU_DEP_2)
	v_add_co_u32 v10, vcc_lo, s8, v10
	s_wait_alu 0xfffd
	v_add_co_ci_u32_e64 v11, null, s9, v11, vcc_lo
	global_load_b64 v[10:11], v[10:11], off
	global_load_b32 v12, v[6:7], off offset:3072
	s_wait_loadcnt 0x1
	v_sub_co_u32 v6, vcc_lo, v10, s24
	s_wait_alu 0xfffd
	v_subrev_co_ci_u32_e64 v7, null, 0, v11, vcc_lo
	s_delay_alu instid0(VALU_DEP_1) | instskip(SKIP_2) | instid1(VALU_DEP_1)
	v_cmp_lt_i64_e32 vcc_lo, v[2:3], v[6:7]
	s_wait_loadcnt 0x0
	v_subrev_nc_u32_e32 v6, s24, v12
	v_ashrrev_i32_e32 v7, 31, v6
	s_wait_alu 0xfffd
	v_dual_cndmask_b32 v5, v9, v5 :: v_dual_cndmask_b32 v4, v8, v4
	s_delay_alu instid0(VALU_DEP_1)
	v_cmpx_ne_u64_e64 v[4:5], v[6:7]
	s_cbranch_execz .LBB27_111
; %bb.106:
	s_load_b64 s[10:11], s[10:11], 0x0
	s_wait_kmcnt 0x0
	s_sub_nc_u64 s[10:11], s[10:11], s[24:25]
	s_wait_alu 0xfffe
	v_cmp_gt_i64_e32 vcc_lo, s[10:11], v[2:3]
	s_and_b32 exec_lo, exec_lo, vcc_lo
	s_cbranch_execz .LBB27_111
; %bb.107:
	v_cmp_gt_i64_e32 vcc_lo, s[12:13], v[6:7]
	v_cmp_le_i64_e64 s0, s[18:19], v[6:7]
	v_lshlrev_b64_e32 v[2:3], 3, v[4:5]
	s_or_b32 s0, vcc_lo, s0
	s_wait_alu 0xfffe
	s_and_saveexec_b32 s10, s0
	s_wait_alu 0xfffe
	s_xor_b32 s0, exec_lo, s10
	s_cbranch_execz .LBB27_109
; %bb.108:
	v_add_co_u32 v2, vcc_lo, s14, v2
	s_wait_alu 0xfffd
	v_add_co_ci_u32_e64 v3, null, s15, v3, vcc_lo
	ds_load_b64 v[4:5], v16 offset:6144
	v_lshlrev_b64_e32 v[8:9], 3, v[6:7]
	global_load_b64 v[2:3], v[2:3], off
	v_add_co_u32 v8, vcc_lo, s20, v8
	s_wait_alu 0xfffd
	v_add_co_ci_u32_e64 v9, null, s21, v9, vcc_lo
	s_wait_loadcnt_dscnt 0x0
	v_mul_f32_e64 v10, v3, -v5
	s_delay_alu instid0(VALU_DEP_1) | instskip(NEXT) | instid1(VALU_DEP_1)
	v_dual_mul_f32 v3, v3, v4 :: v_dual_fmac_f32 v10, v4, v2
	v_fmac_f32_e32 v3, v5, v2
	s_clause 0x1
	global_atomic_add_f32 v[8:9], v10, off scope:SCOPE_DEV
	global_atomic_add_f32 v[8:9], v3, off offset:4 scope:SCOPE_DEV
                                        ; implicit-def: $vgpr2_vgpr3
.LBB27_109:
	s_wait_alu 0xfffe
	s_and_not1_saveexec_b32 s0, s0
	s_cbranch_execz .LBB27_111
; %bb.110:
	v_add_co_u32 v2, vcc_lo, s14, v2
	s_wait_alu 0xfffd
	v_add_co_ci_u32_e64 v3, null, s15, v3, vcc_lo
	ds_load_b64 v[4:5], v16 offset:6144
	v_subrev_nc_u32_e32 v8, s12, v6
	global_load_b64 v[2:3], v[2:3], off
	v_lshl_add_u32 v8, v8, 3, 0x2000
	s_wait_loadcnt_dscnt 0x0
	v_mul_f32_e64 v9, v3, -v5
	v_mul_f32_e32 v3, v3, v4
	s_delay_alu instid0(VALU_DEP_2) | instskip(NEXT) | instid1(VALU_DEP_2)
	v_fmac_f32_e32 v9, v4, v2
	v_fmac_f32_e32 v3, v5, v2
	ds_add_f32 v8, v9
	ds_add_f32 v8, v3 offset:4
.LBB27_111:
	s_wait_alu 0xfffe
	s_or_b32 exec_lo, exec_lo, s7
	v_lshlrev_b64_e32 v[2:3], 3, v[6:7]
	ds_load_b64 v[4:5], v16 offset:6144
	v_add_co_u32 v2, vcc_lo, s14, v2
	s_wait_alu 0xfffd
	v_add_co_ci_u32_e64 v3, null, s15, v3, vcc_lo
	global_load_b64 v[2:3], v[2:3], off
	s_wait_loadcnt_dscnt 0x0
	v_mul_f32_e64 v6, v3, -v5
	s_delay_alu instid0(VALU_DEP_1) | instskip(NEXT) | instid1(VALU_DEP_1)
	v_dual_mul_f32 v7, v3, v4 :: v_dual_fmac_f32 v6, v4, v2
	v_fmac_f32_e32 v7, v5, v2
	ds_store_b64 v16, v[6:7] offset:6144
.LBB27_112:
	s_wait_alu 0xfffe
	s_or_b32 exec_lo, exec_lo, s1
	v_cmp_lt_i64_e64 s0, s[18:19], s[2:3]
	s_mov_b32 s1, exec_lo
	s_wait_storecnt 0x0
	s_wait_loadcnt_dscnt 0x0
	s_barrier_signal -1
	s_barrier_wait -1
	global_inv scope:SCOPE_SE
	s_and_b32 s0, s0, exec_lo
	s_cselect_b32 s13, s19, s3
	s_cselect_b32 s12, s18, s2
	s_wait_alu 0xfffe
	s_sub_nc_u64 s[10:11], s[12:13], s[22:23]
	s_wait_alu 0xfffe
	v_cmpx_gt_i64_e64 s[10:11], v[0:1]
	s_cbranch_execz .LBB27_115
; %bb.113:
	v_cmp_gt_i64_e64 s0, s[18:19], s[2:3]
	v_dual_mov_b32 v5, v1 :: v_dual_lshlrev_b32 v2, 3, v0
	v_mov_b32_e32 v4, v0
	s_and_b32 s0, s0, exec_lo
	s_cselect_b32 s15, s19, s3
	s_cselect_b32 s14, s18, s2
	s_lshl_b64 s[2:3], s[2:3], 3
	s_wait_alu 0xfffe
	s_lshl_b64 s[14:15], s[14:15], 3
	s_wait_alu 0xfffe
	v_add_co_u32 v2, s0, s14, v2
	s_wait_alu 0xf1ff
	v_add_co_ci_u32_e64 v3, null, s15, 0, s0
	s_delay_alu instid0(VALU_DEP_2) | instskip(SKIP_1) | instid1(VALU_DEP_2)
	v_sub_co_u32 v2, vcc_lo, v2, s2
	s_wait_alu 0xfffd
	v_subrev_co_ci_u32_e64 v3, null, s3, v3, vcc_lo
	s_mov_b32 s2, 0
	v_or_b32_e32 v2, 4, v2
	s_delay_alu instid0(VALU_DEP_1)
	v_add_co_u32 v2, vcc_lo, s20, v2
	s_wait_alu 0xfffd
	v_add_co_ci_u32_e64 v3, null, s21, v3, vcc_lo
.LBB27_114:                             ; =>This Inner Loop Header: Depth=1
	ds_load_2addr_b32 v[6:7], v17 offset1:1
	v_add_co_u32 v4, vcc_lo, 0x100, v4
	s_wait_alu 0xfffd
	v_add_co_ci_u32_e64 v5, null, 0, v5, vcc_lo
	v_add_nc_u32_e32 v17, 0x800, v17
	s_wait_dscnt 0x0
	s_clause 0x1
	global_atomic_add_f32 v[2:3], v6, off offset:-4 scope:SCOPE_DEV
	global_atomic_add_f32 v[2:3], v7, off scope:SCOPE_DEV
	v_cmp_le_i64_e32 vcc_lo, s[10:11], v[4:5]
	v_add_co_u32 v2, s0, 0x800, v2
	s_wait_alu 0xf1ff
	v_add_co_ci_u32_e64 v3, null, 0, v3, s0
	s_wait_alu 0xfffe
	s_or_b32 s2, vcc_lo, s2
	s_wait_alu 0xfffe
	s_and_not1_b32 exec_lo, exec_lo, s2
	s_cbranch_execnz .LBB27_114
.LBB27_115:
	s_or_b32 exec_lo, exec_lo, s1
	s_add_co_i32 s0, s28, -1
	v_add_co_u32 v6, s2, s16, v0
	s_wait_alu 0xfffe
	s_ashr_i32 s1, s0, 1
	v_add_co_ci_u32_e64 v7, null, s17, 0, s2
	s_wait_alu 0xfffe
	s_or_b32 s0, s1, s0
	s_wait_loadcnt 0x0
	s_wait_storecnt 0x0
	s_wait_alu 0xfffe
	s_ashr_i32 s1, s0, 2
	s_barrier_signal -1
	s_wait_alu 0xfffe
	s_or_b32 s0, s1, s0
	s_barrier_wait -1
	s_wait_alu 0xfffe
	s_ashr_i32 s1, s0, 4
	global_inv scope:SCOPE_SE
	s_wait_alu 0xfffe
	s_or_b32 s0, s1, s0
	s_wait_alu 0xfffe
	s_ashr_i32 s1, s0, 8
	s_wait_alu 0xfffe
	s_or_b32 s0, s1, s0
	s_wait_alu 0xfffe
	s_ashr_i32 s1, s0, 16
	s_wait_alu 0xfffe
	s_or_b32 s1, s1, s0
	s_mov_b32 s0, -1
	s_wait_alu 0xfffe
	s_add_co_i32 s1, s1, 1
	s_wait_alu 0xfffe
	s_ashr_i32 s2, s1, 1
	s_wait_alu 0xfffe
	s_cmp_gt_i32 s2, 1
	s_cbranch_scc1 .LBB27_124
; %bb.116:
	s_mov_b32 s0, exec_lo
	v_cmpx_gt_i64_e64 s[18:19], v[6:7]
	s_cbranch_execz .LBB27_123
; %bb.117:
	s_sub_co_i32 s1, s12, s18
	v_dual_mov_b32 v9, v7 :: v_dual_mov_b32 v8, v6
	s_lshl_b32 s7, s4, 3
	s_wait_alu 0xfffe
	s_lshl_b32 s1, s1, 3
	s_mov_b32 s3, 0
	s_wait_alu 0xfffe
	s_addk_co_i32 s1, 0x2000
	s_sub_co_i32 s7, 0, s7
	s_branch .LBB27_119
.LBB27_118:                             ;   in Loop: Header=BB27_119 Depth=1
	s_wait_alu 0xfffe
	s_or_b32 exec_lo, exec_lo, s11
	v_lshl_add_u32 v2, v8, 3, s1
	v_add_co_u32 v4, vcc_lo, s20, v10
	s_wait_alu 0xfffd
	v_add_co_ci_u32_e64 v5, null, s21, v11, vcc_lo
	ds_load_2addr_b32 v[2:3], v2 offset1:1
	v_add_co_u32 v8, vcc_lo, v8, s6
	s_wait_alu 0xfffd
	v_add_co_ci_u32_e64 v9, null, 0, v9, vcc_lo
	s_delay_alu instid0(VALU_DEP_1)
	v_cmp_le_i64_e32 vcc_lo, s[18:19], v[8:9]
	s_or_b32 s3, vcc_lo, s3
	s_wait_dscnt 0x0
	v_dual_add_f32 v2, v15, v2 :: v_dual_add_f32 v3, v14, v3
	s_clause 0x1
	global_atomic_add_f32 v[4:5], v2, off scope:SCOPE_DEV
	global_atomic_add_f32 v[4:5], v3, off offset:4 scope:SCOPE_DEV
	s_wait_alu 0xfffe
	s_and_not1_b32 exec_lo, exec_lo, s3
	s_cbranch_execz .LBB27_123
.LBB27_119:                             ; =>This Loop Header: Depth=1
                                        ;     Child Loop BB27_121 Depth 2
	v_lshlrev_b64_e32 v[10:11], 3, v[8:9]
	v_dual_mov_b32 v14, 0 :: v_dual_mov_b32 v15, 0
	s_mov_b32 s11, exec_lo
	s_delay_alu instid0(VALU_DEP_2) | instskip(SKIP_1) | instid1(VALU_DEP_3)
	v_add_co_u32 v2, vcc_lo, s8, v10
	s_wait_alu 0xfffd
	v_add_co_ci_u32_e64 v3, null, s9, v11, vcc_lo
	global_load_b128 v[2:5], v[2:3], off
	s_wait_loadcnt 0x0
	v_cmpx_lt_i64_e64 v[2:3], v[4:5]
	s_cbranch_execz .LBB27_118
; %bb.120:                              ;   in Loop: Header=BB27_119 Depth=1
	v_sub_co_u32 v4, vcc_lo, v4, s4
	s_wait_alu 0xfffd
	v_subrev_co_ci_u32_e64 v5, null, s5, v5, vcc_lo
	v_sub_co_u32 v12, vcc_lo, v2, s4
	s_wait_alu 0xfffd
	v_subrev_co_ci_u32_e64 v13, null, s5, v3, vcc_lo
	s_wait_alu 0xfffe
	v_lshl_add_u32 v2, v2, 3, s7
	v_dual_mov_b32 v14, 0 :: v_dual_mov_b32 v15, 0
	s_mov_b32 s12, 0
.LBB27_121:                             ;   Parent Loop BB27_119 Depth=1
                                        ; =>  This Inner Loop Header: Depth=2
	ds_load_b64 v[17:18], v2
	v_add_co_u32 v12, vcc_lo, v12, 1
	s_wait_alu 0xfffd
	v_add_co_ci_u32_e64 v13, null, 0, v13, vcc_lo
	v_add_nc_u32_e32 v2, 8, v2
	s_delay_alu instid0(VALU_DEP_2)
	v_cmp_ge_i64_e32 vcc_lo, v[12:13], v[4:5]
	s_wait_alu 0xfffe
	s_or_b32 s12, vcc_lo, s12
	s_wait_dscnt 0x0
	v_dual_add_f32 v15, v15, v17 :: v_dual_add_f32 v14, v14, v18
	s_wait_alu 0xfffe
	s_and_not1_b32 exec_lo, exec_lo, s12
	s_cbranch_execnz .LBB27_121
; %bb.122:                              ;   in Loop: Header=BB27_119 Depth=1
	s_or_b32 exec_lo, exec_lo, s12
	s_branch .LBB27_118
.LBB27_123:
	s_wait_alu 0xfffe
	s_or_b32 exec_lo, exec_lo, s0
	s_mov_b32 s0, 0
.LBB27_124:
	s_wait_alu 0xfffe
	s_and_not1_b32 vcc_lo, exec_lo, s0
	s_wait_alu 0xfffe
	s_cbranch_vccnz .LBB27_141
; %bb.125:
	s_cvt_f32_u32 s0, s2
	s_sub_co_i32 s1, 0, s2
	s_wait_alu 0xfffe
	s_delay_alu instid0(SALU_CYCLE_1) | instskip(NEXT) | instid1(TRANS32_DEP_1)
	v_rcp_iflag_f32_e32 v2, s0
	v_readfirstlane_b32 s0, v2
	s_mul_f32 s0, s0, 0x4f7ffffe
	s_wait_alu 0xfffe
	s_delay_alu instid0(SALU_CYCLE_2) | instskip(SKIP_1) | instid1(SALU_CYCLE_2)
	s_cvt_u32_f32 s0, s0
	s_wait_alu 0xfffe
	s_mul_i32 s3, s1, s0
	s_wait_alu 0xfffe
	s_mul_hi_u32 s3, s0, s3
	s_wait_alu 0xfffe
	s_add_co_i32 s0, s0, s3
	s_mov_b32 s3, 0
	s_wait_alu 0xfffe
	v_mul_hi_u32 v2, v0, s0
	s_mov_b32 s0, exec_lo
	s_delay_alu instid0(VALU_DEP_1) | instskip(NEXT) | instid1(VALU_DEP_1)
	v_mul_lo_u32 v3, v2, s2
	v_sub_nc_u32_e32 v3, v0, v3
	s_delay_alu instid0(VALU_DEP_1) | instskip(SKIP_2) | instid1(VALU_DEP_2)
	v_subrev_nc_u32_e32 v5, s2, v3
	v_cmp_le_u32_e32 vcc_lo, s2, v3
	s_wait_alu 0xfffd
	v_dual_cndmask_b32 v3, v3, v5 :: v_dual_add_nc_u32 v4, 1, v2
	s_delay_alu instid0(VALU_DEP_1) | instskip(NEXT) | instid1(VALU_DEP_2)
	v_dual_cndmask_b32 v2, v2, v4 :: v_dual_mov_b32 v5, 0
	v_cmp_le_u32_e32 vcc_lo, s2, v3
	s_delay_alu instid0(VALU_DEP_2) | instskip(SKIP_1) | instid1(VALU_DEP_1)
	v_add_nc_u32_e32 v4, 1, v2
	s_wait_alu 0xfffd
	v_cndmask_b32_e32 v4, v2, v4, vcc_lo
	s_delay_alu instid0(VALU_DEP_1) | instskip(NEXT) | instid1(VALU_DEP_1)
	v_lshlrev_b64_e32 v[2:3], 3, v[4:5]
	v_add_co_u32 v2, vcc_lo, s26, v2
	s_wait_alu 0xfffd
	s_delay_alu instid0(VALU_DEP_2)
	v_add_co_ci_u32_e64 v3, null, s27, v3, vcc_lo
	global_load_b128 v[8:11], v[2:3], off
	s_wait_loadcnt 0x0
	v_sub_co_u32 v2, vcc_lo, v8, s4
	s_wait_alu 0xfffd
	v_subrev_co_ci_u32_e64 v3, null, s5, v9, vcc_lo
	v_sub_co_u32 v14, vcc_lo, v10, s4
	s_wait_alu 0xfffd
	v_subrev_co_ci_u32_e64 v15, null, s5, v11, vcc_lo
	v_mov_b32_e32 v8, v5
	s_delay_alu instid0(VALU_DEP_3) | instskip(SKIP_1) | instid1(VALU_DEP_3)
	v_sub_co_u32 v12, vcc_lo, v14, v2
	s_wait_alu 0xfffd
	v_sub_co_ci_u32_e64 v9, null, v15, v3, vcc_lo
                                        ; implicit-def: $vgpr10_vgpr11
	s_delay_alu instid0(VALU_DEP_1)
	v_cmpx_ne_u64_e32 0, v[8:9]
	s_wait_alu 0xfffe
	s_xor_b32 s6, exec_lo, s0
	s_cbranch_execz .LBB27_127
; %bb.126:
	s_add_nc_u64 s[4:5], s[2:3], 0
	s_mov_b32 s15, s3
	s_wait_alu 0xfffe
	s_xor_b64 s[4:5], s[4:5], 0
	s_mov_b32 s19, s3
	s_wait_alu 0xfffe
	s_cvt_f32_u32 s0, s4
	s_cvt_f32_u32 s7, s5
	s_sub_nc_u64 s[12:13], 0, s[4:5]
	v_ashrrev_i32_e32 v17, 31, v9
	s_wait_alu 0xfffe
	s_fmamk_f32 s0, s7, 0x4f800000, s0
	s_delay_alu instid0(VALU_DEP_1) | instskip(SKIP_1) | instid1(SALU_CYCLE_1)
	v_add_co_u32 v8, vcc_lo, v12, v17
	s_wait_alu 0xfffe
	v_s_rcp_f32 s0, s0
	s_wait_alu 0xfffd
	v_add_co_ci_u32_e64 v9, null, v9, v17, vcc_lo
	v_xor_b32_e32 v18, v8, v17
	s_delay_alu instid0(VALU_DEP_2) | instskip(NEXT) | instid1(TRANS32_DEP_1)
	v_xor_b32_e32 v19, v9, v17
	s_mul_f32 s0, s0, 0x5f7ffffc
	s_wait_alu 0xfffe
	s_delay_alu instid0(SALU_CYCLE_2) | instskip(SKIP_1) | instid1(SALU_CYCLE_2)
	s_mul_f32 s7, s0, 0x2f800000
	s_wait_alu 0xfffe
	s_trunc_f32 s7, s7
	s_wait_alu 0xfffe
	s_delay_alu instid0(SALU_CYCLE_2) | instskip(SKIP_2) | instid1(SALU_CYCLE_1)
	s_fmamk_f32 s0, s7, 0xcf800000, s0
	s_cvt_u32_f32 s9, s7
	s_wait_alu 0xfffe
	s_cvt_u32_f32 s8, s0
	s_wait_alu 0xfffe
	s_delay_alu instid0(SALU_CYCLE_2)
	s_mul_u64 s[16:17], s[12:13], s[8:9]
	s_wait_alu 0xfffe
	s_mul_hi_u32 s25, s8, s17
	s_mul_i32 s24, s8, s17
	s_mul_hi_u32 s14, s8, s16
	s_mul_i32 s7, s9, s16
	s_wait_alu 0xfffe
	s_add_nc_u64 s[14:15], s[14:15], s[24:25]
	s_mul_hi_u32 s0, s9, s16
	s_mul_hi_u32 s11, s9, s17
	s_wait_alu 0xfffe
	s_add_co_u32 s7, s14, s7
	s_add_co_ci_u32 s18, s15, s0
	s_mul_i32 s16, s9, s17
	s_add_co_ci_u32 s17, s11, 0
	s_wait_alu 0xfffe
	s_add_nc_u64 s[14:15], s[18:19], s[16:17]
	s_mov_b32 s17, s3
	s_wait_alu 0xfffe
	s_add_co_u32 s8, s8, s14
	s_cselect_b32 s0, -1, 0
	s_wait_alu 0xfffe
	s_cmp_lg_u32 s0, 0
	s_add_co_ci_u32 s9, s9, s15
	s_mov_b32 s15, s3
	s_wait_alu 0xfffe
	s_mul_u64 s[12:13], s[12:13], s[8:9]
	s_wait_alu 0xfffe
	s_mul_hi_u32 s19, s8, s13
	s_mul_i32 s18, s8, s13
	s_mul_hi_u32 s16, s8, s12
	s_mul_i32 s3, s9, s12
	s_wait_alu 0xfffe
	s_add_nc_u64 s[16:17], s[16:17], s[18:19]
	s_mul_hi_u32 s0, s9, s12
	s_mul_hi_u32 s7, s9, s13
	s_wait_alu 0xfffe
	s_add_co_u32 s3, s16, s3
	s_add_co_ci_u32 s14, s17, s0
	s_mul_i32 s12, s9, s13
	s_add_co_ci_u32 s13, s7, 0
	s_wait_alu 0xfffe
	s_add_nc_u64 s[12:13], s[14:15], s[12:13]
	s_wait_alu 0xfffe
	s_add_co_u32 s0, s8, s12
	s_cselect_b32 s3, -1, 0
	s_wait_alu 0xfffe
	v_mul_hi_u32 v20, v18, s0
	s_cmp_lg_u32 s3, 0
	v_mad_co_u64_u32 v[10:11], null, v19, s0, 0
	s_add_co_ci_u32 s3, s9, s13
	s_wait_alu 0xfffe
	v_mad_co_u64_u32 v[8:9], null, v18, s3, 0
	v_mad_co_u64_u32 v[12:13], null, v19, s3, 0
	s_delay_alu instid0(VALU_DEP_2) | instskip(SKIP_1) | instid1(VALU_DEP_3)
	v_add_co_u32 v8, vcc_lo, v20, v8
	s_wait_alu 0xfffd
	v_add_co_ci_u32_e64 v9, null, 0, v9, vcc_lo
	s_delay_alu instid0(VALU_DEP_2) | instskip(SKIP_1) | instid1(VALU_DEP_2)
	v_add_co_u32 v8, vcc_lo, v8, v10
	s_wait_alu 0xfffd
	v_add_co_ci_u32_e32 v8, vcc_lo, v9, v11, vcc_lo
	s_wait_alu 0xfffd
	v_add_co_ci_u32_e32 v9, vcc_lo, 0, v13, vcc_lo
	s_delay_alu instid0(VALU_DEP_2) | instskip(SKIP_1) | instid1(VALU_DEP_2)
	v_add_co_u32 v10, vcc_lo, v8, v12
	s_wait_alu 0xfffd
	v_add_co_ci_u32_e64 v11, null, 0, v9, vcc_lo
	s_delay_alu instid0(VALU_DEP_2) | instskip(SKIP_1) | instid1(VALU_DEP_3)
	v_mul_lo_u32 v12, s5, v10
	v_mad_co_u64_u32 v[8:9], null, s4, v10, 0
	v_mul_lo_u32 v13, s4, v11
	s_delay_alu instid0(VALU_DEP_2) | instskip(NEXT) | instid1(VALU_DEP_2)
	v_sub_co_u32 v8, vcc_lo, v18, v8
	v_add3_u32 v9, v9, v13, v12
	v_add_co_u32 v13, s0, v10, 2
	s_wait_alu 0xf1ff
	v_add_co_ci_u32_e64 v18, null, 0, v11, s0
	s_delay_alu instid0(VALU_DEP_3) | instskip(SKIP_3) | instid1(VALU_DEP_3)
	v_sub_nc_u32_e32 v12, v19, v9
	v_sub_co_u32 v20, s0, v8, s4
	s_wait_alu 0xfffd
	v_sub_co_ci_u32_e64 v9, null, v19, v9, vcc_lo
	v_subrev_co_ci_u32_e64 v12, null, s5, v12, vcc_lo
	s_delay_alu instid0(VALU_DEP_3) | instskip(SKIP_1) | instid1(VALU_DEP_2)
	v_cmp_le_u32_e32 vcc_lo, s4, v20
	s_wait_alu 0xf1ff
	v_subrev_co_ci_u32_e64 v12, null, 0, v12, s0
	s_wait_alu 0xfffd
	v_cndmask_b32_e64 v19, 0, -1, vcc_lo
	v_cmp_eq_u32_e64 s0, s5, v9
	s_delay_alu instid0(VALU_DEP_3)
	v_cmp_le_u32_e32 vcc_lo, s5, v12
	s_wait_alu 0xfffd
	v_cndmask_b32_e64 v20, 0, -1, vcc_lo
	v_cmp_le_u32_e32 vcc_lo, s4, v8
	s_wait_alu 0xfffd
	v_cndmask_b32_e64 v8, 0, -1, vcc_lo
	;; [unrolled: 3-line block ×3, first 2 shown]
	v_cmp_eq_u32_e32 vcc_lo, s5, v12
	s_wait_alu 0xf1ff
	s_delay_alu instid0(VALU_DEP_2)
	v_cndmask_b32_e64 v8, v21, v8, s0
	s_wait_alu 0xfffd
	v_cndmask_b32_e32 v12, v20, v19, vcc_lo
	v_add_co_u32 v19, vcc_lo, v10, 1
	s_wait_alu 0xfffd
	v_add_co_ci_u32_e64 v20, null, 0, v11, vcc_lo
	s_delay_alu instid0(VALU_DEP_3) | instskip(SKIP_1) | instid1(VALU_DEP_2)
	v_cmp_ne_u32_e32 vcc_lo, 0, v12
	s_wait_alu 0xfffd
	v_dual_cndmask_b32 v9, v20, v18 :: v_dual_cndmask_b32 v12, v19, v13
	v_cmp_ne_u32_e32 vcc_lo, 0, v8
	s_wait_alu 0xfffd
	s_delay_alu instid0(VALU_DEP_2) | instskip(NEXT) | instid1(VALU_DEP_1)
	v_dual_cndmask_b32 v8, v11, v9 :: v_dual_cndmask_b32 v9, v10, v12
                                        ; implicit-def: $vgpr12
	v_xor_b32_e32 v8, v8, v17
	s_delay_alu instid0(VALU_DEP_2) | instskip(NEXT) | instid1(VALU_DEP_1)
	v_xor_b32_e32 v9, v9, v17
	v_sub_co_u32 v10, vcc_lo, v9, v17
	s_wait_alu 0xfffd
	s_delay_alu instid0(VALU_DEP_3)
	v_sub_co_ci_u32_e64 v11, null, v8, v17, vcc_lo
.LBB27_127:
	s_wait_alu 0xfffe
	s_and_not1_saveexec_b32 s0, s6
	s_cbranch_execz .LBB27_129
; %bb.128:
	v_cvt_f32_u32_e32 v8, s2
	s_delay_alu instid0(VALU_DEP_1) | instskip(NEXT) | instid1(TRANS32_DEP_1)
	v_rcp_iflag_f32_e32 v8, v8
	v_mul_f32_e32 v8, 0x4f7ffffe, v8
	s_delay_alu instid0(VALU_DEP_1) | instskip(NEXT) | instid1(VALU_DEP_1)
	v_cvt_u32_f32_e32 v8, v8
	v_mul_lo_u32 v9, s1, v8
	s_delay_alu instid0(VALU_DEP_1) | instskip(NEXT) | instid1(VALU_DEP_1)
	v_mul_hi_u32 v9, v8, v9
	v_add_nc_u32_e32 v8, v8, v9
	s_delay_alu instid0(VALU_DEP_1) | instskip(NEXT) | instid1(VALU_DEP_1)
	v_mul_hi_u32 v8, v12, v8
	v_mul_lo_u32 v9, v8, s2
	v_add_nc_u32_e32 v10, 1, v8
	s_delay_alu instid0(VALU_DEP_2) | instskip(NEXT) | instid1(VALU_DEP_1)
	v_sub_nc_u32_e32 v9, v12, v9
	v_subrev_nc_u32_e32 v11, s2, v9
	v_cmp_le_u32_e32 vcc_lo, s2, v9
	s_wait_alu 0xfffd
	s_delay_alu instid0(VALU_DEP_2) | instskip(SKIP_1) | instid1(VALU_DEP_2)
	v_dual_cndmask_b32 v9, v9, v11 :: v_dual_cndmask_b32 v8, v8, v10
	v_mov_b32_e32 v11, 0
	v_cmp_le_u32_e32 vcc_lo, s2, v9
	s_delay_alu instid0(VALU_DEP_3) | instskip(SKIP_1) | instid1(VALU_DEP_1)
	v_add_nc_u32_e32 v10, 1, v8
	s_wait_alu 0xfffd
	v_cndmask_b32_e32 v10, v8, v10, vcc_lo
.LBB27_129:
	s_wait_alu 0xfffe
	s_or_b32 exec_lo, exec_lo, s0
	v_cmp_gt_i64_e32 vcc_lo, s[22:23], v[4:5]
	v_dual_mov_b32 v5, 0 :: v_dual_mov_b32 v4, 0
	s_and_saveexec_b32 s0, vcc_lo
	s_cbranch_execz .LBB27_137
; %bb.130:
	s_add_co_i32 s1, s2, -1
	s_wait_alu 0xfffe
	v_dual_mov_b32 v5, 0 :: v_dual_and_b32 v8, s1, v0
	s_mov_b32 s1, exec_lo
	s_delay_alu instid0(VALU_DEP_1)
	v_dual_mov_b32 v4, 0 :: v_dual_lshlrev_b32 v17, 3, v8
	v_cmpx_lt_i64_e32 0, v[10:11]
	s_cbranch_execz .LBB27_134
; %bb.131:
	v_mov_b32_e32 v5, 0
	v_mov_b32_e32 v13, v11
	v_lshl_add_u32 v9, v2, 3, v17
	v_mov_b32_e32 v12, v10
	s_lshl_b32 s4, s2, 3
	v_mov_b32_e32 v4, v5
	s_mov_b32 s3, 0
.LBB27_132:                             ; =>This Inner Loop Header: Depth=1
	ds_load_b64 v[18:19], v9
	v_add_co_u32 v12, vcc_lo, v12, -1
	s_wait_alu 0xfffd
	v_add_co_ci_u32_e64 v13, null, -1, v13, vcc_lo
	s_wait_alu 0xfffe
	v_add_nc_u32_e32 v9, s4, v9
	s_delay_alu instid0(VALU_DEP_2)
	v_cmp_eq_u64_e32 vcc_lo, 0, v[12:13]
	s_or_b32 s3, vcc_lo, s3
	s_wait_dscnt 0x0
	v_dual_add_f32 v4, v4, v18 :: v_dual_add_f32 v5, v5, v19
	s_wait_alu 0xfffe
	s_and_not1_b32 exec_lo, exec_lo, s3
	s_cbranch_execnz .LBB27_132
; %bb.133:
	s_or_b32 exec_lo, exec_lo, s3
.LBB27_134:
	s_wait_alu 0xfffe
	s_or_b32 exec_lo, exec_lo, s1
	v_mad_co_u64_u32 v[2:3], null, v10, s2, v[2:3]
	v_mov_b32_e32 v9, 0
	s_mov_b32 s1, exec_lo
	s_delay_alu instid0(VALU_DEP_2) | instskip(NEXT) | instid1(VALU_DEP_3)
	v_mad_co_u64_u32 v[10:11], null, v11, s2, v[3:4]
	v_sub_co_u32 v11, vcc_lo, v14, v2
	s_wait_alu 0xfffd
	s_delay_alu instid0(VALU_DEP_2) | instskip(NEXT) | instid1(VALU_DEP_1)
	v_sub_co_ci_u32_e64 v12, null, v15, v10, vcc_lo
	v_cmpx_gt_i64_e64 v[11:12], v[8:9]
	s_cbranch_execz .LBB27_136
; %bb.135:
	v_lshl_add_u32 v2, v2, 3, v17
	ds_load_b64 v[2:3], v2
	s_wait_dscnt 0x0
	v_dual_add_f32 v4, v4, v2 :: v_dual_add_f32 v5, v5, v3
.LBB27_136:
	s_wait_alu 0xfffe
	s_or_b32 exec_lo, exec_lo, s1
.LBB27_137:
	s_wait_alu 0xfffe
	s_or_b32 exec_lo, exec_lo, s0
	v_cmp_gt_i64_e32 vcc_lo, s[22:23], v[0:1]
	s_wait_storecnt 0x0
	s_barrier_signal -1
	s_barrier_wait -1
	global_inv scope:SCOPE_SE
	ds_store_b64 v16, v[4:5]
	s_wait_loadcnt_dscnt 0x0
	s_barrier_signal -1
	s_barrier_wait -1
	global_inv scope:SCOPE_SE
	s_and_b32 exec_lo, exec_lo, vcc_lo
	s_cbranch_execz .LBB27_141
; %bb.138:
	v_mul_lo_u32 v2, s2, v0
	v_mov_b32_e32 v1, 0
	s_delay_alu instid0(VALU_DEP_2)
	v_dual_mov_b32 v2, 0 :: v_dual_lshlrev_b32 v3, 3, v2
.LBB27_139:                             ; =>This Inner Loop Header: Depth=1
	ds_load_b64 v[4:5], v3
	v_add_nc_u32_e32 v3, 8, v3
	s_add_co_i32 s2, s2, -1
	s_wait_alu 0xfffe
	s_cmp_eq_u32 s2, 0
	s_wait_dscnt 0x0
	v_dual_add_f32 v2, v2, v4 :: v_dual_add_f32 v1, v1, v5
	s_cbranch_scc0 .LBB27_139
; %bb.140:
	v_lshlrev_b32_e32 v0, 3, v0
	s_lshl_b32 s0, s10, 3
	v_lshlrev_b64_e32 v[5:6], 3, v[6:7]
	s_wait_alu 0xfffe
	s_delay_alu instid0(VALU_DEP_2)
	v_add3_u32 v0, 0x2000, s0, v0
	ds_load_2addr_b32 v[3:4], v0 offset1:1
	s_wait_dscnt 0x0
	v_dual_add_f32 v0, v2, v3 :: v_dual_add_f32 v1, v1, v4
	v_add_co_u32 v2, vcc_lo, s20, v5
	s_wait_alu 0xfffd
	v_add_co_ci_u32_e64 v3, null, s21, v6, vcc_lo
	s_clause 0x1
	global_atomic_add_f32 v[2:3], v0, off scope:SCOPE_DEV
	global_atomic_add_f32 v[2:3], v1, off offset:4 scope:SCOPE_DEV
.LBB27_141:
	s_endpgm
	.section	.rodata,"a",@progbits
	.p2align	6, 0x0
	.amdhsa_kernel _ZN9rocsparseL27csrmvn_symm_adaptive_kernelIli21rocsparse_complex_numIfES2_S2_S2_EEvbT_S3_PKS3_NS_24const_host_device_scalarIT4_EES5_PKT0_PKT1_PKT2_S8_PT3_21rocsparse_index_base_b
		.amdhsa_group_segment_fixed_size 8192
		.amdhsa_private_segment_fixed_size 0
		.amdhsa_kernarg_size 352
		.amdhsa_user_sgpr_count 2
		.amdhsa_user_sgpr_dispatch_ptr 0
		.amdhsa_user_sgpr_queue_ptr 0
		.amdhsa_user_sgpr_kernarg_segment_ptr 1
		.amdhsa_user_sgpr_dispatch_id 0
		.amdhsa_user_sgpr_private_segment_size 0
		.amdhsa_wavefront_size32 1
		.amdhsa_uses_dynamic_stack 0
		.amdhsa_enable_private_segment 0
		.amdhsa_system_sgpr_workgroup_id_x 1
		.amdhsa_system_sgpr_workgroup_id_y 0
		.amdhsa_system_sgpr_workgroup_id_z 0
		.amdhsa_system_sgpr_workgroup_info 0
		.amdhsa_system_vgpr_workitem_id 0
		.amdhsa_next_free_vgpr 25
		.amdhsa_next_free_sgpr 42
		.amdhsa_reserve_vcc 1
		.amdhsa_float_round_mode_32 0
		.amdhsa_float_round_mode_16_64 0
		.amdhsa_float_denorm_mode_32 3
		.amdhsa_float_denorm_mode_16_64 3
		.amdhsa_fp16_overflow 0
		.amdhsa_workgroup_processor_mode 1
		.amdhsa_memory_ordered 1
		.amdhsa_forward_progress 1
		.amdhsa_inst_pref_size 84
		.amdhsa_round_robin_scheduling 0
		.amdhsa_exception_fp_ieee_invalid_op 0
		.amdhsa_exception_fp_denorm_src 0
		.amdhsa_exception_fp_ieee_div_zero 0
		.amdhsa_exception_fp_ieee_overflow 0
		.amdhsa_exception_fp_ieee_underflow 0
		.amdhsa_exception_fp_ieee_inexact 0
		.amdhsa_exception_int_div_zero 0
	.end_amdhsa_kernel
	.section	.text._ZN9rocsparseL27csrmvn_symm_adaptive_kernelIli21rocsparse_complex_numIfES2_S2_S2_EEvbT_S3_PKS3_NS_24const_host_device_scalarIT4_EES5_PKT0_PKT1_PKT2_S8_PT3_21rocsparse_index_base_b,"axG",@progbits,_ZN9rocsparseL27csrmvn_symm_adaptive_kernelIli21rocsparse_complex_numIfES2_S2_S2_EEvbT_S3_PKS3_NS_24const_host_device_scalarIT4_EES5_PKT0_PKT1_PKT2_S8_PT3_21rocsparse_index_base_b,comdat
.Lfunc_end27:
	.size	_ZN9rocsparseL27csrmvn_symm_adaptive_kernelIli21rocsparse_complex_numIfES2_S2_S2_EEvbT_S3_PKS3_NS_24const_host_device_scalarIT4_EES5_PKT0_PKT1_PKT2_S8_PT3_21rocsparse_index_base_b, .Lfunc_end27-_ZN9rocsparseL27csrmvn_symm_adaptive_kernelIli21rocsparse_complex_numIfES2_S2_S2_EEvbT_S3_PKS3_NS_24const_host_device_scalarIT4_EES5_PKT0_PKT1_PKT2_S8_PT3_21rocsparse_index_base_b
                                        ; -- End function
	.set _ZN9rocsparseL27csrmvn_symm_adaptive_kernelIli21rocsparse_complex_numIfES2_S2_S2_EEvbT_S3_PKS3_NS_24const_host_device_scalarIT4_EES5_PKT0_PKT1_PKT2_S8_PT3_21rocsparse_index_base_b.num_vgpr, 25
	.set _ZN9rocsparseL27csrmvn_symm_adaptive_kernelIli21rocsparse_complex_numIfES2_S2_S2_EEvbT_S3_PKS3_NS_24const_host_device_scalarIT4_EES5_PKT0_PKT1_PKT2_S8_PT3_21rocsparse_index_base_b.num_agpr, 0
	.set _ZN9rocsparseL27csrmvn_symm_adaptive_kernelIli21rocsparse_complex_numIfES2_S2_S2_EEvbT_S3_PKS3_NS_24const_host_device_scalarIT4_EES5_PKT0_PKT1_PKT2_S8_PT3_21rocsparse_index_base_b.numbered_sgpr, 42
	.set _ZN9rocsparseL27csrmvn_symm_adaptive_kernelIli21rocsparse_complex_numIfES2_S2_S2_EEvbT_S3_PKS3_NS_24const_host_device_scalarIT4_EES5_PKT0_PKT1_PKT2_S8_PT3_21rocsparse_index_base_b.num_named_barrier, 0
	.set _ZN9rocsparseL27csrmvn_symm_adaptive_kernelIli21rocsparse_complex_numIfES2_S2_S2_EEvbT_S3_PKS3_NS_24const_host_device_scalarIT4_EES5_PKT0_PKT1_PKT2_S8_PT3_21rocsparse_index_base_b.private_seg_size, 0
	.set _ZN9rocsparseL27csrmvn_symm_adaptive_kernelIli21rocsparse_complex_numIfES2_S2_S2_EEvbT_S3_PKS3_NS_24const_host_device_scalarIT4_EES5_PKT0_PKT1_PKT2_S8_PT3_21rocsparse_index_base_b.uses_vcc, 1
	.set _ZN9rocsparseL27csrmvn_symm_adaptive_kernelIli21rocsparse_complex_numIfES2_S2_S2_EEvbT_S3_PKS3_NS_24const_host_device_scalarIT4_EES5_PKT0_PKT1_PKT2_S8_PT3_21rocsparse_index_base_b.uses_flat_scratch, 0
	.set _ZN9rocsparseL27csrmvn_symm_adaptive_kernelIli21rocsparse_complex_numIfES2_S2_S2_EEvbT_S3_PKS3_NS_24const_host_device_scalarIT4_EES5_PKT0_PKT1_PKT2_S8_PT3_21rocsparse_index_base_b.has_dyn_sized_stack, 0
	.set _ZN9rocsparseL27csrmvn_symm_adaptive_kernelIli21rocsparse_complex_numIfES2_S2_S2_EEvbT_S3_PKS3_NS_24const_host_device_scalarIT4_EES5_PKT0_PKT1_PKT2_S8_PT3_21rocsparse_index_base_b.has_recursion, 0
	.set _ZN9rocsparseL27csrmvn_symm_adaptive_kernelIli21rocsparse_complex_numIfES2_S2_S2_EEvbT_S3_PKS3_NS_24const_host_device_scalarIT4_EES5_PKT0_PKT1_PKT2_S8_PT3_21rocsparse_index_base_b.has_indirect_call, 0
	.section	.AMDGPU.csdata,"",@progbits
; Kernel info:
; codeLenInByte = 10640
; TotalNumSgprs: 44
; NumVgprs: 25
; ScratchSize: 0
; MemoryBound: 0
; FloatMode: 240
; IeeeMode: 1
; LDSByteSize: 8192 bytes/workgroup (compile time only)
; SGPRBlocks: 0
; VGPRBlocks: 3
; NumSGPRsForWavesPerEU: 44
; NumVGPRsForWavesPerEU: 25
; Occupancy: 16
; WaveLimiterHint : 1
; COMPUTE_PGM_RSRC2:SCRATCH_EN: 0
; COMPUTE_PGM_RSRC2:USER_SGPR: 2
; COMPUTE_PGM_RSRC2:TRAP_HANDLER: 0
; COMPUTE_PGM_RSRC2:TGID_X_EN: 1
; COMPUTE_PGM_RSRC2:TGID_Y_EN: 0
; COMPUTE_PGM_RSRC2:TGID_Z_EN: 0
; COMPUTE_PGM_RSRC2:TIDIG_COMP_CNT: 0
	.section	.text._ZL33csrmvn_symm_large_adaptive_kernelIli21rocsparse_complex_numIfES1_S1_S1_EvbT_PKS2_N9rocsparse24const_host_device_scalarIT4_EES4_PKT0_PKT1_PKT2_S8_PT3_21rocsparse_index_base_b,"axG",@progbits,_ZL33csrmvn_symm_large_adaptive_kernelIli21rocsparse_complex_numIfES1_S1_S1_EvbT_PKS2_N9rocsparse24const_host_device_scalarIT4_EES4_PKT0_PKT1_PKT2_S8_PT3_21rocsparse_index_base_b,comdat
	.globl	_ZL33csrmvn_symm_large_adaptive_kernelIli21rocsparse_complex_numIfES1_S1_S1_EvbT_PKS2_N9rocsparse24const_host_device_scalarIT4_EES4_PKT0_PKT1_PKT2_S8_PT3_21rocsparse_index_base_b ; -- Begin function _ZL33csrmvn_symm_large_adaptive_kernelIli21rocsparse_complex_numIfES1_S1_S1_EvbT_PKS2_N9rocsparse24const_host_device_scalarIT4_EES4_PKT0_PKT1_PKT2_S8_PT3_21rocsparse_index_base_b
	.p2align	8
	.type	_ZL33csrmvn_symm_large_adaptive_kernelIli21rocsparse_complex_numIfES1_S1_S1_EvbT_PKS2_N9rocsparse24const_host_device_scalarIT4_EES4_PKT0_PKT1_PKT2_S8_PT3_21rocsparse_index_base_b,@function
_ZL33csrmvn_symm_large_adaptive_kernelIli21rocsparse_complex_numIfES1_S1_S1_EvbT_PKS2_N9rocsparse24const_host_device_scalarIT4_EES4_PKT0_PKT1_PKT2_S8_PT3_21rocsparse_index_base_b: ; @_ZL33csrmvn_symm_large_adaptive_kernelIli21rocsparse_complex_numIfES1_S1_S1_EvbT_PKS2_N9rocsparse24const_host_device_scalarIT4_EES4_PKT0_PKT1_PKT2_S8_PT3_21rocsparse_index_base_b
; %bb.0:
	s_clause 0x1
	s_load_b64 s[6:7], s[0:1], 0x50
	s_load_b64 s[4:5], s[0:1], 0x18
	s_add_nc_u64 s[8:9], s[0:1], 24
	s_wait_kmcnt 0x0
	s_bitcmp1_b32 s7, 0
	s_cselect_b32 s3, -1, 0
	s_delay_alu instid0(SALU_CYCLE_1) | instskip(SKIP_2) | instid1(SALU_CYCLE_1)
	s_and_b32 s2, s3, exec_lo
	s_cselect_b32 s2, s8, s4
	s_cselect_b32 s4, s9, s5
	v_dual_mov_b32 v1, s2 :: v_dual_mov_b32 v2, s4
	flat_load_b64 v[1:2], v[1:2]
	s_wait_loadcnt_dscnt 0x0
	v_cmp_eq_f32_e32 vcc_lo, 0, v1
	v_cmp_eq_f32_e64 s2, 0, v2
	s_and_b32 s5, vcc_lo, s2
	s_mov_b32 s2, -1
	s_wait_alu 0xfffe
	s_and_saveexec_b32 s4, s5
	s_cbranch_execz .LBB28_2
; %bb.1:
	s_load_b64 s[8:9], s[0:1], 0x40
	s_add_nc_u64 s[10:11], s[0:1], 64
	s_and_b32 s2, s3, exec_lo
	s_wait_kmcnt 0x0
	s_cselect_b32 s2, s10, s8
	s_cselect_b32 s3, s11, s9
	s_wait_alu 0xfffe
	v_dual_mov_b32 v3, s2 :: v_dual_mov_b32 v4, s3
	flat_load_b64 v[3:4], v[3:4]
	s_wait_loadcnt_dscnt 0x0
	v_cmp_neq_f32_e32 vcc_lo, 1.0, v3
	v_cmp_neq_f32_e64 s2, 0, v4
	s_or_b32 s2, vcc_lo, s2
	s_wait_alu 0xfffe
	s_or_not1_b32 s2, s2, exec_lo
.LBB28_2:
	s_wait_alu 0xfffe
	s_or_b32 exec_lo, exec_lo, s4
	s_and_saveexec_b32 s3, s2
	s_cbranch_execz .LBB28_36
; %bb.3:
	s_clause 0x1
	s_load_b32 s3, s[0:1], 0x0
	s_load_b64 s[4:5], s[0:1], 0x10
	s_mov_b32 s22, 0
	s_mov_b32 s2, ttmp9
	s_mov_b32 s23, s22
	v_dual_mov_b32 v3, s22 :: v_dual_mov_b32 v14, 0
	v_dual_mov_b32 v4, s23 :: v_dual_lshlrev_b32 v11, 3, v0
	s_mov_b32 s7, s22
	ds_store_2addr_stride64_b64 v11, v[3:4], v[3:4] offset1:4
	ds_store_2addr_stride64_b64 v11, v[3:4], v[3:4] offset0:8 offset1:12
	s_wait_dscnt 0x0
	s_barrier_signal -1
	s_barrier_wait -1
	global_inv scope:SCOPE_SE
	s_wait_kmcnt 0x0
	s_bitcmp1_b32 s3, 0
	s_cselect_b32 s30, -1, 0
	s_ashr_i32 s3, ttmp9, 31
	s_wait_alu 0xfffe
	s_lshl_b64 s[2:3], s[2:3], 3
	s_wait_alu 0xfffe
	s_add_nc_u64 s[2:3], s[4:5], s[2:3]
	s_load_b128 s[16:19], s[2:3], 0x0
	s_clause 0x1
	s_load_b256 s[8:15], s[0:1], 0x20
	s_load_b64 s[20:21], s[0:1], 0x48
	v_sub_co_u32 v12, s1, v0, s6
	s_delay_alu instid0(VALU_DEP_1)
	v_sub_co_ci_u32_e64 v13, null, 0, 0, s1
	s_wait_kmcnt 0x0
	v_cmp_ge_i64_e64 s0, s[16:17], s[18:19]
	s_and_b32 vcc_lo, exec_lo, s0
	s_cbranch_vccnz .LBB28_27
; %bb.4:
	v_cmp_gt_u32_e64 s0, 64, v0
	v_cmp_gt_u32_e64 s1, 16, v0
	;; [unrolled: 1-line block ×3, first 2 shown]
	v_cmp_eq_u32_e64 s3, 0, v0
	s_add_nc_u64 s[22:23], s[12:13], 4
	s_mov_b64 s[24:25], s[16:17]
	s_branch .LBB28_6
.LBB28_5:                               ;   in Loop: Header=BB28_6 Depth=1
	s_wait_alu 0xfffe
	s_or_b32 exec_lo, exec_lo, s28
	s_add_nc_u64 s[24:25], s[24:25], 1
	s_wait_alu 0xfffe
	v_cmp_ge_i64_e64 s4, s[24:25], s[18:19]
	s_and_b32 vcc_lo, exec_lo, s4
	s_wait_alu 0xfffe
	s_cbranch_vccnz .LBB28_27
.LBB28_6:                               ; =>This Loop Header: Depth=1
                                        ;     Child Loop BB28_8 Depth 2
                                        ;     Child Loop BB28_20 Depth 2
	;; [unrolled: 1-line block ×3, first 2 shown]
	s_lshl_b64 s[26:27], s[24:25], 3
	v_dual_mov_b32 v6, 0 :: v_dual_mov_b32 v5, 0
	s_wait_alu 0xfffe
	s_add_nc_u64 s[4:5], s[8:9], s[26:27]
	s_load_b128 s[36:39], s[4:5], 0x0
	s_mov_b32 s5, exec_lo
	s_wait_kmcnt 0x0
	v_add_co_u32 v3, vcc_lo, s36, v12
	s_wait_alu 0xfffd
	v_add_co_ci_u32_e64 v4, null, s37, v13, vcc_lo
	s_sub_nc_u64 s[28:29], s[38:39], s[6:7]
	s_wait_alu 0xfffe
	v_cmpx_gt_i64_e64 s[28:29], v[3:4]
	s_cbranch_execz .LBB28_10
; %bb.7:                                ;   in Loop: Header=BB28_6 Depth=1
	v_lshlrev_b64_e32 v[7:8], 2, v[3:4]
	v_lshlrev_b64_e32 v[9:10], 3, v[3:4]
	v_mov_b32_e32 v6, 0
	s_mov_b32 s31, 0
	s_delay_alu instid0(VALU_DEP_3)
	v_add_co_u32 v7, vcc_lo, s10, v7
	s_wait_alu 0xfffd
	v_add_co_ci_u32_e64 v8, null, s11, v8, vcc_lo
	v_add_co_u32 v9, vcc_lo, s22, v9
	s_wait_alu 0xfffd
	v_add_co_ci_u32_e64 v10, null, s23, v10, vcc_lo
	v_mov_b32_e32 v5, v6
.LBB28_8:                               ;   Parent Loop BB28_6 Depth=1
                                        ; =>  This Inner Loop Header: Depth=2
	global_load_b32 v0, v[7:8], off
	global_load_b64 v[17:18], v[9:10], off offset:-4
	s_wait_loadcnt 0x1
	v_subrev_nc_u32_e32 v15, s6, v0
	s_wait_loadcnt 0x0
	v_cndmask_b32_e64 v0, v18, -v18, s30
	s_delay_alu instid0(VALU_DEP_2) | instskip(NEXT) | instid1(VALU_DEP_1)
	v_ashrrev_i32_e32 v16, 31, v15
	v_lshlrev_b64_e32 v[15:16], 3, v[15:16]
	s_delay_alu instid0(VALU_DEP_1) | instskip(SKIP_1) | instid1(VALU_DEP_2)
	v_add_co_u32 v15, vcc_lo, s14, v15
	s_wait_alu 0xfffd
	v_add_co_ci_u32_e64 v16, null, s15, v16, vcc_lo
	v_add_co_u32 v3, vcc_lo, 0x100, v3
	s_wait_alu 0xfffd
	v_add_co_ci_u32_e64 v4, null, 0, v4, vcc_lo
	global_load_b64 v[15:16], v[15:16], off
	v_add_co_u32 v7, vcc_lo, 0x400, v7
	v_cmp_le_i64_e64 s4, s[28:29], v[3:4]
	s_wait_alu 0xfffd
	v_add_co_ci_u32_e64 v8, null, 0, v8, vcc_lo
	v_add_co_u32 v9, vcc_lo, 0x800, v9
	s_wait_alu 0xfffd
	v_add_co_ci_u32_e64 v10, null, 0, v10, vcc_lo
	s_wait_alu 0xfffe
	s_or_b32 s31, s4, s31
	s_wait_loadcnt 0x0
	v_fmac_f32_e32 v5, v17, v15
	v_fmac_f32_e32 v6, v0, v15
	s_delay_alu instid0(VALU_DEP_2) | instskip(NEXT) | instid1(VALU_DEP_2)
	v_fma_f32 v5, -v0, v16, v5
	v_fmac_f32_e32 v6, v17, v16
	s_wait_alu 0xfffe
	s_and_not1_b32 exec_lo, exec_lo, s31
	s_cbranch_execnz .LBB28_8
; %bb.9:                                ;   in Loop: Header=BB28_6 Depth=1
	s_or_b32 exec_lo, exec_lo, s31
.LBB28_10:                              ;   in Loop: Header=BB28_6 Depth=1
	s_wait_alu 0xfffe
	s_or_b32 exec_lo, exec_lo, s5
	ds_store_b64 v11, v[5:6]
	s_wait_loadcnt_dscnt 0x0
	s_barrier_signal -1
	s_barrier_wait -1
	global_inv scope:SCOPE_SE
	ds_load_2addr_stride64_b64 v[3:6], v11 offset1:4
	ds_load_2addr_stride64_b64 v[7:10], v11 offset0:8 offset1:12
	s_wait_dscnt 0x0
	v_dual_add_f32 v0, v7, v5 :: v_dual_add_f32 v5, v8, v6
	s_delay_alu instid0(VALU_DEP_1) | instskip(NEXT) | instid1(VALU_DEP_1)
	v_dual_add_f32 v0, v9, v0 :: v_dual_add_f32 v5, v10, v5
	v_dual_add_f32 v3, v0, v3 :: v_dual_add_f32 v4, v5, v4
	ds_store_b64 v11, v[3:4]
	s_wait_loadcnt_dscnt 0x0
	s_barrier_signal -1
	s_barrier_wait -1
	global_inv scope:SCOPE_SE
	s_and_saveexec_b32 s4, s0
	s_cbranch_execz .LBB28_12
; %bb.11:                               ;   in Loop: Header=BB28_6 Depth=1
	ds_load_2addr_stride64_b64 v[3:6], v11 offset1:1
	ds_load_2addr_stride64_b64 v[7:10], v11 offset0:2 offset1:3
	s_wait_dscnt 0x0
	v_dual_add_f32 v0, v7, v5 :: v_dual_add_f32 v5, v8, v6
	s_delay_alu instid0(VALU_DEP_1) | instskip(NEXT) | instid1(VALU_DEP_1)
	v_dual_add_f32 v0, v9, v0 :: v_dual_add_f32 v5, v10, v5
	v_dual_add_f32 v3, v0, v3 :: v_dual_add_f32 v4, v5, v4
	ds_store_b64 v11, v[3:4]
.LBB28_12:                              ;   in Loop: Header=BB28_6 Depth=1
	s_wait_alu 0xfffe
	s_or_b32 exec_lo, exec_lo, s4
	s_wait_loadcnt_dscnt 0x0
	s_barrier_signal -1
	s_barrier_wait -1
	global_inv scope:SCOPE_SE
	s_and_saveexec_b32 s4, s1
	s_cbranch_execz .LBB28_14
; %bb.13:                               ;   in Loop: Header=BB28_6 Depth=1
	ds_load_2addr_b64 v[3:6], v11 offset1:16
	ds_load_2addr_b64 v[7:10], v11 offset0:32 offset1:48
	s_wait_dscnt 0x0
	v_dual_add_f32 v0, v7, v5 :: v_dual_add_f32 v5, v8, v6
	s_delay_alu instid0(VALU_DEP_1) | instskip(NEXT) | instid1(VALU_DEP_1)
	v_dual_add_f32 v0, v9, v0 :: v_dual_add_f32 v5, v10, v5
	v_dual_add_f32 v3, v0, v3 :: v_dual_add_f32 v4, v5, v4
	ds_store_b64 v11, v[3:4]
.LBB28_14:                              ;   in Loop: Header=BB28_6 Depth=1
	s_wait_alu 0xfffe
	s_or_b32 exec_lo, exec_lo, s4
	s_wait_loadcnt_dscnt 0x0
	s_barrier_signal -1
	s_barrier_wait -1
	global_inv scope:SCOPE_SE
	s_and_saveexec_b32 s4, s2
	s_cbranch_execz .LBB28_16
; %bb.15:                               ;   in Loop: Header=BB28_6 Depth=1
	ds_load_2addr_b64 v[3:6], v11 offset1:4
	ds_load_2addr_b64 v[7:10], v11 offset0:8 offset1:12
	s_wait_dscnt 0x0
	v_dual_add_f32 v0, v7, v5 :: v_dual_add_f32 v5, v8, v6
	s_delay_alu instid0(VALU_DEP_1) | instskip(NEXT) | instid1(VALU_DEP_1)
	v_dual_add_f32 v0, v9, v0 :: v_dual_add_f32 v5, v10, v5
	v_dual_add_f32 v3, v0, v3 :: v_dual_add_f32 v4, v5, v4
	ds_store_b64 v11, v[3:4]
.LBB28_16:                              ;   in Loop: Header=BB28_6 Depth=1
	s_wait_alu 0xfffe
	s_or_b32 exec_lo, exec_lo, s4
	s_wait_loadcnt_dscnt 0x0
	s_barrier_signal -1
	s_barrier_wait -1
	global_inv scope:SCOPE_SE
	s_and_saveexec_b32 s4, s3
	s_cbranch_execz .LBB28_18
; %bb.17:                               ;   in Loop: Header=BB28_6 Depth=1
	ds_load_b128 v[3:6], v14 offset:16
	ds_load_b64 v[7:8], v14 offset:8
	ds_load_b64 v[9:10], v11
	s_wait_dscnt 0x1
	v_dual_add_f32 v0, v3, v7 :: v_dual_add_f32 v3, v4, v8
	s_delay_alu instid0(VALU_DEP_1) | instskip(SKIP_1) | instid1(VALU_DEP_1)
	v_add_f32_e32 v0, v5, v0
	s_wait_dscnt 0x0
	v_dual_add_f32 v4, v6, v3 :: v_dual_add_f32 v3, v0, v9
	s_delay_alu instid0(VALU_DEP_1)
	v_add_f32_e32 v4, v4, v10
	ds_store_b64 v11, v[3:4]
.LBB28_18:                              ;   in Loop: Header=BB28_6 Depth=1
	s_wait_alu 0xfffe
	s_or_b32 exec_lo, exec_lo, s4
	s_wait_loadcnt_dscnt 0x0
	s_barrier_signal -1
	s_barrier_wait -1
	global_inv scope:SCOPE_SE
	s_and_saveexec_b32 s28, s3
	s_cbranch_execz .LBB28_5
; %bb.19:                               ;   in Loop: Header=BB28_6 Depth=1
	ds_load_b64 v[3:4], v14
	s_mov_b32 s4, exec_lo
	s_brev_b32 s29, 1
	s_wait_dscnt 0x0
	v_mul_f32_e64 v0, v4, -v2
	s_delay_alu instid0(VALU_DEP_1)
	v_fmac_f32_e32 v0, v1, v3
.LBB28_20:                              ;   Parent Loop BB28_6 Depth=1
                                        ; =>  This Inner Loop Header: Depth=2
	s_wait_alu 0xfffe
	s_ctz_i32_b32 s5, s4
	s_wait_alu 0xfffe
	s_delay_alu instid0(VALU_DEP_1)
	v_readlane_b32 s31, v0, s5
	s_lshl_b32 s5, 1, s5
	s_wait_alu 0xfffe
	s_and_not1_b32 s4, s4, s5
	s_wait_alu 0xfffe
	s_cmp_lg_u32 s4, 0
	s_add_f32 s29, s29, s31
	s_cbranch_scc1 .LBB28_20
; %bb.21:                               ;   in Loop: Header=BB28_6 Depth=1
	v_mbcnt_lo_u32_b32 v0, exec_lo, 0
	s_add_nc_u64 s[4:5], s[20:21], s[26:27]
	s_mov_b32 s26, exec_lo
	s_delay_alu instid0(VALU_DEP_1)
	v_cmpx_eq_u32_e32 0, v0
	s_wait_alu 0xfffe
	s_xor_b32 s26, exec_lo, s26
	s_cbranch_execz .LBB28_23
; %bb.22:                               ;   in Loop: Header=BB28_6 Depth=1
	v_mov_b32_e32 v0, s29
	global_atomic_add_f32 v14, v0, s[4:5] scope:SCOPE_DEV
.LBB28_23:                              ;   in Loop: Header=BB28_6 Depth=1
	s_wait_alu 0xfffe
	s_or_b32 exec_lo, exec_lo, s26
	v_mul_f32_e32 v0, v1, v4
	s_mov_b32 s27, exec_lo
	s_brev_b32 s26, 1
	s_delay_alu instid0(VALU_DEP_1)
	v_fmac_f32_e32 v0, v2, v3
.LBB28_24:                              ;   Parent Loop BB28_6 Depth=1
                                        ; =>  This Inner Loop Header: Depth=2
	s_wait_alu 0xfffe
	s_ctz_i32_b32 s29, s27
	s_wait_alu 0xfffe
	s_delay_alu instid0(VALU_DEP_1)
	v_readlane_b32 s31, v0, s29
	s_lshl_b32 s29, 1, s29
	s_wait_alu 0xfffe
	s_and_not1_b32 s27, s27, s29
	s_wait_alu 0xfffe
	s_cmp_lg_u32 s27, 0
	s_add_f32 s26, s26, s31
	s_cbranch_scc1 .LBB28_24
; %bb.25:                               ;   in Loop: Header=BB28_6 Depth=1
	v_mbcnt_lo_u32_b32 v0, exec_lo, 0
	s_mov_b32 s27, exec_lo
	s_delay_alu instid0(VALU_DEP_1)
	v_cmpx_eq_u32_e32 0, v0
	s_wait_alu 0xfffe
	s_xor_b32 s27, exec_lo, s27
	s_cbranch_execz .LBB28_5
; %bb.26:                               ;   in Loop: Header=BB28_6 Depth=1
	v_mov_b32_e32 v0, s26
	global_atomic_add_f32 v14, v0, s[4:5] offset:4 scope:SCOPE_DEV
	s_branch .LBB28_5
.LBB28_27:
	s_lshl_b64 s[0:1], s[16:17], 3
	s_lshl_b64 s[2:3], s[18:19], 3
	s_wait_alu 0xfffe
	s_add_nc_u64 s[0:1], s[8:9], s[0:1]
	s_add_nc_u64 s[2:3], s[8:9], s[2:3]
	s_clause 0x1
	s_load_b64 s[0:1], s[0:1], 0x0
	s_load_b64 s[2:3], s[2:3], 0x0
	s_wait_kmcnt 0x0
	v_add_co_u32 v3, vcc_lo, s0, v12
	s_wait_alu 0xfffd
	v_add_co_ci_u32_e64 v4, null, s1, v13, vcc_lo
	s_sub_nc_u64 s[2:3], s[2:3], s[6:7]
	s_wait_alu 0xfffe
	v_cmp_gt_i64_e32 vcc_lo, s[2:3], v[3:4]
	s_and_b32 exec_lo, exec_lo, vcc_lo
	s_cbranch_execz .LBB28_36
; %bb.28:
	s_add_nc_u64 s[4:5], s[18:19], -1
	s_add_nc_u64 s[0:1], s[18:19], -2
	s_wait_alu 0xfffe
	v_cmp_lt_i64_e64 s7, s[16:17], s[4:5]
	s_cmp_lg_u64 s[16:17], s[0:1]
	s_cselect_b32 s0, -1, 0
	s_wait_alu 0xfffe
	s_and_b32 s1, s7, s0
	s_mov_b32 s7, 0
	s_branch .LBB28_30
.LBB28_29:                              ;   in Loop: Header=BB28_30 Depth=1
	s_wait_alu 0xfffe
	s_or_b32 exec_lo, exec_lo, s0
	v_add_co_u32 v3, vcc_lo, 0x100, v3
	s_wait_alu 0xfffd
	v_add_co_ci_u32_e64 v4, null, 0, v4, vcc_lo
	s_delay_alu instid0(VALU_DEP_1)
	v_cmp_le_i64_e32 vcc_lo, s[2:3], v[3:4]
	s_or_b32 s7, vcc_lo, s7
	s_wait_alu 0xfffe
	s_and_not1_b32 exec_lo, exec_lo, s7
	s_cbranch_execz .LBB28_36
.LBB28_30:                              ; =>This Loop Header: Depth=1
                                        ;     Child Loop BB28_32 Depth 2
	v_dual_mov_b32 v5, s16 :: v_dual_mov_b32 v6, s17
	v_dual_mov_b32 v8, s5 :: v_dual_mov_b32 v7, s4
	s_wait_alu 0xfffe
	s_and_not1_b32 vcc_lo, exec_lo, s1
	s_wait_alu 0xfffe
	s_cbranch_vccnz .LBB28_34
; %bb.31:                               ;   in Loop: Header=BB28_30 Depth=1
	v_dual_mov_b32 v5, s16 :: v_dual_mov_b32 v6, s17
	v_dual_mov_b32 v8, s5 :: v_dual_mov_b32 v7, s4
	s_mov_b32 s18, 0
.LBB28_32:                              ;   Parent Loop BB28_30 Depth=1
                                        ; =>  This Inner Loop Header: Depth=2
	s_delay_alu instid0(VALU_DEP_1) | instskip(SKIP_1) | instid1(VALU_DEP_2)
	v_add_co_u32 v0, vcc_lo, v7, v5
	s_wait_alu 0xfffd
	v_add_co_ci_u32_e64 v10, null, v8, v6, vcc_lo
	s_delay_alu instid0(VALU_DEP_1) | instskip(NEXT) | instid1(VALU_DEP_1)
	v_lshrrev_b32_e32 v9, 31, v10
	v_add_co_u32 v9, vcc_lo, v0, v9
	s_wait_alu 0xfffd
	v_add_co_ci_u32_e64 v10, null, 0, v10, vcc_lo
	s_delay_alu instid0(VALU_DEP_1) | instskip(NEXT) | instid1(VALU_DEP_1)
	v_ashrrev_i64 v[9:10], 1, v[9:10]
	v_lshlrev_b64_e32 v[11:12], 3, v[9:10]
	s_delay_alu instid0(VALU_DEP_1) | instskip(SKIP_1) | instid1(VALU_DEP_2)
	v_add_co_u32 v11, vcc_lo, s8, v11
	s_wait_alu 0xfffd
	v_add_co_ci_u32_e64 v12, null, s9, v12, vcc_lo
	global_load_b64 v[11:12], v[11:12], off
	s_wait_loadcnt 0x0
	v_sub_co_u32 v11, vcc_lo, v11, s6
	s_wait_alu 0xfffd
	v_subrev_co_ci_u32_e64 v12, null, 0, v12, vcc_lo
	s_delay_alu instid0(VALU_DEP_1) | instskip(SKIP_3) | instid1(VALU_DEP_2)
	v_cmp_lt_i64_e32 vcc_lo, v[3:4], v[11:12]
	s_wait_alu 0xfffd
	v_dual_cndmask_b32 v8, v8, v10 :: v_dual_cndmask_b32 v7, v7, v9
	v_dual_cndmask_b32 v6, v10, v6 :: v_dual_cndmask_b32 v5, v9, v5
	v_add_co_u32 v9, vcc_lo, v7, -1
	s_wait_alu 0xfffd
	s_delay_alu instid0(VALU_DEP_3) | instskip(NEXT) | instid1(VALU_DEP_3)
	v_add_co_ci_u32_e64 v10, null, -1, v8, vcc_lo
	v_cmp_ge_i64_e32 vcc_lo, v[5:6], v[7:8]
	s_delay_alu instid0(VALU_DEP_2)
	v_cmp_eq_u64_e64 s0, v[5:6], v[9:10]
	s_or_b32 s0, vcc_lo, s0
	s_wait_alu 0xfffe
	s_and_b32 s0, exec_lo, s0
	s_wait_alu 0xfffe
	s_or_b32 s18, s0, s18
	s_wait_alu 0xfffe
	s_and_not1_b32 exec_lo, exec_lo, s18
	s_cbranch_execnz .LBB28_32
; %bb.33:                               ;   in Loop: Header=BB28_30 Depth=1
	s_or_b32 exec_lo, exec_lo, s18
.LBB28_34:                              ;   in Loop: Header=BB28_30 Depth=1
	v_lshlrev_b64_e32 v[9:10], 3, v[7:8]
	v_lshlrev_b64_e32 v[11:12], 2, v[3:4]
	s_mov_b32 s0, exec_lo
	s_delay_alu instid0(VALU_DEP_2) | instskip(SKIP_1) | instid1(VALU_DEP_3)
	v_add_co_u32 v9, vcc_lo, s8, v9
	s_wait_alu 0xfffd
	v_add_co_ci_u32_e64 v10, null, s9, v10, vcc_lo
	s_delay_alu instid0(VALU_DEP_3)
	v_add_co_u32 v11, vcc_lo, s10, v11
	s_wait_alu 0xfffd
	v_add_co_ci_u32_e64 v12, null, s11, v12, vcc_lo
	global_load_b64 v[9:10], v[9:10], off
	global_load_b32 v0, v[11:12], off
	s_wait_loadcnt 0x1
	v_sub_co_u32 v9, vcc_lo, v9, s6
	s_wait_alu 0xfffd
	v_subrev_co_ci_u32_e64 v10, null, 0, v10, vcc_lo
	s_delay_alu instid0(VALU_DEP_1) | instskip(SKIP_2) | instid1(VALU_DEP_1)
	v_cmp_lt_i64_e32 vcc_lo, v[3:4], v[9:10]
	s_wait_loadcnt 0x0
	v_subrev_nc_u32_e32 v9, s6, v0
	v_ashrrev_i32_e32 v10, 31, v9
	s_wait_alu 0xfffd
	v_dual_cndmask_b32 v6, v8, v6 :: v_dual_cndmask_b32 v5, v7, v5
	s_delay_alu instid0(VALU_DEP_1)
	v_cmpx_ne_u64_e64 v[5:6], v[9:10]
	s_cbranch_execz .LBB28_29
; %bb.35:                               ;   in Loop: Header=BB28_30 Depth=1
	v_lshlrev_b64_e32 v[7:8], 3, v[3:4]
	v_lshlrev_b64_e32 v[5:6], 3, v[5:6]
	s_delay_alu instid0(VALU_DEP_2) | instskip(SKIP_1) | instid1(VALU_DEP_3)
	v_add_co_u32 v7, vcc_lo, s12, v7
	s_wait_alu 0xfffd
	v_add_co_ci_u32_e64 v8, null, s13, v8, vcc_lo
	s_delay_alu instid0(VALU_DEP_3)
	v_add_co_u32 v5, vcc_lo, s14, v5
	s_wait_alu 0xfffd
	v_add_co_ci_u32_e64 v6, null, s15, v6, vcc_lo
	global_load_b64 v[7:8], v[7:8], off
	global_load_b64 v[5:6], v[5:6], off
	s_wait_loadcnt 0x1
	v_cndmask_b32_e64 v0, v8, -v8, s30
	s_delay_alu instid0(VALU_DEP_1) | instskip(SKIP_1) | instid1(VALU_DEP_2)
	v_mul_f32_e32 v11, v1, v0
	v_mul_f32_e64 v0, v0, -v2
	v_fmac_f32_e32 v11, v2, v7
	s_delay_alu instid0(VALU_DEP_2) | instskip(SKIP_2) | instid1(VALU_DEP_3)
	v_fmac_f32_e32 v0, v1, v7
	v_lshlrev_b64_e32 v[7:8], 3, v[9:10]
	s_wait_loadcnt 0x0
	v_mul_f32_e64 v9, v6, -v11
	s_delay_alu instid0(VALU_DEP_3) | instskip(NEXT) | instid1(VALU_DEP_3)
	v_mul_f32_e32 v10, v6, v0
	v_add_co_u32 v6, vcc_lo, s20, v7
	s_wait_alu 0xfffd
	v_add_co_ci_u32_e64 v7, null, s21, v8, vcc_lo
	v_fmac_f32_e32 v9, v0, v5
	v_fmac_f32_e32 v10, v11, v5
	s_clause 0x1
	global_atomic_add_f32 v[6:7], v9, off scope:SCOPE_DEV
	global_atomic_add_f32 v[6:7], v10, off offset:4 scope:SCOPE_DEV
	s_branch .LBB28_29
.LBB28_36:
	s_endpgm
	.section	.rodata,"a",@progbits
	.p2align	6, 0x0
	.amdhsa_kernel _ZL33csrmvn_symm_large_adaptive_kernelIli21rocsparse_complex_numIfES1_S1_S1_EvbT_PKS2_N9rocsparse24const_host_device_scalarIT4_EES4_PKT0_PKT1_PKT2_S8_PT3_21rocsparse_index_base_b
		.amdhsa_group_segment_fixed_size 8192
		.amdhsa_private_segment_fixed_size 0
		.amdhsa_kernarg_size 88
		.amdhsa_user_sgpr_count 2
		.amdhsa_user_sgpr_dispatch_ptr 0
		.amdhsa_user_sgpr_queue_ptr 0
		.amdhsa_user_sgpr_kernarg_segment_ptr 1
		.amdhsa_user_sgpr_dispatch_id 0
		.amdhsa_user_sgpr_private_segment_size 0
		.amdhsa_wavefront_size32 1
		.amdhsa_uses_dynamic_stack 0
		.amdhsa_enable_private_segment 0
		.amdhsa_system_sgpr_workgroup_id_x 1
		.amdhsa_system_sgpr_workgroup_id_y 0
		.amdhsa_system_sgpr_workgroup_id_z 0
		.amdhsa_system_sgpr_workgroup_info 0
		.amdhsa_system_vgpr_workitem_id 0
		.amdhsa_next_free_vgpr 19
		.amdhsa_next_free_sgpr 40
		.amdhsa_reserve_vcc 1
		.amdhsa_float_round_mode_32 0
		.amdhsa_float_round_mode_16_64 0
		.amdhsa_float_denorm_mode_32 3
		.amdhsa_float_denorm_mode_16_64 3
		.amdhsa_fp16_overflow 0
		.amdhsa_workgroup_processor_mode 1
		.amdhsa_memory_ordered 1
		.amdhsa_forward_progress 1
		.amdhsa_inst_pref_size 20
		.amdhsa_round_robin_scheduling 0
		.amdhsa_exception_fp_ieee_invalid_op 0
		.amdhsa_exception_fp_denorm_src 0
		.amdhsa_exception_fp_ieee_div_zero 0
		.amdhsa_exception_fp_ieee_overflow 0
		.amdhsa_exception_fp_ieee_underflow 0
		.amdhsa_exception_fp_ieee_inexact 0
		.amdhsa_exception_int_div_zero 0
	.end_amdhsa_kernel
	.section	.text._ZL33csrmvn_symm_large_adaptive_kernelIli21rocsparse_complex_numIfES1_S1_S1_EvbT_PKS2_N9rocsparse24const_host_device_scalarIT4_EES4_PKT0_PKT1_PKT2_S8_PT3_21rocsparse_index_base_b,"axG",@progbits,_ZL33csrmvn_symm_large_adaptive_kernelIli21rocsparse_complex_numIfES1_S1_S1_EvbT_PKS2_N9rocsparse24const_host_device_scalarIT4_EES4_PKT0_PKT1_PKT2_S8_PT3_21rocsparse_index_base_b,comdat
.Lfunc_end28:
	.size	_ZL33csrmvn_symm_large_adaptive_kernelIli21rocsparse_complex_numIfES1_S1_S1_EvbT_PKS2_N9rocsparse24const_host_device_scalarIT4_EES4_PKT0_PKT1_PKT2_S8_PT3_21rocsparse_index_base_b, .Lfunc_end28-_ZL33csrmvn_symm_large_adaptive_kernelIli21rocsparse_complex_numIfES1_S1_S1_EvbT_PKS2_N9rocsparse24const_host_device_scalarIT4_EES4_PKT0_PKT1_PKT2_S8_PT3_21rocsparse_index_base_b
                                        ; -- End function
	.set _ZL33csrmvn_symm_large_adaptive_kernelIli21rocsparse_complex_numIfES1_S1_S1_EvbT_PKS2_N9rocsparse24const_host_device_scalarIT4_EES4_PKT0_PKT1_PKT2_S8_PT3_21rocsparse_index_base_b.num_vgpr, 19
	.set _ZL33csrmvn_symm_large_adaptive_kernelIli21rocsparse_complex_numIfES1_S1_S1_EvbT_PKS2_N9rocsparse24const_host_device_scalarIT4_EES4_PKT0_PKT1_PKT2_S8_PT3_21rocsparse_index_base_b.num_agpr, 0
	.set _ZL33csrmvn_symm_large_adaptive_kernelIli21rocsparse_complex_numIfES1_S1_S1_EvbT_PKS2_N9rocsparse24const_host_device_scalarIT4_EES4_PKT0_PKT1_PKT2_S8_PT3_21rocsparse_index_base_b.numbered_sgpr, 40
	.set _ZL33csrmvn_symm_large_adaptive_kernelIli21rocsparse_complex_numIfES1_S1_S1_EvbT_PKS2_N9rocsparse24const_host_device_scalarIT4_EES4_PKT0_PKT1_PKT2_S8_PT3_21rocsparse_index_base_b.num_named_barrier, 0
	.set _ZL33csrmvn_symm_large_adaptive_kernelIli21rocsparse_complex_numIfES1_S1_S1_EvbT_PKS2_N9rocsparse24const_host_device_scalarIT4_EES4_PKT0_PKT1_PKT2_S8_PT3_21rocsparse_index_base_b.private_seg_size, 0
	.set _ZL33csrmvn_symm_large_adaptive_kernelIli21rocsparse_complex_numIfES1_S1_S1_EvbT_PKS2_N9rocsparse24const_host_device_scalarIT4_EES4_PKT0_PKT1_PKT2_S8_PT3_21rocsparse_index_base_b.uses_vcc, 1
	.set _ZL33csrmvn_symm_large_adaptive_kernelIli21rocsparse_complex_numIfES1_S1_S1_EvbT_PKS2_N9rocsparse24const_host_device_scalarIT4_EES4_PKT0_PKT1_PKT2_S8_PT3_21rocsparse_index_base_b.uses_flat_scratch, 0
	.set _ZL33csrmvn_symm_large_adaptive_kernelIli21rocsparse_complex_numIfES1_S1_S1_EvbT_PKS2_N9rocsparse24const_host_device_scalarIT4_EES4_PKT0_PKT1_PKT2_S8_PT3_21rocsparse_index_base_b.has_dyn_sized_stack, 0
	.set _ZL33csrmvn_symm_large_adaptive_kernelIli21rocsparse_complex_numIfES1_S1_S1_EvbT_PKS2_N9rocsparse24const_host_device_scalarIT4_EES4_PKT0_PKT1_PKT2_S8_PT3_21rocsparse_index_base_b.has_recursion, 0
	.set _ZL33csrmvn_symm_large_adaptive_kernelIli21rocsparse_complex_numIfES1_S1_S1_EvbT_PKS2_N9rocsparse24const_host_device_scalarIT4_EES4_PKT0_PKT1_PKT2_S8_PT3_21rocsparse_index_base_b.has_indirect_call, 0
	.section	.AMDGPU.csdata,"",@progbits
; Kernel info:
; codeLenInByte = 2472
; TotalNumSgprs: 42
; NumVgprs: 19
; ScratchSize: 0
; MemoryBound: 0
; FloatMode: 240
; IeeeMode: 1
; LDSByteSize: 8192 bytes/workgroup (compile time only)
; SGPRBlocks: 0
; VGPRBlocks: 2
; NumSGPRsForWavesPerEU: 42
; NumVGPRsForWavesPerEU: 19
; Occupancy: 16
; WaveLimiterHint : 1
; COMPUTE_PGM_RSRC2:SCRATCH_EN: 0
; COMPUTE_PGM_RSRC2:USER_SGPR: 2
; COMPUTE_PGM_RSRC2:TRAP_HANDLER: 0
; COMPUTE_PGM_RSRC2:TGID_X_EN: 1
; COMPUTE_PGM_RSRC2:TGID_Y_EN: 0
; COMPUTE_PGM_RSRC2:TGID_Z_EN: 0
; COMPUTE_PGM_RSRC2:TIDIG_COMP_CNT: 0
	.section	.text._ZN9rocsparseL22csrmvn_adaptive_kernelIll21rocsparse_complex_numIfES2_S2_S2_EEvbT_PKS3_PjPKT0_NS_24const_host_device_scalarIT4_EES5_S9_PKT1_PKT2_SC_PT3_21rocsparse_index_base_b,"axG",@progbits,_ZN9rocsparseL22csrmvn_adaptive_kernelIll21rocsparse_complex_numIfES2_S2_S2_EEvbT_PKS3_PjPKT0_NS_24const_host_device_scalarIT4_EES5_S9_PKT1_PKT2_SC_PT3_21rocsparse_index_base_b,comdat
	.globl	_ZN9rocsparseL22csrmvn_adaptive_kernelIll21rocsparse_complex_numIfES2_S2_S2_EEvbT_PKS3_PjPKT0_NS_24const_host_device_scalarIT4_EES5_S9_PKT1_PKT2_SC_PT3_21rocsparse_index_base_b ; -- Begin function _ZN9rocsparseL22csrmvn_adaptive_kernelIll21rocsparse_complex_numIfES2_S2_S2_EEvbT_PKS3_PjPKT0_NS_24const_host_device_scalarIT4_EES5_S9_PKT1_PKT2_SC_PT3_21rocsparse_index_base_b
	.p2align	8
	.type	_ZN9rocsparseL22csrmvn_adaptive_kernelIll21rocsparse_complex_numIfES2_S2_S2_EEvbT_PKS3_PjPKT0_NS_24const_host_device_scalarIT4_EES5_S9_PKT1_PKT2_SC_PT3_21rocsparse_index_base_b,@function
_ZN9rocsparseL22csrmvn_adaptive_kernelIll21rocsparse_complex_numIfES2_S2_S2_EEvbT_PKS3_PjPKT0_NS_24const_host_device_scalarIT4_EES5_S9_PKT1_PKT2_SC_PT3_21rocsparse_index_base_b: ; @_ZN9rocsparseL22csrmvn_adaptive_kernelIll21rocsparse_complex_numIfES2_S2_S2_EEvbT_PKS3_PjPKT0_NS_24const_host_device_scalarIT4_EES5_S9_PKT1_PKT2_SC_PT3_21rocsparse_index_base_b
; %bb.0:
	s_clause 0x2
	s_load_b64 s[34:35], s[0:1], 0x60
	s_load_b64 s[2:3], s[0:1], 0x28
	;; [unrolled: 1-line block ×3, first 2 shown]
	s_add_nc_u64 s[6:7], s[0:1], 40
	s_wait_kmcnt 0x0
	s_bitcmp1_b32 s35, 0
	s_cselect_b32 s2, s6, s2
	s_cselect_b32 s3, s7, s3
	s_delay_alu instid0(SALU_CYCLE_1)
	v_dual_mov_b32 v1, s2 :: v_dual_mov_b32 v2, s3
	s_add_nc_u64 s[2:3], s[0:1], 0x50
	s_wait_alu 0xfffe
	s_cselect_b32 s2, s2, s4
	s_cselect_b32 s3, s3, s5
	flat_load_b64 v[1:2], v[1:2]
	s_wait_alu 0xfffe
	v_dual_mov_b32 v3, s2 :: v_dual_mov_b32 v4, s3
	flat_load_b64 v[5:6], v[3:4]
	s_wait_loadcnt_dscnt 0x101
	v_cmp_eq_f32_e32 vcc_lo, 0, v1
	v_cmp_eq_f32_e64 s2, 0, v2
	s_and_b32 s4, vcc_lo, s2
	s_mov_b32 s2, -1
	s_and_saveexec_b32 s3, s4
	s_cbranch_execz .LBB29_2
; %bb.1:
	s_wait_loadcnt_dscnt 0x0
	v_cmp_neq_f32_e32 vcc_lo, 1.0, v5
	v_cmp_neq_f32_e64 s2, 0, v6
	s_wait_alu 0xfffe
	s_or_b32 s2, vcc_lo, s2
	s_wait_alu 0xfffe
	s_or_not1_b32 s2, s2, exec_lo
.LBB29_2:
	s_wait_alu 0xfffe
	s_or_b32 exec_lo, exec_lo, s3
	s_and_saveexec_b32 s3, s2
	s_cbranch_execz .LBB29_114
; %bb.3:
	s_clause 0x2
	s_load_b64 s[2:3], s[0:1], 0x20
	s_load_b32 s6, s[0:1], 0x0
	s_load_b64 s[4:5], s[0:1], 0x10
	s_mov_b32 s38, ttmp9
	s_wait_kmcnt 0x0
	s_bitcmp1_b32 s6, 0
	s_cselect_b32 s33, -1, 0
	s_ashr_i32 s39, ttmp9, 31
	s_delay_alu instid0(SALU_CYCLE_1) | instskip(NEXT) | instid1(SALU_CYCLE_1)
	s_lshl_b64 s[6:7], s[38:39], 3
	s_add_nc_u64 s[4:5], s[4:5], s[6:7]
	s_load_b128 s[20:23], s[4:5], 0x0
	s_clause 0x1
	s_load_b256 s[12:19], s[0:1], 0x30
	s_load_b64 s[24:25], s[0:1], 0x58
	s_add_nc_u64 s[2:3], s[2:3], s[6:7]
	s_wait_kmcnt 0x0
	s_lshl_b64 s[36:37], s[20:21], 3
	s_delay_alu instid0(SALU_CYCLE_1)
	s_add_nc_u64 s[30:31], s[12:13], s[36:37]
	s_load_b64 s[26:27], s[2:3], 0x0
	s_load_b64 s[28:29], s[30:31], 0x0
	s_sub_nc_u64 s[2:3], s[22:23], s[20:21]
	s_wait_alu 0xfffe
	v_cmp_lt_i64_e64 s4, s[2:3], 2
	s_and_b32 vcc_lo, exec_lo, s4
	s_mov_b32 s4, -1
	s_cbranch_vccz .LBB29_70
; %bb.4:
	s_cmp_lg_u64 s[2:3], 1
	v_cmp_gt_u32_e64 s2, 0x80, v0
	s_cselect_b32 s4, -1, 0
	s_wait_kmcnt 0x0
	s_cmp_lg_u64 s[26:27], 0
	v_cmp_gt_u32_e64 s3, 64, v0
	s_cselect_b32 s5, -1, 0
	v_cmp_gt_u32_e64 s6, 8, v0
	s_or_b32 s5, s4, s5
	v_cmp_gt_u32_e64 s4, 32, v0
	s_and_b32 vcc_lo, exec_lo, s5
	v_cmp_gt_u32_e64 s5, 16, v0
	v_cmp_gt_u32_e64 s7, 4, v0
	;; [unrolled: 1-line block ×3, first 2 shown]
	v_cmp_eq_u32_e64 s9, 0, v0
	s_mov_b32 s10, -1
	s_cbranch_vccnz .LBB29_32
; %bb.5:
	s_wait_loadcnt_dscnt 0x0
	v_cmp_neq_f32_e32 vcc_lo, 0, v5
	v_cmp_neq_f32_e64 s10, 0, v6
	v_sub_co_u32 v14, s11, v0, s34
	v_dual_mov_b32 v13, 0 :: v_dual_lshlrev_b32 v16, 3, v0
	v_sub_co_ci_u32_e64 v15, null, 0, 0, s11
	s_mov_b32 s35, 0
	s_or_b32 s48, vcc_lo, s10
	s_add_nc_u64 s[40:41], s[16:17], 4
	s_mov_b64 s[42:43], s[20:21]
	s_branch .LBB29_8
.LBB29_6:                               ;   in Loop: Header=BB29_8 Depth=1
	s_or_b32 exec_lo, exec_lo, s44
	s_wait_dscnt 0x0
	global_store_b64 v13, v[3:4], s[10:11]
.LBB29_7:                               ;   in Loop: Header=BB29_8 Depth=1
	s_wait_alu 0xfffe
	s_or_b32 exec_lo, exec_lo, s46
	s_add_nc_u64 s[42:43], s[42:43], 1
	s_wait_alu 0xfffe
	v_cmp_ge_i64_e64 s10, s[42:43], s[22:23]
	s_and_b32 vcc_lo, exec_lo, s10
	s_wait_alu 0xfffe
	s_cbranch_vccnz .LBB29_31
.LBB29_8:                               ; =>This Loop Header: Depth=1
                                        ;     Child Loop BB29_10 Depth 2
	s_lshl_b64 s[44:45], s[42:43], 3
	v_dual_mov_b32 v8, 0 :: v_dual_mov_b32 v7, 0
	s_add_nc_u64 s[10:11], s[12:13], s[44:45]
	s_load_b128 s[52:55], s[10:11], 0x0
	s_mov_b32 s11, exec_lo
	s_wait_kmcnt 0x0
	v_add_co_u32 v3, vcc_lo, s52, v14
	s_wait_alu 0xfffd
	v_add_co_ci_u32_e64 v4, null, s53, v15, vcc_lo
	s_sub_nc_u64 s[46:47], s[54:55], s[34:35]
	s_wait_alu 0xfffe
	v_cmpx_gt_i64_e64 s[46:47], v[3:4]
	s_cbranch_execz .LBB29_12
; %bb.9:                                ;   in Loop: Header=BB29_8 Depth=1
	v_lshlrev_b64_e32 v[11:12], 3, v[3:4]
	v_mov_b32_e32 v8, 0
	s_mov_b32 s49, 0
	s_delay_alu instid0(VALU_DEP_1) | instskip(NEXT) | instid1(VALU_DEP_3)
	v_mov_b32_e32 v7, v8
	v_add_co_u32 v9, vcc_lo, s40, v11
	s_wait_alu 0xfffd
	v_add_co_ci_u32_e64 v10, null, s41, v12, vcc_lo
	v_add_co_u32 v11, vcc_lo, s14, v11
	s_wait_alu 0xfffd
	v_add_co_ci_u32_e64 v12, null, s15, v12, vcc_lo
.LBB29_10:                              ;   Parent Loop BB29_8 Depth=1
                                        ; =>  This Inner Loop Header: Depth=2
	global_load_b64 v[17:18], v[11:12], off
	global_load_b64 v[19:20], v[9:10], off offset:-4
	s_wait_loadcnt 0x1
	v_sub_co_u32 v17, vcc_lo, v17, s34
	s_wait_alu 0xfffd
	v_subrev_co_ci_u32_e64 v18, null, 0, v18, vcc_lo
	s_wait_loadcnt 0x0
	v_cndmask_b32_e64 v20, v20, -v20, s33
	s_delay_alu instid0(VALU_DEP_2) | instskip(NEXT) | instid1(VALU_DEP_2)
	v_lshlrev_b64_e32 v[17:18], 3, v[17:18]
	v_mul_f32_e64 v21, v20, -v2
	v_mul_f32_e32 v20, v1, v20
	s_delay_alu instid0(VALU_DEP_3) | instskip(SKIP_1) | instid1(VALU_DEP_4)
	v_add_co_u32 v17, vcc_lo, s18, v17
	s_wait_alu 0xfffd
	v_add_co_ci_u32_e64 v18, null, s19, v18, vcc_lo
	v_add_co_u32 v3, vcc_lo, 0x100, v3
	s_wait_alu 0xfffd
	v_add_co_ci_u32_e64 v4, null, 0, v4, vcc_lo
	global_load_b64 v[17:18], v[17:18], off
	v_fmac_f32_e32 v20, v2, v19
	v_fmac_f32_e32 v21, v1, v19
	v_add_co_u32 v9, vcc_lo, 0x800, v9
	v_cmp_le_i64_e64 s10, s[46:47], v[3:4]
	s_wait_alu 0xfffd
	v_add_co_ci_u32_e64 v10, null, 0, v10, vcc_lo
	v_add_co_u32 v11, vcc_lo, 0x800, v11
	s_wait_alu 0xfffd
	v_add_co_ci_u32_e64 v12, null, 0, v12, vcc_lo
	s_or_b32 s49, s10, s49
	s_wait_loadcnt 0x0
	v_fmac_f32_e32 v8, v20, v17
	v_fmac_f32_e32 v7, v21, v17
	s_delay_alu instid0(VALU_DEP_2) | instskip(NEXT) | instid1(VALU_DEP_2)
	v_fmac_f32_e32 v8, v21, v18
	v_fma_f32 v7, -v20, v18, v7
	s_and_not1_b32 exec_lo, exec_lo, s49
	s_cbranch_execnz .LBB29_10
; %bb.11:                               ;   in Loop: Header=BB29_8 Depth=1
	s_or_b32 exec_lo, exec_lo, s49
.LBB29_12:                              ;   in Loop: Header=BB29_8 Depth=1
	s_wait_alu 0xfffe
	s_or_b32 exec_lo, exec_lo, s11
	ds_store_b64 v16, v[7:8]
	s_wait_dscnt 0x0
	s_barrier_signal -1
	s_barrier_wait -1
	global_inv scope:SCOPE_SE
	s_and_saveexec_b32 s10, s2
	s_cbranch_execz .LBB29_14
; %bb.13:                               ;   in Loop: Header=BB29_8 Depth=1
	ds_load_2addr_stride64_b64 v[7:10], v16 offset1:2
	s_wait_dscnt 0x0
	v_dual_add_f32 v3, v9, v7 :: v_dual_add_f32 v4, v10, v8
	ds_store_b64 v16, v[3:4]
.LBB29_14:                              ;   in Loop: Header=BB29_8 Depth=1
	s_wait_alu 0xfffe
	s_or_b32 exec_lo, exec_lo, s10
	s_wait_loadcnt_dscnt 0x0
	s_barrier_signal -1
	s_barrier_wait -1
	global_inv scope:SCOPE_SE
	s_and_saveexec_b32 s10, s3
	s_cbranch_execz .LBB29_16
; %bb.15:                               ;   in Loop: Header=BB29_8 Depth=1
	ds_load_2addr_stride64_b64 v[7:10], v16 offset1:1
	s_wait_dscnt 0x0
	v_dual_add_f32 v3, v9, v7 :: v_dual_add_f32 v4, v10, v8
	ds_store_b64 v16, v[3:4]
.LBB29_16:                              ;   in Loop: Header=BB29_8 Depth=1
	s_wait_alu 0xfffe
	s_or_b32 exec_lo, exec_lo, s10
	s_wait_loadcnt_dscnt 0x0
	s_barrier_signal -1
	s_barrier_wait -1
	global_inv scope:SCOPE_SE
	s_and_saveexec_b32 s10, s4
	s_cbranch_execz .LBB29_18
; %bb.17:                               ;   in Loop: Header=BB29_8 Depth=1
	ds_load_2addr_b64 v[7:10], v16 offset1:32
	s_wait_dscnt 0x0
	v_dual_add_f32 v3, v9, v7 :: v_dual_add_f32 v4, v10, v8
	ds_store_b64 v16, v[3:4]
.LBB29_18:                              ;   in Loop: Header=BB29_8 Depth=1
	s_wait_alu 0xfffe
	s_or_b32 exec_lo, exec_lo, s10
	s_wait_loadcnt_dscnt 0x0
	s_barrier_signal -1
	s_barrier_wait -1
	global_inv scope:SCOPE_SE
	s_and_saveexec_b32 s10, s5
	s_cbranch_execz .LBB29_20
; %bb.19:                               ;   in Loop: Header=BB29_8 Depth=1
	ds_load_2addr_b64 v[7:10], v16 offset1:16
	s_wait_dscnt 0x0
	v_dual_add_f32 v3, v9, v7 :: v_dual_add_f32 v4, v10, v8
	ds_store_b64 v16, v[3:4]
.LBB29_20:                              ;   in Loop: Header=BB29_8 Depth=1
	;; [unrolled: 14-line block ×6, first 2 shown]
	s_wait_alu 0xfffe
	s_or_b32 exec_lo, exec_lo, s10
	s_wait_loadcnt_dscnt 0x0
	s_barrier_signal -1
	s_barrier_wait -1
	global_inv scope:SCOPE_SE
	s_and_saveexec_b32 s46, s9
	s_cbranch_execz .LBB29_7
; %bb.29:                               ;   in Loop: Header=BB29_8 Depth=1
	ds_load_b64 v[3:4], v13
	s_add_nc_u64 s[10:11], s[24:25], s[44:45]
	s_and_saveexec_b32 s44, s48
	s_cbranch_execz .LBB29_6
; %bb.30:                               ;   in Loop: Header=BB29_8 Depth=1
	global_load_b64 v[7:8], v13, s[10:11]
	s_wait_loadcnt_dscnt 0x0
	v_fma_f32 v3, v5, v7, v3
	v_fmac_f32_e32 v4, v6, v7
	s_delay_alu instid0(VALU_DEP_2) | instskip(NEXT) | instid1(VALU_DEP_2)
	v_fma_f32 v3, -v6, v8, v3
	v_fmac_f32_e32 v4, v5, v8
	s_branch .LBB29_6
.LBB29_31:
	s_mov_b32 s10, 0
.LBB29_32:
	s_wait_alu 0xfffe
	s_and_b32 vcc_lo, exec_lo, s10
	s_wait_alu 0xfffe
	s_cbranch_vccz .LBB29_69
; %bb.33:
	s_load_b64 s[6:7], s[0:1], 0x18
	v_dual_mov_b32 v3, 0 :: v_dual_mov_b32 v4, 0
	s_lshl_b64 s[2:3], s[38:39], 2
	s_cmp_lg_u64 s[26:27], 0
	v_cmp_eq_u32_e32 vcc_lo, 0, v0
	s_cselect_b32 s40, -1, 0
	s_cmp_eq_u64 s[26:27], 0
	s_sub_nc_u64 s[8:9], s[38:39], s[26:27]
	s_mov_b32 s35, 0
	s_wait_kmcnt 0x0
	s_wait_alu 0xfffe
	s_add_nc_u64 s[4:5], s[6:7], s[2:3]
	s_cselect_b32 s2, -1, 0
	global_load_b32 v13, v3, s[4:5]
	s_wait_alu 0xfffe
	s_and_b32 s2, vcc_lo, s2
	s_wait_alu 0xfffe
	s_and_saveexec_b32 s3, s2
	s_cbranch_execz .LBB29_37
; %bb.34:
	s_wait_loadcnt_dscnt 0x100
	v_dual_mov_b32 v10, 0 :: v_dual_add_f32 v9, -1.0, v5
	s_add_nc_u64 s[38:39], s[24:25], s[36:37]
	s_mov_b32 s10, exec_lo
	s_mov_b32 s11, exec_lo
	global_load_b64 v[7:8], v10, s[38:39]
	s_wait_alu 0xfffe
	v_mbcnt_lo_u32_b32 v11, s10, 0
	s_wait_loadcnt 0x0
	s_wait_storecnt 0x0
	global_inv scope:SCOPE_DEV
	v_mul_f32_e64 v3, v8, -v6
	v_mul_f32_e32 v4, v9, v8
	v_cmpx_eq_u32_e32 0, v11
	s_cbranch_execz .LBB29_36
; %bb.35:
	s_bcnt1_i32_b32 s2, s10
	s_lshl_b64 s[38:39], s[8:9], 2
	s_wait_alu 0xfffe
	s_and_b32 s2, s2, 1
	s_add_nc_u64 s[38:39], s[6:7], s[38:39]
	s_wait_alu 0xfffe
	v_mov_b32_e32 v8, s2
	global_atomic_xor_b32 v10, v8, s[38:39] scope:SCOPE_DEV
.LBB29_36:
	s_or_b32 exec_lo, exec_lo, s11
	v_fmac_f32_e32 v3, v9, v7
	v_fmac_f32_e32 v4, v6, v7
.LBB29_37:
	s_wait_alu 0xfffe
	s_or_b32 exec_lo, exec_lo, s3
	s_load_b64 s[2:3], s[30:31], 0x8
	s_mul_u64 s[10:11], s[26:27], 0xc00
	s_sub_nc_u64 s[38:39], s[28:29], s[34:35]
	s_wait_alu 0xfffe
	s_add_nc_u64 s[38:39], s[38:39], s[10:11]
	s_delay_alu instid0(SALU_CYCLE_1)
	v_add_co_u32 v7, s10, s38, v0
	s_wait_alu 0xf1ff
	v_add_co_ci_u32_e64 v8, null, s39, 0, s10
	s_wait_kmcnt 0x0
	s_sub_nc_u64 s[10:11], s[2:3], s[34:35]
	s_mov_b32 s35, exec_lo
	s_wait_alu 0xfffe
	v_cmpx_gt_i64_e64 s[10:11], v[7:8]
	s_cbranch_execz .LBB29_41
; %bb.38:
	v_lshlrev_b64_e32 v[11:12], 3, v[7:8]
	s_add_nc_u64 s[38:39], s[38:39], 0xc00
	s_wait_alu 0xfffe
	v_cmp_lt_i64_e64 s3, s[38:39], s[10:11]
	s_delay_alu instid0(VALU_DEP_2)
	v_add_co_u32 v9, s2, s16, v11
	s_wait_alu 0xf1ff
	v_add_co_ci_u32_e64 v10, null, s17, v12, s2
	s_and_b32 s2, s3, exec_lo
	v_add_co_u32 v9, s2, v9, 4
	s_wait_alu 0xf1fe
	v_add_co_ci_u32_e64 v10, null, 0, v10, s2
	v_add_co_u32 v11, s2, s14, v11
	s_wait_alu 0xf1ff
	v_add_co_ci_u32_e64 v12, null, s15, v12, s2
	s_cselect_b32 s11, s39, s11
	s_cselect_b32 s10, s38, s10
	s_mov_b32 s38, 0
.LBB29_39:                              ; =>This Inner Loop Header: Depth=1
	global_load_b64 v[14:15], v[11:12], off
	global_load_b64 v[16:17], v[9:10], off offset:-4
	s_wait_loadcnt 0x1
	v_sub_co_u32 v14, s2, v14, s34
	s_wait_alu 0xf1ff
	v_subrev_co_ci_u32_e64 v15, null, 0, v15, s2
	s_wait_loadcnt 0x0
	v_cndmask_b32_e64 v17, v17, -v17, s33
	s_delay_alu instid0(VALU_DEP_2) | instskip(NEXT) | instid1(VALU_DEP_2)
	v_lshlrev_b64_e32 v[14:15], 3, v[14:15]
	v_mul_f32_e64 v18, v17, -v2
	s_delay_alu instid0(VALU_DEP_2) | instskip(SKIP_1) | instid1(VALU_DEP_3)
	v_add_co_u32 v14, s2, s18, v14
	s_wait_alu 0xf1ff
	v_add_co_ci_u32_e64 v15, null, s19, v15, s2
	s_delay_alu instid0(VALU_DEP_3)
	v_fmac_f32_e32 v18, v1, v16
	v_add_co_u32 v7, s2, 0x100, v7
	global_load_b64 v[14:15], v[14:15], off
	v_mul_f32_e32 v17, v1, v17
	s_wait_alu 0xf1ff
	v_add_co_ci_u32_e64 v8, null, 0, v8, s2
	v_add_co_u32 v9, s2, 0x800, v9
	s_delay_alu instid0(VALU_DEP_3) | instskip(SKIP_1) | instid1(VALU_DEP_3)
	v_fmac_f32_e32 v17, v2, v16
	s_wait_alu 0xfffe
	v_cmp_le_i64_e64 s3, s[10:11], v[7:8]
	s_wait_alu 0xf1ff
	v_add_co_ci_u32_e64 v10, null, 0, v10, s2
	v_add_co_u32 v11, s2, 0x800, v11
	s_wait_alu 0xf1ff
	v_add_co_ci_u32_e64 v12, null, 0, v12, s2
	s_or_b32 s38, s3, s38
	s_wait_loadcnt 0x0
	v_fmac_f32_e32 v3, v18, v14
	v_fmac_f32_e32 v4, v17, v14
	s_delay_alu instid0(VALU_DEP_2) | instskip(NEXT) | instid1(VALU_DEP_2)
	v_fma_f32 v3, -v17, v15, v3
	v_fmac_f32_e32 v4, v18, v15
	s_wait_alu 0xfffe
	s_and_not1_b32 exec_lo, exec_lo, s38
	s_cbranch_execnz .LBB29_39
; %bb.40:
	s_or_b32 exec_lo, exec_lo, s38
.LBB29_41:
	s_delay_alu instid0(SALU_CYCLE_1)
	s_or_b32 exec_lo, exec_lo, s35
	v_lshlrev_b32_e32 v7, 3, v0
	s_mov_b32 s3, exec_lo
	ds_store_b64 v7, v[3:4]
	s_wait_storecnt 0x0
	s_wait_loadcnt_dscnt 0x0
	s_barrier_signal -1
	s_barrier_wait -1
	global_inv scope:SCOPE_SE
	v_cmpx_gt_u32_e32 0x80, v0
	s_cbranch_execz .LBB29_43
; %bb.42:
	ds_load_2addr_stride64_b64 v[8:11], v7 offset1:2
	s_wait_dscnt 0x0
	v_dual_add_f32 v3, v10, v8 :: v_dual_add_f32 v4, v11, v9
	ds_store_b64 v7, v[3:4]
.LBB29_43:
	s_wait_alu 0xfffe
	s_or_b32 exec_lo, exec_lo, s3
	s_delay_alu instid0(SALU_CYCLE_1)
	s_mov_b32 s3, exec_lo
	s_wait_loadcnt_dscnt 0x0
	s_barrier_signal -1
	s_barrier_wait -1
	global_inv scope:SCOPE_SE
	v_cmpx_gt_u32_e32 64, v0
	s_cbranch_execz .LBB29_45
; %bb.44:
	ds_load_2addr_stride64_b64 v[8:11], v7 offset1:1
	s_wait_dscnt 0x0
	v_dual_add_f32 v3, v10, v8 :: v_dual_add_f32 v4, v11, v9
	ds_store_b64 v7, v[3:4]
.LBB29_45:
	s_wait_alu 0xfffe
	s_or_b32 exec_lo, exec_lo, s3
	s_delay_alu instid0(SALU_CYCLE_1)
	s_mov_b32 s3, exec_lo
	s_wait_loadcnt_dscnt 0x0
	s_barrier_signal -1
	s_barrier_wait -1
	global_inv scope:SCOPE_SE
	v_cmpx_gt_u32_e32 32, v0
	s_cbranch_execz .LBB29_47
; %bb.46:
	ds_load_2addr_b64 v[8:11], v7 offset1:32
	s_wait_dscnt 0x0
	v_dual_add_f32 v3, v10, v8 :: v_dual_add_f32 v4, v11, v9
	ds_store_b64 v7, v[3:4]
.LBB29_47:
	s_wait_alu 0xfffe
	s_or_b32 exec_lo, exec_lo, s3
	s_delay_alu instid0(SALU_CYCLE_1)
	s_mov_b32 s3, exec_lo
	s_wait_loadcnt_dscnt 0x0
	s_barrier_signal -1
	s_barrier_wait -1
	global_inv scope:SCOPE_SE
	v_cmpx_gt_u32_e32 16, v0
	s_cbranch_execz .LBB29_49
; %bb.48:
	ds_load_2addr_b64 v[8:11], v7 offset1:16
	s_wait_dscnt 0x0
	v_dual_add_f32 v3, v10, v8 :: v_dual_add_f32 v4, v11, v9
	ds_store_b64 v7, v[3:4]
.LBB29_49:
	;; [unrolled: 16-line block ×5, first 2 shown]
	s_wait_alu 0xfffe
	s_or_b32 exec_lo, exec_lo, s3
	s_wait_loadcnt_dscnt 0x0
	s_barrier_signal -1
	s_barrier_wait -1
	global_inv scope:SCOPE_SE
	s_and_saveexec_b32 s2, vcc_lo
	s_cbranch_execz .LBB29_57
; %bb.56:
	v_mov_b32_e32 v11, 0
	ds_load_2addr_b64 v[7:10], v11 offset1:1
	s_wait_dscnt 0x0
	v_dual_add_f32 v3, v9, v7 :: v_dual_add_f32 v4, v10, v8
	ds_store_b64 v11, v[3:4]
.LBB29_57:
	s_wait_alu 0xfffe
	s_or_b32 exec_lo, exec_lo, s2
	s_wait_loadcnt_dscnt 0x0
	s_barrier_signal -1
	s_barrier_wait -1
	global_inv scope:SCOPE_SE
	s_and_saveexec_b32 s10, vcc_lo
	s_cbranch_execz .LBB29_68
; %bb.58:
	s_and_not1_b32 vcc_lo, exec_lo, s40
	s_wait_alu 0xfffe
	s_cbranch_vccnz .LBB29_64
; %bb.59:
	v_mov_b32_e32 v3, 0
	s_lshl_b64 s[2:3], s[8:9], 2
	s_wait_alu 0xfffe
	s_add_nc_u64 s[2:3], s[6:7], s[2:3]
	s_branch .LBB29_61
.LBB29_60:                              ;   in Loop: Header=BB29_61 Depth=1
	s_wait_alu 0xfffe
	s_or_b32 exec_lo, exec_lo, s6
	s_wait_loadcnt 0x0
	v_readfirstlane_b32 s6, v4
	s_wait_alu 0xf1ff
	s_delay_alu instid0(VALU_DEP_1)
	v_cmp_eq_u32_e32 vcc_lo, s6, v13
	s_cbranch_vccz .LBB29_63
.LBB29_61:                              ; =>This Inner Loop Header: Depth=1
	v_mbcnt_lo_u32_b32 v4, exec_lo, 0
	s_delay_alu instid0(VALU_DEP_1)
	v_cmp_eq_u32_e32 vcc_lo, 0, v4
                                        ; implicit-def: $vgpr4
	s_and_saveexec_b32 s6, vcc_lo
	s_cbranch_execz .LBB29_60
; %bb.62:                               ;   in Loop: Header=BB29_61 Depth=1
	global_load_b32 v4, v3, s[2:3] scope:SCOPE_DEV
	s_branch .LBB29_60
.LBB29_63:
	v_mov_b32_e32 v3, 0
	global_load_u16 v4, v3, s[4:5]
	s_wait_loadcnt 0x0
	v_xor_b32_e32 v4, 1, v4
	global_store_b16 v3, v4, s[4:5]
.LBB29_64:
	v_mov_b32_e32 v7, 0
	s_mov_b32 s4, exec_lo
	s_add_nc_u64 s[2:3], s[24:25], s[36:37]
	v_mbcnt_lo_u32_b32 v8, s4, 0
	s_mov_b32 s5, exec_lo
	ds_load_b64 v[3:4], v7
	v_cmpx_eq_u32_e32 0, v8
	s_cbranch_execz .LBB29_66
; %bb.65:
	s_bcnt1_i32_b32 s4, s4
	s_wait_alu 0xfffe
	v_cvt_f32_ubyte0_e32 v8, s4
	s_wait_dscnt 0x0
	s_delay_alu instid0(VALU_DEP_1)
	v_mul_f32_e32 v3, v3, v8
	global_atomic_add_f32 v7, v3, s[2:3] scope:SCOPE_DEV
.LBB29_66:
	s_wait_alu 0xfffe
	s_or_b32 exec_lo, exec_lo, s5
	s_delay_alu instid0(SALU_CYCLE_1) | instskip(SKIP_3) | instid1(VALU_DEP_1)
	s_mov_b32 s4, exec_lo
	s_wait_dscnt 0x0
	s_wait_alu 0xfffe
	v_mbcnt_lo_u32_b32 v3, s4, 0
	v_cmp_eq_u32_e32 vcc_lo, 0, v3
	s_and_b32 s5, exec_lo, vcc_lo
	s_wait_alu 0xfffe
	s_mov_b32 exec_lo, s5
	s_cbranch_execz .LBB29_68
; %bb.67:
	s_bcnt1_i32_b32 s4, s4
	s_wait_alu 0xfffe
	v_cvt_f32_ubyte0_e32 v3, s4
	s_delay_alu instid0(VALU_DEP_1)
	v_dual_mul_f32 v3, v4, v3 :: v_dual_mov_b32 v4, 0
	global_atomic_add_f32 v4, v3, s[2:3] offset:4 scope:SCOPE_DEV
.LBB29_68:
	s_wait_alu 0xfffe
	s_or_b32 exec_lo, exec_lo, s10
.LBB29_69:
	s_mov_b32 s4, 0
.LBB29_70:
	s_wait_alu 0xfffe
	s_and_not1_b32 vcc_lo, exec_lo, s4
	s_wait_alu 0xfffe
	s_cbranch_vccnz .LBB29_114
; %bb.71:
	s_load_b64 s[0:1], s[0:1], 0x8
	v_sub_co_u32 v3, s2, v0, s34
	s_wait_alu 0xf1ff
	v_sub_co_ci_u32_e64 v4, null, 0, 0, s2
	v_lshlrev_b32_e32 v15, 3, v0
	s_wait_kmcnt 0x0
	v_add_co_u32 v3, vcc_lo, s28, v3
	s_wait_alu 0xfffd
	v_add_co_ci_u32_e64 v4, null, s29, v4, vcc_lo
	s_mov_b32 s35, 0
	v_add_co_u32 v7, vcc_lo, 0x300, v3
	s_wait_alu 0xfffd
	v_add_co_ci_u32_e64 v8, null, 0, v4, vcc_lo
	s_delay_alu instid0(VALU_DEP_1)
	v_cmp_le_i64_e32 vcc_lo, s[0:1], v[7:8]
	s_and_saveexec_b32 s0, vcc_lo
	s_wait_alu 0xfffe
	s_xor_b32 s1, exec_lo, s0
	s_cbranch_execz .LBB29_76
; %bb.72:
	s_lshl_b64 s[2:3], s[22:23], 3
	s_mov_b32 s4, exec_lo
	s_wait_alu 0xfffe
	s_add_nc_u64 s[2:3], s[12:13], s[2:3]
	s_load_b64 s[2:3], s[2:3], 0x0
	s_wait_kmcnt 0x0
	s_sub_nc_u64 s[2:3], s[2:3], s[34:35]
	s_wait_alu 0xfffe
	v_cmpx_gt_i64_e64 s[2:3], v[3:4]
	s_cbranch_execz .LBB29_75
; %bb.73:
	v_lshlrev_b64_e32 v[7:8], 3, v[3:4]
	v_mov_b32_e32 v11, v15
	s_mov_b32 s5, 0
	s_delay_alu instid0(VALU_DEP_2) | instskip(SKIP_1) | instid1(VALU_DEP_3)
	v_add_co_u32 v9, vcc_lo, s16, v7
	s_wait_alu 0xfffd
	v_add_co_ci_u32_e64 v10, null, s17, v8, vcc_lo
	v_add_co_u32 v7, vcc_lo, s14, v7
	s_wait_alu 0xfffd
	v_add_co_ci_u32_e64 v8, null, s15, v8, vcc_lo
	;; [unrolled: 3-line block ×3, first 2 shown]
.LBB29_74:                              ; =>This Inner Loop Header: Depth=1
	global_load_b64 v[12:13], v[7:8], off
	global_load_b64 v[16:17], v[9:10], off offset:-4
	s_wait_loadcnt 0x1
	v_sub_co_u32 v12, vcc_lo, v12, s34
	s_wait_alu 0xfffd
	v_subrev_co_ci_u32_e64 v13, null, 0, v13, vcc_lo
	s_wait_loadcnt 0x0
	v_cndmask_b32_e64 v14, v17, -v17, s33
	s_delay_alu instid0(VALU_DEP_2) | instskip(NEXT) | instid1(VALU_DEP_2)
	v_lshlrev_b64_e32 v[12:13], 3, v[12:13]
	v_mul_f32_e32 v18, v1, v14
	v_mul_f32_e64 v14, v14, -v2
	s_delay_alu instid0(VALU_DEP_3) | instskip(SKIP_1) | instid1(VALU_DEP_4)
	v_add_co_u32 v12, vcc_lo, s18, v12
	s_wait_alu 0xfffd
	v_add_co_ci_u32_e64 v13, null, s19, v13, vcc_lo
	s_delay_alu instid0(VALU_DEP_3)
	v_fmac_f32_e32 v14, v1, v16
	v_add_co_u32 v3, vcc_lo, 0x100, v3
	global_load_b64 v[12:13], v[12:13], off
	v_fmac_f32_e32 v18, v2, v16
	s_wait_alu 0xfffd
	v_add_co_ci_u32_e64 v4, null, 0, v4, vcc_lo
	v_add_co_u32 v7, vcc_lo, 0x800, v7
	s_wait_alu 0xfffd
	v_add_co_ci_u32_e64 v8, null, 0, v8, vcc_lo
	s_delay_alu instid0(VALU_DEP_3) | instskip(SKIP_4) | instid1(VALU_DEP_3)
	v_cmp_le_i64_e64 s0, s[2:3], v[3:4]
	v_add_co_u32 v9, vcc_lo, 0x800, v9
	s_wait_alu 0xfffd
	v_add_co_ci_u32_e64 v10, null, 0, v10, vcc_lo
	s_wait_alu 0xfffe
	s_or_b32 s5, s0, s5
	s_wait_loadcnt 0x0
	v_mul_f32_e32 v17, v13, v14
	v_mul_f32_e64 v16, v13, -v18
	s_delay_alu instid0(VALU_DEP_2) | instskip(NEXT) | instid1(VALU_DEP_2)
	v_fmac_f32_e32 v17, v18, v12
	v_fmac_f32_e32 v16, v14, v12
	ds_store_b64 v11, v[16:17]
	v_add_nc_u32_e32 v11, 0x800, v11
	s_wait_alu 0xfffe
	s_and_not1_b32 exec_lo, exec_lo, s5
	s_cbranch_execnz .LBB29_74
.LBB29_75:
	s_or_b32 exec_lo, exec_lo, s4
                                        ; implicit-def: $vgpr3_vgpr4
                                        ; implicit-def: $vgpr1_vgpr2
.LBB29_76:
	s_wait_alu 0xfffe
	s_and_not1_saveexec_b32 s0, s1
	s_cbranch_execz .LBB29_78
; %bb.77:
	v_lshlrev_b64_e32 v[3:4], 3, v[3:4]
	s_delay_alu instid0(VALU_DEP_1) | instskip(SKIP_1) | instid1(VALU_DEP_2)
	v_add_co_u32 v7, vcc_lo, s14, v3
	s_wait_alu 0xfffd
	v_add_co_ci_u32_e64 v8, null, s15, v4, vcc_lo
	v_add_co_u32 v3, vcc_lo, s16, v3
	s_wait_alu 0xfffd
	v_add_co_ci_u32_e64 v4, null, s17, v4, vcc_lo
	s_clause 0x3
	global_load_b64 v[9:10], v[7:8], off
	global_load_b64 v[11:12], v[7:8], off offset:2048
	global_load_b64 v[13:14], v[7:8], off offset:4096
	;; [unrolled: 1-line block ×3, first 2 shown]
	s_clause 0x3
	global_load_b64 v[16:17], v[3:4], off
	global_load_b64 v[18:19], v[3:4], off offset:2048
	global_load_b64 v[20:21], v[3:4], off offset:4096
	;; [unrolled: 1-line block ×3, first 2 shown]
	s_wait_loadcnt 0x7
	v_sub_co_u32 v9, vcc_lo, v9, s34
	s_wait_alu 0xfffd
	v_subrev_co_ci_u32_e64 v10, null, 0, v10, vcc_lo
	s_wait_loadcnt 0x6
	v_sub_co_u32 v11, vcc_lo, v11, s34
	s_wait_alu 0xfffd
	v_subrev_co_ci_u32_e64 v12, null, 0, v12, vcc_lo
	s_wait_loadcnt 0x5
	v_sub_co_u32 v13, vcc_lo, v13, s34
	s_wait_alu 0xfffd
	v_subrev_co_ci_u32_e64 v14, null, 0, v14, vcc_lo
	s_wait_loadcnt 0x4
	v_sub_co_u32 v7, vcc_lo, v7, s34
	v_lshlrev_b64_e32 v[9:10], 3, v[9:10]
	s_wait_alu 0xfffd
	v_subrev_co_ci_u32_e64 v8, null, 0, v8, vcc_lo
	v_lshlrev_b64_e32 v[11:12], 3, v[11:12]
	v_lshlrev_b64_e32 v[13:14], 3, v[13:14]
	s_wait_loadcnt 0x3
	v_cndmask_b32_e64 v17, v17, -v17, s33
	v_lshlrev_b64_e32 v[7:8], 3, v[7:8]
	v_add_co_u32 v9, vcc_lo, s18, v9
	s_wait_alu 0xfffd
	v_add_co_ci_u32_e64 v10, null, s19, v10, vcc_lo
	v_add_co_u32 v11, vcc_lo, s18, v11
	s_wait_alu 0xfffd
	v_add_co_ci_u32_e64 v12, null, s19, v12, vcc_lo
	;; [unrolled: 3-line block ×4, first 2 shown]
	s_clause 0x3
	global_load_b64 v[9:10], v[9:10], off
	global_load_b64 v[11:12], v[11:12], off
	;; [unrolled: 1-line block ×4, first 2 shown]
	s_wait_loadcnt 0x5
	v_cndmask_b32_e64 v21, v21, -v21, s33
	s_wait_loadcnt 0x4
	v_cndmask_b32_e64 v4, v4, -v4, s33
	v_cndmask_b32_e64 v19, v19, -v19, s33
	v_mul_f32_e64 v22, v17, -v2
	v_mul_f32_e64 v26, v21, -v2
	s_delay_alu instid0(VALU_DEP_4) | instskip(NEXT) | instid1(VALU_DEP_4)
	v_mul_f32_e64 v27, v4, -v2
	v_mul_f32_e64 v24, v19, -v2
	s_delay_alu instid0(VALU_DEP_2) | instskip(NEXT) | instid1(VALU_DEP_4)
	v_fmac_f32_e32 v27, v1, v3
	v_fmac_f32_e32 v26, v1, v20
	v_fmac_f32_e32 v22, v1, v16
	v_mul_f32_e32 v25, v1, v19
	v_mul_f32_e32 v28, v1, v4
	v_fmac_f32_e32 v24, v1, v18
	v_mul_f32_e32 v21, v1, v21
	s_delay_alu instid0(VALU_DEP_4) | instskip(NEXT) | instid1(VALU_DEP_4)
	v_fmac_f32_e32 v25, v2, v18
	v_dual_mul_f32 v23, v1, v17 :: v_dual_fmac_f32 v28, v2, v3
	s_delay_alu instid0(VALU_DEP_1)
	v_fmac_f32_e32 v23, v2, v16
	s_wait_loadcnt 0x2
	v_mul_f32_e32 v4, v12, v24
	v_fmac_f32_e32 v21, v2, v20
	s_wait_loadcnt 0x0
	v_mul_f32_e32 v19, v8, v27
	v_mul_f32_e32 v17, v14, v26
	;; [unrolled: 1-line block ×3, first 2 shown]
	v_mul_f32_e64 v1, v10, -v23
	v_mul_f32_e64 v3, v12, -v25
	;; [unrolled: 1-line block ×3, first 2 shown]
	v_fmac_f32_e32 v4, v25, v11
	v_fmac_f32_e32 v2, v23, v9
	v_mul_f32_e64 v16, v14, -v21
	v_fmac_f32_e32 v1, v22, v9
	v_fmac_f32_e32 v3, v24, v11
	s_delay_alu instid0(VALU_DEP_3)
	v_dual_fmac_f32 v19, v28, v7 :: v_dual_fmac_f32 v16, v26, v13
	v_dual_fmac_f32 v17, v21, v13 :: v_dual_fmac_f32 v18, v27, v7
	ds_store_2addr_stride64_b64 v15, v[1:2], v[3:4] offset1:4
	ds_store_2addr_stride64_b64 v15, v[16:17], v[18:19] offset0:8 offset1:12
.LBB29_78:
	s_wait_alu 0xfffe
	s_or_b32 exec_lo, exec_lo, s0
	v_cmp_lt_i64_e64 s0, s[26:27], 2
	s_wait_storecnt 0x0
	s_wait_loadcnt_dscnt 0x0
	s_barrier_signal -1
	s_barrier_wait -1
	global_inv scope:SCOPE_SE
	s_and_b32 vcc_lo, exec_lo, s0
	s_mov_b32 s0, -1
	s_wait_alu 0xfffe
	s_cbranch_vccz .LBB29_89
; %bb.79:
	v_add_co_u32 v7, s0, s20, v0
	s_wait_alu 0xf1ff
	v_add_co_ci_u32_e64 v8, null, s21, 0, s0
	s_mov_b32 s1, exec_lo
	v_cmpx_gt_i64_e64 s[22:23], v[7:8]
	s_cbranch_execz .LBB29_88
; %bb.80:
	v_cmp_neq_f32_e32 vcc_lo, 0, v5
	v_cmp_neq_f32_e64 s0, 0, v6
	s_lshl_b32 s4, s28, 3
	s_mov_b32 s2, 0
	s_wait_alu 0xfffe
	s_sub_co_i32 s4, 0, s4
	s_or_b32 s3, vcc_lo, s0
	s_branch .LBB29_82
.LBB29_81:                              ;   in Loop: Header=BB29_82 Depth=1
	s_wait_alu 0xfffe
	s_or_b32 exec_lo, exec_lo, s0
	v_add_co_u32 v7, vcc_lo, 0x100, v7
	s_wait_alu 0xfffd
	v_add_co_ci_u32_e64 v8, null, 0, v8, vcc_lo
	v_add_co_u32 v1, s0, s24, v9
	s_wait_alu 0xf1ff
	v_add_co_ci_u32_e64 v2, null, s25, v10, s0
	s_delay_alu instid0(VALU_DEP_3)
	v_cmp_le_i64_e32 vcc_lo, s[22:23], v[7:8]
	global_store_b64 v[1:2], v[11:12], off
	s_or_b32 s2, vcc_lo, s2
	s_wait_alu 0xfffe
	s_and_not1_b32 exec_lo, exec_lo, s2
	s_cbranch_execz .LBB29_88
.LBB29_82:                              ; =>This Loop Header: Depth=1
                                        ;     Child Loop BB29_84 Depth 2
	v_lshlrev_b64_e32 v[9:10], 3, v[7:8]
	v_dual_mov_b32 v12, 0 :: v_dual_mov_b32 v11, 0
	s_mov_b32 s0, exec_lo
	s_delay_alu instid0(VALU_DEP_2) | instskip(SKIP_1) | instid1(VALU_DEP_3)
	v_add_co_u32 v1, vcc_lo, s12, v9
	s_wait_alu 0xfffd
	v_add_co_ci_u32_e64 v2, null, s13, v10, vcc_lo
	global_load_b128 v[1:4], v[1:2], off
	s_wait_loadcnt 0x0
	v_cmpx_lt_i64_e64 v[1:2], v[3:4]
	s_cbranch_execz .LBB29_86
; %bb.83:                               ;   in Loop: Header=BB29_82 Depth=1
	v_mov_b32_e32 v12, 0
	v_sub_co_u32 v3, vcc_lo, v3, s28
	s_wait_alu 0xfffd
	v_subrev_co_ci_u32_e64 v4, null, s29, v4, vcc_lo
	v_sub_co_u32 v13, vcc_lo, v1, s28
	s_wait_alu 0xfffd
	v_subrev_co_ci_u32_e64 v14, null, s29, v2, vcc_lo
	s_wait_alu 0xfffe
	v_lshl_add_u32 v1, v1, 3, s4
	v_mov_b32_e32 v11, v12
	s_mov_b32 s5, 0
.LBB29_84:                              ;   Parent Loop BB29_82 Depth=1
                                        ; =>  This Inner Loop Header: Depth=2
	ds_load_b64 v[16:17], v1
	v_add_co_u32 v13, vcc_lo, v13, 1
	s_wait_alu 0xfffd
	v_add_co_ci_u32_e64 v14, null, 0, v14, vcc_lo
	v_add_nc_u32_e32 v1, 8, v1
	s_delay_alu instid0(VALU_DEP_2)
	v_cmp_ge_i64_e32 vcc_lo, v[13:14], v[3:4]
	s_wait_alu 0xfffe
	s_or_b32 s5, vcc_lo, s5
	s_wait_dscnt 0x0
	v_dual_add_f32 v11, v11, v16 :: v_dual_add_f32 v12, v12, v17
	s_wait_alu 0xfffe
	s_and_not1_b32 exec_lo, exec_lo, s5
	s_cbranch_execnz .LBB29_84
; %bb.85:                               ;   in Loop: Header=BB29_82 Depth=1
	s_or_b32 exec_lo, exec_lo, s5
.LBB29_86:                              ;   in Loop: Header=BB29_82 Depth=1
	s_wait_alu 0xfffe
	s_or_b32 exec_lo, exec_lo, s0
	s_and_saveexec_b32 s0, s3
	s_cbranch_execz .LBB29_81
; %bb.87:                               ;   in Loop: Header=BB29_82 Depth=1
	v_add_co_u32 v1, vcc_lo, s24, v9
	s_wait_alu 0xfffd
	v_add_co_ci_u32_e64 v2, null, s25, v10, vcc_lo
	global_load_b64 v[1:2], v[1:2], off
	s_wait_loadcnt 0x0
	v_fmac_f32_e32 v11, v5, v1
	v_fmac_f32_e32 v12, v6, v1
	s_delay_alu instid0(VALU_DEP_2) | instskip(NEXT) | instid1(VALU_DEP_2)
	v_fma_f32 v11, -v6, v2, v11
	v_fmac_f32_e32 v12, v5, v2
	s_branch .LBB29_81
.LBB29_88:
	s_wait_alu 0xfffe
	s_or_b32 exec_lo, exec_lo, s1
	s_mov_b32 s0, 0
.LBB29_89:
	s_wait_alu 0xfffe
	s_and_not1_b32 vcc_lo, exec_lo, s0
	s_wait_alu 0xfffe
	s_cbranch_vccnz .LBB29_114
; %bb.90:
	s_clz_i32_u32 s0, s26
	s_mov_b32 s1, exec_lo
	s_wait_alu 0xfffe
	s_min_u32 s0, s0, 32
	s_wait_alu 0xfffe
	s_sub_co_i32 s0, 31, s0
	s_wait_alu 0xfffe
	v_lshrrev_b32_e32 v9, s0, v0
	s_delay_alu instid0(VALU_DEP_1)
	v_add_co_u32 v1, s0, s20, v9
	s_wait_alu 0xf1ff
	v_add_co_ci_u32_e64 v2, null, s21, 0, s0
	s_add_co_i32 s0, s26, -1
	s_wait_alu 0xfffe
	v_dual_mov_b32 v4, 0 :: v_dual_and_b32 v3, s0, v0
	v_cmp_le_i64_e64 s0, s[22:23], v[1:2]
	s_delay_alu instid0(VALU_DEP_2)
	v_dual_mov_b32 v7, v4 :: v_dual_mov_b32 v8, v4
	v_cmpx_gt_i64_e64 s[22:23], v[1:2]
	s_cbranch_execz .LBB29_96
; %bb.91:
	v_lshlrev_b32_e32 v0, 3, v9
	global_load_b128 v[7:10], v0, s[30:31]
	v_sub_co_u32 v0, s2, v3, s28
	s_wait_alu 0xf1ff
	v_sub_co_ci_u32_e64 v12, null, 0, s29, s2
	s_mov_b32 s2, exec_lo
	s_wait_loadcnt 0x0
	v_sub_co_u32 v9, vcc_lo, v9, s28
	s_wait_alu 0xfffd
	v_subrev_co_ci_u32_e64 v10, null, s29, v10, vcc_lo
	v_add_co_u32 v11, vcc_lo, v7, v0
	s_wait_alu 0xfffd
	v_add_co_ci_u32_e64 v12, null, v8, v12, vcc_lo
	v_dual_mov_b32 v8, 0 :: v_dual_mov_b32 v7, 0
	s_delay_alu instid0(VALU_DEP_2)
	v_cmpx_lt_i64_e64 v[11:12], v[9:10]
	s_cbranch_execz .LBB29_95
; %bb.92:
	v_mov_b32_e32 v8, 0
	v_lshlrev_b32_e32 v0, 3, v11
	s_lshl_b32 s4, s26, 3
	s_mov_b32 s3, 0
	s_delay_alu instid0(VALU_DEP_2)
	v_mov_b32_e32 v7, v8
.LBB29_93:                              ; =>This Inner Loop Header: Depth=1
	ds_load_b64 v[13:14], v0
	v_add_co_u32 v11, vcc_lo, v11, s26
	s_wait_alu 0xfffd
	v_add_co_ci_u32_e64 v12, null, s27, v12, vcc_lo
	s_wait_alu 0xfffe
	v_add_nc_u32_e32 v0, s4, v0
	s_delay_alu instid0(VALU_DEP_2)
	v_cmp_ge_i64_e32 vcc_lo, v[11:12], v[9:10]
	s_or_b32 s3, vcc_lo, s3
	s_wait_dscnt 0x0
	v_dual_add_f32 v7, v7, v13 :: v_dual_add_f32 v8, v8, v14
	s_wait_alu 0xfffe
	s_and_not1_b32 exec_lo, exec_lo, s3
	s_cbranch_execnz .LBB29_93
; %bb.94:
	s_or_b32 exec_lo, exec_lo, s3
.LBB29_95:
	s_wait_alu 0xfffe
	s_or_b32 exec_lo, exec_lo, s2
.LBB29_96:
	s_delay_alu instid0(SALU_CYCLE_1)
	s_or_b32 exec_lo, exec_lo, s1
	v_cmp_gt_u64_e64 s1, 0x81, s[26:27]
	s_wait_loadcnt 0x0
	s_wait_storecnt 0x0
	s_barrier_signal -1
	s_barrier_wait -1
	global_inv scope:SCOPE_SE
	ds_store_b64 v15, v[7:8]
	s_and_b32 vcc_lo, exec_lo, s1
	s_wait_loadcnt_dscnt 0x0
	s_barrier_signal -1
	s_barrier_wait -1
	global_inv scope:SCOPE_SE
	s_wait_alu 0xfffe
	s_cbranch_vccnz .LBB29_98
; %bb.97:
	ds_load_b64 v[9:10], v15 offset:1024
	s_wait_loadcnt_dscnt 0x0
	s_barrier_signal -1
	s_barrier_wait -1
	global_inv scope:SCOPE_SE
	v_dual_add_f32 v7, v7, v9 :: v_dual_add_f32 v8, v8, v10
	ds_store_b64 v15, v[7:8]
.LBB29_98:
	v_cmp_gt_u64_e64 s1, 0x41, s[26:27]
	s_wait_loadcnt_dscnt 0x0
	s_barrier_signal -1
	s_barrier_wait -1
	global_inv scope:SCOPE_SE
	s_and_b32 vcc_lo, exec_lo, s1
	s_wait_alu 0xfffe
	s_cbranch_vccnz .LBB29_100
; %bb.99:
	ds_load_b64 v[9:10], v15 offset:512
	s_wait_loadcnt_dscnt 0x0
	s_barrier_signal -1
	s_barrier_wait -1
	global_inv scope:SCOPE_SE
	v_dual_add_f32 v7, v7, v9 :: v_dual_add_f32 v8, v8, v10
	ds_store_b64 v15, v[7:8]
.LBB29_100:
	v_cmp_lt_u64_e64 s1, s[26:27], 33
	s_wait_loadcnt_dscnt 0x0
	s_barrier_signal -1
	s_barrier_wait -1
	global_inv scope:SCOPE_SE
	s_and_b32 vcc_lo, exec_lo, s1
	s_wait_alu 0xfffe
	s_cbranch_vccnz .LBB29_102
; %bb.101:
	ds_load_b64 v[9:10], v15 offset:256
	s_wait_loadcnt_dscnt 0x0
	s_barrier_signal -1
	s_barrier_wait -1
	global_inv scope:SCOPE_SE
	v_dual_add_f32 v7, v7, v9 :: v_dual_add_f32 v8, v8, v10
	ds_store_b64 v15, v[7:8]
.LBB29_102:
	v_cmp_lt_u64_e64 s1, s[26:27], 17
	;; [unrolled: 17-line block ×4, first 2 shown]
	s_wait_loadcnt_dscnt 0x0
	s_barrier_signal -1
	s_barrier_wait -1
	global_inv scope:SCOPE_SE
	s_and_b32 vcc_lo, exec_lo, s1
	s_wait_alu 0xfffe
	s_cbranch_vccnz .LBB29_108
; %bb.107:
	ds_load_b64 v[9:10], v15 offset:32
	s_wait_loadcnt_dscnt 0x0
	s_barrier_signal -1
	s_barrier_wait -1
	global_inv scope:SCOPE_SE
	v_dual_add_f32 v7, v7, v9 :: v_dual_add_f32 v8, v8, v10
	ds_store_b64 v15, v[7:8]
.LBB29_108:
	s_cmp_eq_u64 s[26:27], 2
	s_wait_loadcnt_dscnt 0x0
	s_barrier_signal -1
	s_barrier_wait -1
	global_inv scope:SCOPE_SE
	s_cbranch_scc1 .LBB29_110
; %bb.109:
	ds_load_b64 v[9:10], v15 offset:16
	s_wait_loadcnt_dscnt 0x0
	s_barrier_signal -1
	s_barrier_wait -1
	global_inv scope:SCOPE_SE
	v_dual_add_f32 v7, v7, v9 :: v_dual_add_f32 v8, v8, v10
	ds_store_b64 v15, v[7:8]
.LBB29_110:
	s_wait_loadcnt_dscnt 0x0
	s_barrier_signal -1
	s_barrier_wait -1
	global_inv scope:SCOPE_SE
	ds_load_b64 v[9:10], v15 offset:8
	v_cmp_eq_u64_e32 vcc_lo, 0, v[3:4]
	s_xor_b32 s0, s0, -1
	s_wait_loadcnt_dscnt 0x0
	s_barrier_signal -1
	s_barrier_wait -1
	global_inv scope:SCOPE_SE
	s_wait_alu 0xfffe
	s_and_b32 s0, vcc_lo, s0
	v_dual_add_f32 v3, v7, v9 :: v_dual_add_f32 v4, v8, v10
	ds_store_b64 v15, v[3:4]
	s_wait_alu 0xfffe
	s_and_b32 exec_lo, exec_lo, s0
	s_cbranch_execz .LBB29_114
; %bb.111:
	v_cmp_neq_f32_e32 vcc_lo, 0, v5
	v_cmp_neq_f32_e64 s0, 0, v6
	v_lshlrev_b64_e32 v[0:1], 3, v[1:2]
	s_or_b32 s1, vcc_lo, s0
	s_wait_alu 0xfffe
	s_and_saveexec_b32 s0, s1
	s_cbranch_execz .LBB29_113
; %bb.112:
	s_delay_alu instid0(VALU_DEP_1)
	v_add_co_u32 v7, vcc_lo, s24, v0
	s_wait_alu 0xfffd
	v_add_co_ci_u32_e64 v8, null, s25, v1, vcc_lo
	global_load_b64 v[7:8], v[7:8], off
	s_wait_loadcnt 0x0
	v_fmac_f32_e32 v3, v5, v7
	v_fmac_f32_e32 v4, v6, v7
	s_delay_alu instid0(VALU_DEP_2) | instskip(NEXT) | instid1(VALU_DEP_2)
	v_fma_f32 v3, -v6, v8, v3
	v_fmac_f32_e32 v4, v5, v8
.LBB29_113:
	s_wait_alu 0xfffe
	s_or_b32 exec_lo, exec_lo, s0
	v_add_co_u32 v0, vcc_lo, s24, v0
	s_wait_alu 0xfffd
	v_add_co_ci_u32_e64 v1, null, s25, v1, vcc_lo
	global_store_b64 v[0:1], v[3:4], off
.LBB29_114:
	s_endpgm
	.section	.rodata,"a",@progbits
	.p2align	6, 0x0
	.amdhsa_kernel _ZN9rocsparseL22csrmvn_adaptive_kernelIll21rocsparse_complex_numIfES2_S2_S2_EEvbT_PKS3_PjPKT0_NS_24const_host_device_scalarIT4_EES5_S9_PKT1_PKT2_SC_PT3_21rocsparse_index_base_b
		.amdhsa_group_segment_fixed_size 8192
		.amdhsa_private_segment_fixed_size 0
		.amdhsa_kernarg_size 104
		.amdhsa_user_sgpr_count 2
		.amdhsa_user_sgpr_dispatch_ptr 0
		.amdhsa_user_sgpr_queue_ptr 0
		.amdhsa_user_sgpr_kernarg_segment_ptr 1
		.amdhsa_user_sgpr_dispatch_id 0
		.amdhsa_user_sgpr_private_segment_size 0
		.amdhsa_wavefront_size32 1
		.amdhsa_uses_dynamic_stack 0
		.amdhsa_enable_private_segment 0
		.amdhsa_system_sgpr_workgroup_id_x 1
		.amdhsa_system_sgpr_workgroup_id_y 0
		.amdhsa_system_sgpr_workgroup_id_z 0
		.amdhsa_system_sgpr_workgroup_info 0
		.amdhsa_system_vgpr_workitem_id 0
		.amdhsa_next_free_vgpr 29
		.amdhsa_next_free_sgpr 56
		.amdhsa_reserve_vcc 1
		.amdhsa_float_round_mode_32 0
		.amdhsa_float_round_mode_16_64 0
		.amdhsa_float_denorm_mode_32 3
		.amdhsa_float_denorm_mode_16_64 3
		.amdhsa_fp16_overflow 0
		.amdhsa_workgroup_processor_mode 1
		.amdhsa_memory_ordered 1
		.amdhsa_forward_progress 1
		.amdhsa_inst_pref_size 49
		.amdhsa_round_robin_scheduling 0
		.amdhsa_exception_fp_ieee_invalid_op 0
		.amdhsa_exception_fp_denorm_src 0
		.amdhsa_exception_fp_ieee_div_zero 0
		.amdhsa_exception_fp_ieee_overflow 0
		.amdhsa_exception_fp_ieee_underflow 0
		.amdhsa_exception_fp_ieee_inexact 0
		.amdhsa_exception_int_div_zero 0
	.end_amdhsa_kernel
	.section	.text._ZN9rocsparseL22csrmvn_adaptive_kernelIll21rocsparse_complex_numIfES2_S2_S2_EEvbT_PKS3_PjPKT0_NS_24const_host_device_scalarIT4_EES5_S9_PKT1_PKT2_SC_PT3_21rocsparse_index_base_b,"axG",@progbits,_ZN9rocsparseL22csrmvn_adaptive_kernelIll21rocsparse_complex_numIfES2_S2_S2_EEvbT_PKS3_PjPKT0_NS_24const_host_device_scalarIT4_EES5_S9_PKT1_PKT2_SC_PT3_21rocsparse_index_base_b,comdat
.Lfunc_end29:
	.size	_ZN9rocsparseL22csrmvn_adaptive_kernelIll21rocsparse_complex_numIfES2_S2_S2_EEvbT_PKS3_PjPKT0_NS_24const_host_device_scalarIT4_EES5_S9_PKT1_PKT2_SC_PT3_21rocsparse_index_base_b, .Lfunc_end29-_ZN9rocsparseL22csrmvn_adaptive_kernelIll21rocsparse_complex_numIfES2_S2_S2_EEvbT_PKS3_PjPKT0_NS_24const_host_device_scalarIT4_EES5_S9_PKT1_PKT2_SC_PT3_21rocsparse_index_base_b
                                        ; -- End function
	.set _ZN9rocsparseL22csrmvn_adaptive_kernelIll21rocsparse_complex_numIfES2_S2_S2_EEvbT_PKS3_PjPKT0_NS_24const_host_device_scalarIT4_EES5_S9_PKT1_PKT2_SC_PT3_21rocsparse_index_base_b.num_vgpr, 29
	.set _ZN9rocsparseL22csrmvn_adaptive_kernelIll21rocsparse_complex_numIfES2_S2_S2_EEvbT_PKS3_PjPKT0_NS_24const_host_device_scalarIT4_EES5_S9_PKT1_PKT2_SC_PT3_21rocsparse_index_base_b.num_agpr, 0
	.set _ZN9rocsparseL22csrmvn_adaptive_kernelIll21rocsparse_complex_numIfES2_S2_S2_EEvbT_PKS3_PjPKT0_NS_24const_host_device_scalarIT4_EES5_S9_PKT1_PKT2_SC_PT3_21rocsparse_index_base_b.numbered_sgpr, 56
	.set _ZN9rocsparseL22csrmvn_adaptive_kernelIll21rocsparse_complex_numIfES2_S2_S2_EEvbT_PKS3_PjPKT0_NS_24const_host_device_scalarIT4_EES5_S9_PKT1_PKT2_SC_PT3_21rocsparse_index_base_b.num_named_barrier, 0
	.set _ZN9rocsparseL22csrmvn_adaptive_kernelIll21rocsparse_complex_numIfES2_S2_S2_EEvbT_PKS3_PjPKT0_NS_24const_host_device_scalarIT4_EES5_S9_PKT1_PKT2_SC_PT3_21rocsparse_index_base_b.private_seg_size, 0
	.set _ZN9rocsparseL22csrmvn_adaptive_kernelIll21rocsparse_complex_numIfES2_S2_S2_EEvbT_PKS3_PjPKT0_NS_24const_host_device_scalarIT4_EES5_S9_PKT1_PKT2_SC_PT3_21rocsparse_index_base_b.uses_vcc, 1
	.set _ZN9rocsparseL22csrmvn_adaptive_kernelIll21rocsparse_complex_numIfES2_S2_S2_EEvbT_PKS3_PjPKT0_NS_24const_host_device_scalarIT4_EES5_S9_PKT1_PKT2_SC_PT3_21rocsparse_index_base_b.uses_flat_scratch, 0
	.set _ZN9rocsparseL22csrmvn_adaptive_kernelIll21rocsparse_complex_numIfES2_S2_S2_EEvbT_PKS3_PjPKT0_NS_24const_host_device_scalarIT4_EES5_S9_PKT1_PKT2_SC_PT3_21rocsparse_index_base_b.has_dyn_sized_stack, 0
	.set _ZN9rocsparseL22csrmvn_adaptive_kernelIll21rocsparse_complex_numIfES2_S2_S2_EEvbT_PKS3_PjPKT0_NS_24const_host_device_scalarIT4_EES5_S9_PKT1_PKT2_SC_PT3_21rocsparse_index_base_b.has_recursion, 0
	.set _ZN9rocsparseL22csrmvn_adaptive_kernelIll21rocsparse_complex_numIfES2_S2_S2_EEvbT_PKS3_PjPKT0_NS_24const_host_device_scalarIT4_EES5_S9_PKT1_PKT2_SC_PT3_21rocsparse_index_base_b.has_indirect_call, 0
	.section	.AMDGPU.csdata,"",@progbits
; Kernel info:
; codeLenInByte = 6256
; TotalNumSgprs: 58
; NumVgprs: 29
; ScratchSize: 0
; MemoryBound: 0
; FloatMode: 240
; IeeeMode: 1
; LDSByteSize: 8192 bytes/workgroup (compile time only)
; SGPRBlocks: 0
; VGPRBlocks: 3
; NumSGPRsForWavesPerEU: 58
; NumVGPRsForWavesPerEU: 29
; Occupancy: 16
; WaveLimiterHint : 1
; COMPUTE_PGM_RSRC2:SCRATCH_EN: 0
; COMPUTE_PGM_RSRC2:USER_SGPR: 2
; COMPUTE_PGM_RSRC2:TRAP_HANDLER: 0
; COMPUTE_PGM_RSRC2:TGID_X_EN: 1
; COMPUTE_PGM_RSRC2:TGID_Y_EN: 0
; COMPUTE_PGM_RSRC2:TGID_Z_EN: 0
; COMPUTE_PGM_RSRC2:TIDIG_COMP_CNT: 0
	.section	.text._ZN9rocsparseL22partial_scale_y_kernelIl21rocsparse_complex_numIfES2_EEvT_S3_S3_NS_24const_host_device_scalarIT1_EEPT0_b,"axG",@progbits,_ZN9rocsparseL22partial_scale_y_kernelIl21rocsparse_complex_numIfES2_EEvT_S3_S3_NS_24const_host_device_scalarIT1_EEPT0_b,comdat
	.globl	_ZN9rocsparseL22partial_scale_y_kernelIl21rocsparse_complex_numIfES2_EEvT_S3_S3_NS_24const_host_device_scalarIT1_EEPT0_b ; -- Begin function _ZN9rocsparseL22partial_scale_y_kernelIl21rocsparse_complex_numIfES2_EEvT_S3_S3_NS_24const_host_device_scalarIT1_EEPT0_b
	.p2align	8
	.type	_ZN9rocsparseL22partial_scale_y_kernelIl21rocsparse_complex_numIfES2_EEvT_S3_S3_NS_24const_host_device_scalarIT1_EEPT0_b,@function
_ZN9rocsparseL22partial_scale_y_kernelIl21rocsparse_complex_numIfES2_EEvT_S3_S3_NS_24const_host_device_scalarIT1_EEPT0_b: ; @_ZN9rocsparseL22partial_scale_y_kernelIl21rocsparse_complex_numIfES2_EEvT_S3_S3_NS_24const_host_device_scalarIT1_EEPT0_b
; %bb.0:
	s_clause 0x1
	s_load_b32 s12, s[0:1], 0x28
	s_load_b256 s[4:11], s[0:1], 0x0
	s_add_nc_u64 s[2:3], s[0:1], 24
	s_wait_kmcnt 0x0
	s_bitcmp1_b32 s12, 0
	s_cselect_b32 s2, s2, s10
	s_cselect_b32 s3, s3, s11
	s_delay_alu instid0(SALU_CYCLE_1)
	v_dual_mov_b32 v1, s2 :: v_dual_mov_b32 v2, s3
	flat_load_b64 v[1:2], v[1:2]
	s_wait_loadcnt_dscnt 0x0
	v_cmp_neq_f32_e32 vcc_lo, 1.0, v1
	v_cmp_neq_f32_e64 s2, 0, v2
	s_or_b32 s2, vcc_lo, s2
	s_wait_alu 0xfffe
	s_and_saveexec_b32 s3, s2
	s_cbranch_execz .LBB30_13
; %bb.1:
	v_lshl_or_b32 v3, ttmp9, 8, v0
	v_mov_b32_e32 v4, 0
	s_add_nc_u64 s[2:3], s[6:7], s[4:5]
	s_wait_alu 0xfffe
	s_sub_nc_u64 s[2:3], s[2:3], s[8:9]
	s_wait_alu 0xfffe
	v_cmp_gt_i64_e32 vcc_lo, s[2:3], v[3:4]
	s_and_b32 exec_lo, exec_lo, vcc_lo
	s_cbranch_execz .LBB30_13
; %bb.2:
	s_load_b64 s[2:3], s[0:1], 0x20
	v_cmp_neq_f32_e32 vcc_lo, 0, v1
	v_cmp_neq_f32_e64 s0, 0, v2
	v_cmp_le_i64_e64 s1, s[6:7], v[3:4]
	s_or_b32 s0, vcc_lo, s0
	s_and_saveexec_b32 s4, s1
	s_delay_alu instid0(SALU_CYCLE_1)
	s_xor_b32 s1, exec_lo, s4
	s_cbranch_execz .LBB30_8
; %bb.3:
	v_sub_co_u32 v3, s4, v3, s6
	s_delay_alu instid0(VALU_DEP_1)
	v_sub_co_ci_u32_e64 v4, null, 0, s7, s4
	s_lshl_b64 s[4:5], s[8:9], 3
	s_wait_kmcnt 0x0
	s_wait_alu 0xfffe
	s_add_nc_u64 s[4:5], s[2:3], s[4:5]
	v_lshlrev_b64_e32 v[3:4], 3, v[3:4]
	s_wait_alu 0xfffe
	s_delay_alu instid0(VALU_DEP_1) | instskip(NEXT) | instid1(VALU_DEP_1)
	v_add_co_u32 v3, vcc_lo, s4, v3
	v_add_co_ci_u32_e64 v4, null, s5, v4, vcc_lo
	s_and_saveexec_b32 s4, s0
	s_wait_alu 0xfffe
	s_xor_b32 s4, exec_lo, s4
	s_cbranch_execz .LBB30_5
; %bb.4:
	global_load_b64 v[5:6], v[3:4], off
	s_wait_loadcnt 0x0
	v_mul_f32_e64 v7, v2, -v6
	v_mul_f32_e32 v8, v2, v5
	s_delay_alu instid0(VALU_DEP_2) | instskip(NEXT) | instid1(VALU_DEP_2)
	v_fmac_f32_e32 v7, v5, v1
	v_fmac_f32_e32 v8, v6, v1
	global_store_b64 v[3:4], v[7:8], off
                                        ; implicit-def: $vgpr3_vgpr4
.LBB30_5:
	s_wait_alu 0xfffe
	s_and_not1_saveexec_b32 s4, s4
	s_cbranch_execz .LBB30_7
; %bb.6:
	v_mov_b32_e32 v0, 0
	s_delay_alu instid0(VALU_DEP_1)
	v_mov_b32_e32 v1, v0
	global_store_b64 v[3:4], v[0:1], off
.LBB30_7:
	s_wait_alu 0xfffe
	s_or_b32 exec_lo, exec_lo, s4
                                        ; implicit-def: $vgpr3_vgpr4
                                        ; implicit-def: $vgpr1_vgpr2
.LBB30_8:
	s_wait_alu 0xfffe
	s_and_not1_saveexec_b32 s1, s1
	s_cbranch_execz .LBB30_13
; %bb.9:
	v_lshlrev_b64_e32 v[3:4], 3, v[3:4]
	s_wait_kmcnt 0x0
	s_delay_alu instid0(VALU_DEP_1) | instskip(SKIP_1) | instid1(VALU_DEP_2)
	v_add_co_u32 v3, vcc_lo, s2, v3
	s_wait_alu 0xfffd
	v_add_co_ci_u32_e64 v4, null, s3, v4, vcc_lo
	s_and_saveexec_b32 s1, s0
	s_wait_alu 0xfffe
	s_xor_b32 s0, exec_lo, s1
	s_cbranch_execz .LBB30_11
; %bb.10:
	global_load_b64 v[5:6], v[3:4], off
	s_wait_loadcnt 0x0
	v_mul_f32_e64 v7, v2, -v6
	v_mul_f32_e32 v8, v2, v5
	s_delay_alu instid0(VALU_DEP_2) | instskip(NEXT) | instid1(VALU_DEP_2)
	v_fmac_f32_e32 v7, v5, v1
	v_fmac_f32_e32 v8, v6, v1
	global_store_b64 v[3:4], v[7:8], off
                                        ; implicit-def: $vgpr3_vgpr4
.LBB30_11:
	s_wait_alu 0xfffe
	s_and_not1_saveexec_b32 s0, s0
	s_cbranch_execz .LBB30_13
; %bb.12:
	v_mov_b32_e32 v0, 0
	s_delay_alu instid0(VALU_DEP_1)
	v_mov_b32_e32 v1, v0
	global_store_b64 v[3:4], v[0:1], off
.LBB30_13:
	s_endpgm
	.section	.rodata,"a",@progbits
	.p2align	6, 0x0
	.amdhsa_kernel _ZN9rocsparseL22partial_scale_y_kernelIl21rocsparse_complex_numIfES2_EEvT_S3_S3_NS_24const_host_device_scalarIT1_EEPT0_b
		.amdhsa_group_segment_fixed_size 0
		.amdhsa_private_segment_fixed_size 0
		.amdhsa_kernarg_size 44
		.amdhsa_user_sgpr_count 2
		.amdhsa_user_sgpr_dispatch_ptr 0
		.amdhsa_user_sgpr_queue_ptr 0
		.amdhsa_user_sgpr_kernarg_segment_ptr 1
		.amdhsa_user_sgpr_dispatch_id 0
		.amdhsa_user_sgpr_private_segment_size 0
		.amdhsa_wavefront_size32 1
		.amdhsa_uses_dynamic_stack 0
		.amdhsa_enable_private_segment 0
		.amdhsa_system_sgpr_workgroup_id_x 1
		.amdhsa_system_sgpr_workgroup_id_y 0
		.amdhsa_system_sgpr_workgroup_id_z 0
		.amdhsa_system_sgpr_workgroup_info 0
		.amdhsa_system_vgpr_workitem_id 0
		.amdhsa_next_free_vgpr 9
		.amdhsa_next_free_sgpr 13
		.amdhsa_reserve_vcc 1
		.amdhsa_float_round_mode_32 0
		.amdhsa_float_round_mode_16_64 0
		.amdhsa_float_denorm_mode_32 3
		.amdhsa_float_denorm_mode_16_64 3
		.amdhsa_fp16_overflow 0
		.amdhsa_workgroup_processor_mode 1
		.amdhsa_memory_ordered 1
		.amdhsa_forward_progress 1
		.amdhsa_inst_pref_size 4
		.amdhsa_round_robin_scheduling 0
		.amdhsa_exception_fp_ieee_invalid_op 0
		.amdhsa_exception_fp_denorm_src 0
		.amdhsa_exception_fp_ieee_div_zero 0
		.amdhsa_exception_fp_ieee_overflow 0
		.amdhsa_exception_fp_ieee_underflow 0
		.amdhsa_exception_fp_ieee_inexact 0
		.amdhsa_exception_int_div_zero 0
	.end_amdhsa_kernel
	.section	.text._ZN9rocsparseL22partial_scale_y_kernelIl21rocsparse_complex_numIfES2_EEvT_S3_S3_NS_24const_host_device_scalarIT1_EEPT0_b,"axG",@progbits,_ZN9rocsparseL22partial_scale_y_kernelIl21rocsparse_complex_numIfES2_EEvT_S3_S3_NS_24const_host_device_scalarIT1_EEPT0_b,comdat
.Lfunc_end30:
	.size	_ZN9rocsparseL22partial_scale_y_kernelIl21rocsparse_complex_numIfES2_EEvT_S3_S3_NS_24const_host_device_scalarIT1_EEPT0_b, .Lfunc_end30-_ZN9rocsparseL22partial_scale_y_kernelIl21rocsparse_complex_numIfES2_EEvT_S3_S3_NS_24const_host_device_scalarIT1_EEPT0_b
                                        ; -- End function
	.set _ZN9rocsparseL22partial_scale_y_kernelIl21rocsparse_complex_numIfES2_EEvT_S3_S3_NS_24const_host_device_scalarIT1_EEPT0_b.num_vgpr, 9
	.set _ZN9rocsparseL22partial_scale_y_kernelIl21rocsparse_complex_numIfES2_EEvT_S3_S3_NS_24const_host_device_scalarIT1_EEPT0_b.num_agpr, 0
	.set _ZN9rocsparseL22partial_scale_y_kernelIl21rocsparse_complex_numIfES2_EEvT_S3_S3_NS_24const_host_device_scalarIT1_EEPT0_b.numbered_sgpr, 13
	.set _ZN9rocsparseL22partial_scale_y_kernelIl21rocsparse_complex_numIfES2_EEvT_S3_S3_NS_24const_host_device_scalarIT1_EEPT0_b.num_named_barrier, 0
	.set _ZN9rocsparseL22partial_scale_y_kernelIl21rocsparse_complex_numIfES2_EEvT_S3_S3_NS_24const_host_device_scalarIT1_EEPT0_b.private_seg_size, 0
	.set _ZN9rocsparseL22partial_scale_y_kernelIl21rocsparse_complex_numIfES2_EEvT_S3_S3_NS_24const_host_device_scalarIT1_EEPT0_b.uses_vcc, 1
	.set _ZN9rocsparseL22partial_scale_y_kernelIl21rocsparse_complex_numIfES2_EEvT_S3_S3_NS_24const_host_device_scalarIT1_EEPT0_b.uses_flat_scratch, 0
	.set _ZN9rocsparseL22partial_scale_y_kernelIl21rocsparse_complex_numIfES2_EEvT_S3_S3_NS_24const_host_device_scalarIT1_EEPT0_b.has_dyn_sized_stack, 0
	.set _ZN9rocsparseL22partial_scale_y_kernelIl21rocsparse_complex_numIfES2_EEvT_S3_S3_NS_24const_host_device_scalarIT1_EEPT0_b.has_recursion, 0
	.set _ZN9rocsparseL22partial_scale_y_kernelIl21rocsparse_complex_numIfES2_EEvT_S3_S3_NS_24const_host_device_scalarIT1_EEPT0_b.has_indirect_call, 0
	.section	.AMDGPU.csdata,"",@progbits
; Kernel info:
; codeLenInByte = 512
; TotalNumSgprs: 15
; NumVgprs: 9
; ScratchSize: 0
; MemoryBound: 0
; FloatMode: 240
; IeeeMode: 1
; LDSByteSize: 0 bytes/workgroup (compile time only)
; SGPRBlocks: 0
; VGPRBlocks: 1
; NumSGPRsForWavesPerEU: 15
; NumVGPRsForWavesPerEU: 9
; Occupancy: 16
; WaveLimiterHint : 0
; COMPUTE_PGM_RSRC2:SCRATCH_EN: 0
; COMPUTE_PGM_RSRC2:USER_SGPR: 2
; COMPUTE_PGM_RSRC2:TRAP_HANDLER: 0
; COMPUTE_PGM_RSRC2:TGID_X_EN: 1
; COMPUTE_PGM_RSRC2:TGID_Y_EN: 0
; COMPUTE_PGM_RSRC2:TGID_Z_EN: 0
; COMPUTE_PGM_RSRC2:TIDIG_COMP_CNT: 0
	.section	.text._ZN9rocsparseL27csrmvn_symm_adaptive_kernelIll21rocsparse_complex_numIfES2_S2_S2_EEvbT_S3_PKS3_NS_24const_host_device_scalarIT4_EES5_PKT0_PKT1_PKT2_S8_PT3_21rocsparse_index_base_b,"axG",@progbits,_ZN9rocsparseL27csrmvn_symm_adaptive_kernelIll21rocsparse_complex_numIfES2_S2_S2_EEvbT_S3_PKS3_NS_24const_host_device_scalarIT4_EES5_PKT0_PKT1_PKT2_S8_PT3_21rocsparse_index_base_b,comdat
	.globl	_ZN9rocsparseL27csrmvn_symm_adaptive_kernelIll21rocsparse_complex_numIfES2_S2_S2_EEvbT_S3_PKS3_NS_24const_host_device_scalarIT4_EES5_PKT0_PKT1_PKT2_S8_PT3_21rocsparse_index_base_b ; -- Begin function _ZN9rocsparseL27csrmvn_symm_adaptive_kernelIll21rocsparse_complex_numIfES2_S2_S2_EEvbT_S3_PKS3_NS_24const_host_device_scalarIT4_EES5_PKT0_PKT1_PKT2_S8_PT3_21rocsparse_index_base_b
	.p2align	8
	.type	_ZN9rocsparseL27csrmvn_symm_adaptive_kernelIll21rocsparse_complex_numIfES2_S2_S2_EEvbT_S3_PKS3_NS_24const_host_device_scalarIT4_EES5_PKT0_PKT1_PKT2_S8_PT3_21rocsparse_index_base_b,@function
_ZN9rocsparseL27csrmvn_symm_adaptive_kernelIll21rocsparse_complex_numIfES2_S2_S2_EEvbT_S3_PKS3_NS_24const_host_device_scalarIT4_EES5_PKT0_PKT1_PKT2_S8_PT3_21rocsparse_index_base_b: ; @_ZN9rocsparseL27csrmvn_symm_adaptive_kernelIll21rocsparse_complex_numIfES2_S2_S2_EEvbT_S3_PKS3_NS_24const_host_device_scalarIT4_EES5_PKT0_PKT1_PKT2_S8_PT3_21rocsparse_index_base_b
; %bb.0:
	s_clause 0x1
	s_load_b64 s[24:25], s[0:1], 0x58
	s_load_b64 s[4:5], s[0:1], 0x20
	s_add_nc_u64 s[6:7], s[0:1], 32
	s_wait_kmcnt 0x0
	s_bitcmp1_b32 s25, 0
	s_cselect_b32 s3, -1, 0
	s_delay_alu instid0(SALU_CYCLE_1) | instskip(SKIP_2) | instid1(SALU_CYCLE_1)
	s_and_b32 s2, s3, exec_lo
	s_cselect_b32 s2, s6, s4
	s_cselect_b32 s4, s7, s5
	v_dual_mov_b32 v1, s2 :: v_dual_mov_b32 v2, s4
	flat_load_b64 v[6:7], v[1:2]
	s_wait_loadcnt_dscnt 0x0
	v_cmp_eq_f32_e32 vcc_lo, 0, v6
	v_cmp_eq_f32_e64 s2, 0, v7
	s_and_b32 s5, vcc_lo, s2
	s_mov_b32 s2, -1
	s_wait_alu 0xfffe
	s_and_saveexec_b32 s4, s5
	s_cbranch_execz .LBB31_2
; %bb.1:
	s_load_b64 s[6:7], s[0:1], 0x48
	s_add_nc_u64 s[8:9], s[0:1], 0x48
	s_and_b32 s2, s3, exec_lo
	s_wait_kmcnt 0x0
	s_cselect_b32 s2, s8, s6
	s_cselect_b32 s3, s9, s7
	s_wait_alu 0xfffe
	v_dual_mov_b32 v1, s2 :: v_dual_mov_b32 v2, s3
	flat_load_b64 v[1:2], v[1:2]
	s_wait_loadcnt_dscnt 0x0
	v_cmp_neq_f32_e32 vcc_lo, 1.0, v1
	v_cmp_neq_f32_e64 s2, 0, v2
	s_or_b32 s2, vcc_lo, s2
	s_wait_alu 0xfffe
	s_or_not1_b32 s2, s2, exec_lo
.LBB31_2:
	s_wait_alu 0xfffe
	s_or_b32 exec_lo, exec_lo, s4
	s_and_saveexec_b32 s3, s2
	s_cbranch_execz .LBB31_141
; %bb.3:
	s_clause 0x1
	s_load_b32 s3, s[0:1], 0x0
	s_load_b64 s[4:5], s[0:1], 0x18
	s_mov_b32 s25, 0
	s_mov_b32 s2, ttmp9
	s_mov_b32 s6, s25
	s_mov_b32 s7, s25
	v_dual_mov_b32 v1, s6 :: v_dual_lshlrev_b32 v14, 3, v0
	v_mov_b32_e32 v2, s7
	ds_store_2addr_stride64_b64 v14, v[1:2], v[1:2] offset1:4
	ds_store_2addr_stride64_b64 v14, v[1:2], v[1:2] offset0:8 offset1:12
	s_wait_dscnt 0x0
	s_barrier_signal -1
	s_barrier_wait -1
	global_inv scope:SCOPE_SE
	s_wait_kmcnt 0x0
	s_bitcmp1_b32 s3, 0
	s_cselect_b32 s33, -1, 0
	s_ashr_i32 s3, ttmp9, 31
	s_wait_alu 0xfffe
	s_lshl_b64 s[2:3], s[2:3], 3
	s_wait_alu 0xfffe
	s_add_nc_u64 s[2:3], s[4:5], s[2:3]
	s_load_b128 s[16:19], s[2:3], 0x0
	s_clause 0x1
	s_load_b256 s[8:15], s[0:1], 0x28
	s_load_b64 s[20:21], s[0:1], 0x50
	s_wait_kmcnt 0x0
	s_sub_nc_u64 s[22:23], s[18:19], s[16:17]
	s_delay_alu instid0(SALU_CYCLE_1)
	v_cmp_gt_i64_e64 s2, s[22:23], 2
	s_and_b32 vcc_lo, exec_lo, s2
	s_mov_b32 s2, -1
	s_cbranch_vccnz .LBB31_40
; %bb.4:
	v_cmp_le_i64_e64 s2, s[18:19], s[16:17]
	v_sub_co_u32 v5, s3, v0, s24
	v_mov_b32_e32 v13, 0
	s_wait_alu 0xf1ff
	v_sub_co_ci_u32_e64 v12, null, 0, 0, s3
	s_wait_alu 0xfffe
	s_and_b32 vcc_lo, exec_lo, s2
	s_cbranch_vccnz .LBB31_30
; %bb.5:
	v_cmp_gt_u32_e64 s2, 0x100, v0
	v_cmp_gt_u32_e64 s3, 64, v0
	;; [unrolled: 1-line block ×4, first 2 shown]
	v_cmp_eq_u32_e64 s6, 0, v0
	s_add_nc_u64 s[26:27], s[12:13], 4
	s_mov_b64 s[28:29], s[16:17]
	s_branch .LBB31_7
.LBB31_6:                               ;   in Loop: Header=BB31_7 Depth=1
	s_wait_alu 0xfffe
	s_or_b32 exec_lo, exec_lo, s7
	s_add_nc_u64 s[28:29], s[28:29], 1
	s_wait_alu 0xfffe
	v_cmp_ge_i64_e64 s7, s[28:29], s[18:19]
	s_and_b32 vcc_lo, exec_lo, s7
	s_wait_alu 0xfffe
	s_cbranch_vccnz .LBB31_30
.LBB31_7:                               ; =>This Loop Header: Depth=1
                                        ;     Child Loop BB31_9 Depth 2
                                        ;     Child Loop BB31_23 Depth 2
	;; [unrolled: 1-line block ×3, first 2 shown]
	s_lshl_b64 s[30:31], s[28:29], 3
	v_dual_mov_b32 v4, 0 :: v_dual_mov_b32 v3, 0
	s_add_nc_u64 s[34:35], s[8:9], s[30:31]
	s_load_b128 s[36:39], s[34:35], 0x0
	s_wait_kmcnt 0x0
	v_add_co_u32 v1, vcc_lo, s36, v5
	s_wait_alu 0xfffd
	v_add_co_ci_u32_e64 v2, null, s37, v12, vcc_lo
	s_sub_nc_u64 s[34:35], s[38:39], s[24:25]
	s_mov_b32 s36, exec_lo
	s_wait_alu 0xfffe
	v_cmpx_gt_i64_e64 s[34:35], v[1:2]
	s_cbranch_execz .LBB31_11
; %bb.8:                                ;   in Loop: Header=BB31_7 Depth=1
	v_lshlrev_b64_e32 v[10:11], 3, v[1:2]
	v_mov_b32_e32 v4, 0
	s_mov_b32 s37, 0
	s_delay_alu instid0(VALU_DEP_1) | instskip(NEXT) | instid1(VALU_DEP_3)
	v_mov_b32_e32 v3, v4
	v_add_co_u32 v8, vcc_lo, s10, v10
	s_wait_alu 0xfffd
	v_add_co_ci_u32_e64 v9, null, s11, v11, vcc_lo
	v_add_co_u32 v10, vcc_lo, s26, v10
	s_wait_alu 0xfffd
	v_add_co_ci_u32_e64 v11, null, s27, v11, vcc_lo
.LBB31_9:                               ;   Parent Loop BB31_7 Depth=1
                                        ; =>  This Inner Loop Header: Depth=2
	global_load_b64 v[15:16], v[8:9], off
	global_load_b64 v[17:18], v[10:11], off offset:-4
	s_wait_loadcnt 0x1
	v_sub_co_u32 v15, vcc_lo, v15, s24
	s_wait_alu 0xfffd
	v_subrev_co_ci_u32_e64 v16, null, 0, v16, vcc_lo
	s_wait_loadcnt 0x0
	v_cndmask_b32_e64 v18, v18, -v18, s33
	s_delay_alu instid0(VALU_DEP_2) | instskip(NEXT) | instid1(VALU_DEP_1)
	v_lshlrev_b64_e32 v[15:16], 3, v[15:16]
	v_add_co_u32 v15, vcc_lo, s14, v15
	s_wait_alu 0xfffd
	s_delay_alu instid0(VALU_DEP_2)
	v_add_co_ci_u32_e64 v16, null, s15, v16, vcc_lo
	v_add_co_u32 v1, vcc_lo, 0x100, v1
	s_wait_alu 0xfffd
	v_add_co_ci_u32_e64 v2, null, 0, v2, vcc_lo
	global_load_b64 v[15:16], v[15:16], off
	v_add_co_u32 v8, vcc_lo, 0x800, v8
	v_cmp_le_i64_e64 s7, s[34:35], v[1:2]
	s_wait_alu 0xfffd
	v_add_co_ci_u32_e64 v9, null, 0, v9, vcc_lo
	v_add_co_u32 v10, vcc_lo, 0x800, v10
	s_wait_alu 0xfffd
	v_add_co_ci_u32_e64 v11, null, 0, v11, vcc_lo
	s_wait_alu 0xfffe
	s_or_b32 s37, s7, s37
	s_wait_loadcnt 0x0
	v_fmac_f32_e32 v3, v17, v15
	v_fmac_f32_e32 v4, v18, v15
	s_delay_alu instid0(VALU_DEP_2) | instskip(NEXT) | instid1(VALU_DEP_2)
	v_fma_f32 v3, -v18, v16, v3
	v_fmac_f32_e32 v4, v17, v16
	s_wait_alu 0xfffe
	s_and_not1_b32 exec_lo, exec_lo, s37
	s_cbranch_execnz .LBB31_9
; %bb.10:                               ;   in Loop: Header=BB31_7 Depth=1
	s_or_b32 exec_lo, exec_lo, s37
.LBB31_11:                              ;   in Loop: Header=BB31_7 Depth=1
	s_wait_alu 0xfffe
	s_or_b32 exec_lo, exec_lo, s36
	ds_store_b64 v14, v[3:4]
	s_wait_loadcnt_dscnt 0x0
	s_barrier_signal -1
	s_barrier_wait -1
	global_inv scope:SCOPE_SE
	s_and_saveexec_b32 s7, s2
	s_cbranch_execz .LBB31_13
; %bb.12:                               ;   in Loop: Header=BB31_7 Depth=1
	ds_load_2addr_stride64_b64 v[1:4], v14 offset1:4
	ds_load_2addr_stride64_b64 v[8:11], v14 offset0:8 offset1:12
	s_wait_dscnt 0x0
	v_dual_add_f32 v3, v8, v3 :: v_dual_add_f32 v4, v9, v4
	s_delay_alu instid0(VALU_DEP_1) | instskip(NEXT) | instid1(VALU_DEP_1)
	v_dual_add_f32 v3, v10, v3 :: v_dual_add_f32 v4, v11, v4
	v_dual_add_f32 v1, v3, v1 :: v_dual_add_f32 v2, v4, v2
	ds_store_b64 v14, v[1:2]
.LBB31_13:                              ;   in Loop: Header=BB31_7 Depth=1
	s_wait_alu 0xfffe
	s_or_b32 exec_lo, exec_lo, s7
	s_wait_loadcnt_dscnt 0x0
	s_barrier_signal -1
	s_barrier_wait -1
	global_inv scope:SCOPE_SE
	s_and_saveexec_b32 s7, s3
	s_cbranch_execz .LBB31_15
; %bb.14:                               ;   in Loop: Header=BB31_7 Depth=1
	ds_load_2addr_stride64_b64 v[1:4], v14 offset1:1
	ds_load_2addr_stride64_b64 v[8:11], v14 offset0:2 offset1:3
	s_wait_dscnt 0x0
	v_dual_add_f32 v3, v8, v3 :: v_dual_add_f32 v4, v9, v4
	s_delay_alu instid0(VALU_DEP_1) | instskip(NEXT) | instid1(VALU_DEP_1)
	v_dual_add_f32 v3, v10, v3 :: v_dual_add_f32 v4, v11, v4
	v_dual_add_f32 v1, v3, v1 :: v_dual_add_f32 v2, v4, v2
	ds_store_b64 v14, v[1:2]
.LBB31_15:                              ;   in Loop: Header=BB31_7 Depth=1
	s_wait_alu 0xfffe
	s_or_b32 exec_lo, exec_lo, s7
	s_wait_loadcnt_dscnt 0x0
	s_barrier_signal -1
	s_barrier_wait -1
	global_inv scope:SCOPE_SE
	s_and_saveexec_b32 s7, s4
	s_cbranch_execz .LBB31_17
; %bb.16:                               ;   in Loop: Header=BB31_7 Depth=1
	ds_load_2addr_b64 v[1:4], v14 offset1:16
	ds_load_2addr_b64 v[8:11], v14 offset0:32 offset1:48
	s_wait_dscnt 0x0
	v_dual_add_f32 v3, v8, v3 :: v_dual_add_f32 v4, v9, v4
	s_delay_alu instid0(VALU_DEP_1) | instskip(NEXT) | instid1(VALU_DEP_1)
	v_dual_add_f32 v3, v10, v3 :: v_dual_add_f32 v4, v11, v4
	v_dual_add_f32 v1, v3, v1 :: v_dual_add_f32 v2, v4, v2
	ds_store_b64 v14, v[1:2]
.LBB31_17:                              ;   in Loop: Header=BB31_7 Depth=1
	s_wait_alu 0xfffe
	s_or_b32 exec_lo, exec_lo, s7
	s_wait_loadcnt_dscnt 0x0
	s_barrier_signal -1
	s_barrier_wait -1
	global_inv scope:SCOPE_SE
	s_and_saveexec_b32 s7, s5
	s_cbranch_execz .LBB31_19
; %bb.18:                               ;   in Loop: Header=BB31_7 Depth=1
	ds_load_2addr_b64 v[1:4], v14 offset1:4
	ds_load_2addr_b64 v[8:11], v14 offset0:8 offset1:12
	s_wait_dscnt 0x0
	v_dual_add_f32 v3, v8, v3 :: v_dual_add_f32 v4, v9, v4
	s_delay_alu instid0(VALU_DEP_1) | instskip(NEXT) | instid1(VALU_DEP_1)
	v_dual_add_f32 v3, v10, v3 :: v_dual_add_f32 v4, v11, v4
	v_dual_add_f32 v1, v3, v1 :: v_dual_add_f32 v2, v4, v2
	ds_store_b64 v14, v[1:2]
.LBB31_19:                              ;   in Loop: Header=BB31_7 Depth=1
	s_wait_alu 0xfffe
	s_or_b32 exec_lo, exec_lo, s7
	s_wait_loadcnt_dscnt 0x0
	s_barrier_signal -1
	s_barrier_wait -1
	global_inv scope:SCOPE_SE
	s_and_saveexec_b32 s7, s6
	s_cbranch_execz .LBB31_21
; %bb.20:                               ;   in Loop: Header=BB31_7 Depth=1
	ds_load_b128 v[1:4], v13 offset:16
	ds_load_b64 v[8:9], v13 offset:8
	ds_load_b64 v[10:11], v14
	s_wait_dscnt 0x1
	v_dual_add_f32 v1, v1, v8 :: v_dual_add_f32 v2, v2, v9
	s_delay_alu instid0(VALU_DEP_1) | instskip(SKIP_1) | instid1(VALU_DEP_1)
	v_dual_add_f32 v1, v3, v1 :: v_dual_add_f32 v2, v4, v2
	s_wait_dscnt 0x0
	v_dual_add_f32 v1, v1, v10 :: v_dual_add_f32 v2, v2, v11
	ds_store_b64 v14, v[1:2]
.LBB31_21:                              ;   in Loop: Header=BB31_7 Depth=1
	s_wait_alu 0xfffe
	s_or_b32 exec_lo, exec_lo, s7
	s_wait_loadcnt_dscnt 0x0
	s_barrier_signal -1
	s_barrier_wait -1
	global_inv scope:SCOPE_SE
	s_and_saveexec_b32 s7, s6
	s_cbranch_execz .LBB31_6
; %bb.22:                               ;   in Loop: Header=BB31_7 Depth=1
	ds_load_b64 v[1:2], v13
	s_mov_b32 s35, exec_lo
	s_brev_b32 s34, 1
	s_wait_dscnt 0x0
	v_mul_f32_e64 v3, v2, -v7
	s_delay_alu instid0(VALU_DEP_1)
	v_fmac_f32_e32 v3, v6, v1
.LBB31_23:                              ;   Parent Loop BB31_7 Depth=1
                                        ; =>  This Inner Loop Header: Depth=2
	s_wait_alu 0xfffe
	s_ctz_i32_b32 s36, s35
	s_wait_alu 0xfffe
	s_delay_alu instid0(VALU_DEP_1)
	v_readlane_b32 s37, v3, s36
	s_lshl_b32 s36, 1, s36
	s_wait_alu 0xfffe
	s_and_not1_b32 s35, s35, s36
	s_wait_alu 0xfffe
	s_cmp_lg_u32 s35, 0
	s_add_f32 s34, s34, s37
	s_cbranch_scc1 .LBB31_23
; %bb.24:                               ;   in Loop: Header=BB31_7 Depth=1
	v_mbcnt_lo_u32_b32 v3, exec_lo, 0
	s_add_nc_u64 s[30:31], s[20:21], s[30:31]
	s_mov_b32 s35, exec_lo
	s_delay_alu instid0(VALU_DEP_1)
	v_cmpx_eq_u32_e32 0, v3
	s_wait_alu 0xfffe
	s_xor_b32 s35, exec_lo, s35
	s_cbranch_execz .LBB31_26
; %bb.25:                               ;   in Loop: Header=BB31_7 Depth=1
	v_mov_b32_e32 v3, s34
	global_atomic_add_f32 v13, v3, s[30:31] scope:SCOPE_DEV
.LBB31_26:                              ;   in Loop: Header=BB31_7 Depth=1
	s_wait_alu 0xfffe
	s_or_b32 exec_lo, exec_lo, s35
	v_mul_f32_e32 v2, v6, v2
	s_mov_b32 s35, exec_lo
	s_brev_b32 s34, 1
	s_delay_alu instid0(VALU_DEP_1)
	v_fmac_f32_e32 v2, v7, v1
.LBB31_27:                              ;   Parent Loop BB31_7 Depth=1
                                        ; =>  This Inner Loop Header: Depth=2
	s_wait_alu 0xfffe
	s_ctz_i32_b32 s36, s35
	s_wait_alu 0xfffe
	s_delay_alu instid0(VALU_DEP_1)
	v_readlane_b32 s37, v2, s36
	s_lshl_b32 s36, 1, s36
	s_wait_alu 0xfffe
	s_and_not1_b32 s35, s35, s36
	s_wait_alu 0xfffe
	s_cmp_lg_u32 s35, 0
	s_add_f32 s34, s34, s37
	s_cbranch_scc1 .LBB31_27
; %bb.28:                               ;   in Loop: Header=BB31_7 Depth=1
	v_mbcnt_lo_u32_b32 v1, exec_lo, 0
	s_mov_b32 s35, exec_lo
	s_delay_alu instid0(VALU_DEP_1)
	v_cmpx_eq_u32_e32 0, v1
	s_wait_alu 0xfffe
	s_xor_b32 s35, exec_lo, s35
	s_cbranch_execz .LBB31_6
; %bb.29:                               ;   in Loop: Header=BB31_7 Depth=1
	v_mov_b32_e32 v1, s34
	global_atomic_add_f32 v13, v1, s[30:31] offset:4 scope:SCOPE_DEV
	s_branch .LBB31_6
.LBB31_30:
	s_lshl_b64 s[2:3], s[16:17], 3
	s_lshl_b64 s[4:5], s[18:19], 3
	s_wait_alu 0xfffe
	s_add_nc_u64 s[2:3], s[8:9], s[2:3]
	s_add_nc_u64 s[4:5], s[8:9], s[4:5]
	s_clause 0x1
	s_load_b64 s[2:3], s[2:3], 0x0
	s_load_b64 s[4:5], s[4:5], 0x0
	s_wait_kmcnt 0x0
	v_add_co_u32 v1, vcc_lo, s2, v5
	s_wait_alu 0xfffd
	v_add_co_ci_u32_e64 v2, null, s3, v12, vcc_lo
	s_sub_nc_u64 s[4:5], s[4:5], s[24:25]
	s_mov_b32 s3, exec_lo
	s_wait_alu 0xfffe
	v_cmpx_gt_i64_e64 s[4:5], v[1:2]
	s_cbranch_execz .LBB31_39
; %bb.31:
	s_add_nc_u64 s[6:7], s[18:19], -1
	s_add_nc_u64 s[26:27], s[18:19], -2
	s_wait_alu 0xfffe
	v_cmp_lt_i64_e64 s2, s[16:17], s[6:7]
	s_cmp_lg_u64 s[16:17], s[26:27]
	s_mov_b32 s26, 0
	s_cselect_b32 s25, -1, 0
	s_wait_alu 0xfffe
	s_and_b32 s25, s2, s25
	s_branch .LBB31_33
.LBB31_32:                              ;   in Loop: Header=BB31_33 Depth=1
	s_wait_alu 0xfffe
	s_or_b32 exec_lo, exec_lo, s2
	v_add_co_u32 v1, vcc_lo, 0x100, v1
	s_wait_alu 0xfffd
	v_add_co_ci_u32_e64 v2, null, 0, v2, vcc_lo
	s_delay_alu instid0(VALU_DEP_1)
	v_cmp_le_i64_e32 vcc_lo, s[4:5], v[1:2]
	s_or_b32 s26, vcc_lo, s26
	s_wait_alu 0xfffe
	s_and_not1_b32 exec_lo, exec_lo, s26
	s_cbranch_execz .LBB31_39
.LBB31_33:                              ; =>This Loop Header: Depth=1
                                        ;     Child Loop BB31_35 Depth 2
	v_dual_mov_b32 v3, s16 :: v_dual_mov_b32 v4, s17
	v_dual_mov_b32 v9, s7 :: v_dual_mov_b32 v8, s6
	s_wait_alu 0xfffe
	s_and_not1_b32 vcc_lo, exec_lo, s25
	s_wait_alu 0xfffe
	s_cbranch_vccnz .LBB31_37
; %bb.34:                               ;   in Loop: Header=BB31_33 Depth=1
	v_dual_mov_b32 v3, s16 :: v_dual_mov_b32 v4, s17
	v_dual_mov_b32 v9, s7 :: v_dual_mov_b32 v8, s6
	s_mov_b32 s27, 0
.LBB31_35:                              ;   Parent Loop BB31_33 Depth=1
                                        ; =>  This Inner Loop Header: Depth=2
	s_delay_alu instid0(VALU_DEP_1) | instskip(SKIP_1) | instid1(VALU_DEP_2)
	v_add_co_u32 v5, vcc_lo, v8, v3
	s_wait_alu 0xfffd
	v_add_co_ci_u32_e64 v11, null, v9, v4, vcc_lo
	s_delay_alu instid0(VALU_DEP_1) | instskip(NEXT) | instid1(VALU_DEP_1)
	v_lshrrev_b32_e32 v10, 31, v11
	v_add_co_u32 v10, vcc_lo, v5, v10
	s_wait_alu 0xfffd
	v_add_co_ci_u32_e64 v11, null, 0, v11, vcc_lo
	s_delay_alu instid0(VALU_DEP_1) | instskip(NEXT) | instid1(VALU_DEP_1)
	v_ashrrev_i64 v[10:11], 1, v[10:11]
	v_lshlrev_b64_e32 v[12:13], 3, v[10:11]
	s_delay_alu instid0(VALU_DEP_1) | instskip(SKIP_1) | instid1(VALU_DEP_2)
	v_add_co_u32 v12, vcc_lo, s8, v12
	s_wait_alu 0xfffd
	v_add_co_ci_u32_e64 v13, null, s9, v13, vcc_lo
	global_load_b64 v[12:13], v[12:13], off
	s_wait_loadcnt 0x0
	v_sub_co_u32 v12, vcc_lo, v12, s24
	s_wait_alu 0xfffd
	v_subrev_co_ci_u32_e64 v13, null, 0, v13, vcc_lo
	s_delay_alu instid0(VALU_DEP_1) | instskip(SKIP_3) | instid1(VALU_DEP_2)
	v_cmp_lt_i64_e32 vcc_lo, v[1:2], v[12:13]
	s_wait_alu 0xfffd
	v_dual_cndmask_b32 v9, v9, v11 :: v_dual_cndmask_b32 v8, v8, v10
	v_dual_cndmask_b32 v4, v11, v4 :: v_dual_cndmask_b32 v3, v10, v3
	v_add_co_u32 v10, vcc_lo, v8, -1
	s_wait_alu 0xfffd
	s_delay_alu instid0(VALU_DEP_3) | instskip(NEXT) | instid1(VALU_DEP_3)
	v_add_co_ci_u32_e64 v11, null, -1, v9, vcc_lo
	v_cmp_ge_i64_e32 vcc_lo, v[3:4], v[8:9]
	s_delay_alu instid0(VALU_DEP_2)
	v_cmp_eq_u64_e64 s2, v[3:4], v[10:11]
	s_or_b32 s2, vcc_lo, s2
	s_wait_alu 0xfffe
	s_and_b32 s2, exec_lo, s2
	s_wait_alu 0xfffe
	s_or_b32 s27, s2, s27
	s_wait_alu 0xfffe
	s_and_not1_b32 exec_lo, exec_lo, s27
	s_cbranch_execnz .LBB31_35
; %bb.36:                               ;   in Loop: Header=BB31_33 Depth=1
	s_or_b32 exec_lo, exec_lo, s27
.LBB31_37:                              ;   in Loop: Header=BB31_33 Depth=1
	v_lshlrev_b64_e32 v[10:11], 3, v[8:9]
	s_mov_b32 s2, exec_lo
	s_delay_alu instid0(VALU_DEP_1) | instskip(SKIP_1) | instid1(VALU_DEP_2)
	v_add_co_u32 v10, vcc_lo, s8, v10
	s_wait_alu 0xfffd
	v_add_co_ci_u32_e64 v11, null, s9, v11, vcc_lo
	global_load_b64 v[12:13], v[10:11], off
	v_lshlrev_b64_e32 v[10:11], 3, v[1:2]
	s_delay_alu instid0(VALU_DEP_1) | instskip(SKIP_1) | instid1(VALU_DEP_2)
	v_add_co_u32 v15, vcc_lo, s10, v10
	s_wait_alu 0xfffd
	v_add_co_ci_u32_e64 v16, null, s11, v11, vcc_lo
	global_load_b64 v[15:16], v[15:16], off
	s_wait_loadcnt 0x1
	v_sub_co_u32 v12, vcc_lo, v12, s24
	s_wait_alu 0xfffd
	v_subrev_co_ci_u32_e64 v13, null, 0, v13, vcc_lo
	s_delay_alu instid0(VALU_DEP_1)
	v_cmp_lt_i64_e32 vcc_lo, v[1:2], v[12:13]
	s_wait_alu 0xfffd
	v_dual_cndmask_b32 v9, v9, v4 :: v_dual_cndmask_b32 v8, v8, v3
	s_wait_loadcnt 0x0
	v_sub_co_u32 v3, vcc_lo, v15, s24
	s_wait_alu 0xfffd
	v_subrev_co_ci_u32_e64 v4, null, 0, v16, vcc_lo
	s_delay_alu instid0(VALU_DEP_1)
	v_cmpx_ne_u64_e64 v[3:4], v[8:9]
	s_cbranch_execz .LBB31_32
; %bb.38:                               ;   in Loop: Header=BB31_33 Depth=1
	v_add_co_u32 v10, vcc_lo, s12, v10
	s_wait_alu 0xfffd
	v_add_co_ci_u32_e64 v11, null, s13, v11, vcc_lo
	v_lshlrev_b64_e32 v[8:9], 3, v[8:9]
	v_lshlrev_b64_e32 v[3:4], 3, v[3:4]
	global_load_b64 v[10:11], v[10:11], off
	v_add_co_u32 v8, vcc_lo, s14, v8
	s_wait_alu 0xfffd
	v_add_co_ci_u32_e64 v9, null, s15, v9, vcc_lo
	v_add_co_u32 v3, vcc_lo, s20, v3
	s_wait_alu 0xfffd
	v_add_co_ci_u32_e64 v4, null, s21, v4, vcc_lo
	global_load_b64 v[8:9], v[8:9], off
	s_wait_loadcnt 0x1
	v_cndmask_b32_e64 v5, v11, -v11, s33
	s_delay_alu instid0(VALU_DEP_1) | instskip(SKIP_1) | instid1(VALU_DEP_2)
	v_mul_f32_e32 v11, v6, v5
	v_mul_f32_e64 v5, v5, -v7
	v_fmac_f32_e32 v11, v7, v10
	s_delay_alu instid0(VALU_DEP_2) | instskip(SKIP_1) | instid1(VALU_DEP_2)
	v_fmac_f32_e32 v5, v6, v10
	s_wait_loadcnt 0x0
	v_mul_f32_e64 v10, v9, -v11
	s_delay_alu instid0(VALU_DEP_2) | instskip(NEXT) | instid1(VALU_DEP_2)
	v_mul_f32_e32 v9, v9, v5
	v_fmac_f32_e32 v10, v5, v8
	s_delay_alu instid0(VALU_DEP_2)
	v_fmac_f32_e32 v9, v11, v8
	s_clause 0x1
	global_atomic_add_f32 v[3:4], v10, off scope:SCOPE_DEV
	global_atomic_add_f32 v[3:4], v9, off offset:4 scope:SCOPE_DEV
	s_branch .LBB31_32
.LBB31_39:
	s_or_b32 exec_lo, exec_lo, s3
	s_mov_b32 s2, 0
.LBB31_40:
	s_wait_alu 0xfffe
	s_and_b32 vcc_lo, exec_lo, s2
	s_wait_alu 0xfffe
	s_cbranch_vccz .LBB31_141
; %bb.41:
	s_load_b32 s2, s[0:1], 0x6c
	s_mov_b32 s25, 0
	s_mov_b64 s[28:29], 0
	s_wait_alu 0xfffe
	s_mov_b32 s7, s25
	s_wait_kmcnt 0x0
	s_and_b32 s6, s2, 0xffff
	s_wait_alu 0xfffe
	v_cmp_lt_u64_e64 s2, s[6:7], s[22:23]
	s_and_b32 vcc_lo, exec_lo, s2
	s_wait_alu 0xfffe
	s_cbranch_vccnz .LBB31_43
; %bb.42:
	v_cvt_f32_u32_e32 v1, s22
	s_sub_co_i32 s3, 0, s22
	s_delay_alu instid0(VALU_DEP_1) | instskip(NEXT) | instid1(TRANS32_DEP_1)
	v_rcp_iflag_f32_e32 v1, v1
	v_mul_f32_e32 v1, 0x4f7ffffe, v1
	s_delay_alu instid0(VALU_DEP_1) | instskip(NEXT) | instid1(VALU_DEP_1)
	v_cvt_u32_f32_e32 v1, v1
	v_readfirstlane_b32 s2, v1
	s_wait_alu 0xfffe
	s_mul_i32 s3, s3, s2
	s_wait_alu 0xfffe
	s_mul_hi_u32 s3, s2, s3
	s_wait_alu 0xfffe
	s_add_co_i32 s2, s2, s3
	s_wait_alu 0xfffe
	s_mul_hi_u32 s2, s6, s2
	s_wait_alu 0xfffe
	s_mul_i32 s3, s2, s22
	s_add_co_i32 s4, s2, 1
	s_wait_alu 0xfffe
	s_sub_co_i32 s3, s6, s3
	s_wait_alu 0xfffe
	s_sub_co_i32 s5, s3, s22
	s_cmp_ge_u32 s3, s22
	s_cselect_b32 s2, s4, s2
	s_wait_alu 0xfffe
	s_cselect_b32 s3, s5, s3
	s_add_co_i32 s4, s2, 1
	s_wait_alu 0xfffe
	s_cmp_ge_u32 s3, s22
	s_cselect_b32 s28, s4, s2
.LBB31_43:
	s_lshl_b64 s[2:3], s[16:17], 3
	v_sub_co_u32 v1, s7, v0, s24
	s_wait_alu 0xfffe
	s_add_nc_u64 s[26:27], s[8:9], s[2:3]
	s_load_b64 s[4:5], s[26:27], 0x0
	s_load_b128 s[0:3], s[0:1], 0x8
	v_sub_co_ci_u32_e64 v2, null, 0, 0, s7
	s_wait_kmcnt 0x0
	v_add_co_u32 v4, vcc_lo, s4, v1
	s_wait_alu 0xfffd
	s_delay_alu instid0(VALU_DEP_2) | instskip(SKIP_1) | instid1(VALU_DEP_3)
	v_add_co_ci_u32_e64 v5, null, s5, v2, vcc_lo
	v_mov_b32_e32 v1, 0
	v_add_co_u32 v2, vcc_lo, 0x300, v4
	s_wait_alu 0xfffd
	s_delay_alu instid0(VALU_DEP_3) | instskip(NEXT) | instid1(VALU_DEP_1)
	v_add_co_ci_u32_e64 v3, null, 0, v5, vcc_lo
	v_cmp_le_i64_e32 vcc_lo, s[0:1], v[2:3]
	s_and_saveexec_b32 s0, vcc_lo
	s_wait_alu 0xfffe
	s_xor_b32 s7, exec_lo, s0
	s_cbranch_execz .LBB31_48
; %bb.44:
	s_lshl_b64 s[0:1], s[18:19], 3
	s_mov_b32 s29, exec_lo
	s_wait_alu 0xfffe
	s_add_nc_u64 s[0:1], s[8:9], s[0:1]
	s_load_b64 s[0:1], s[0:1], 0x0
	s_wait_kmcnt 0x0
	s_sub_nc_u64 s[30:31], s[0:1], s[4:5]
	s_delay_alu instid0(SALU_CYCLE_1)
	v_cmpx_gt_i64_e64 s[30:31], v[0:1]
	s_cbranch_execz .LBB31_47
; %bb.45:
	v_lshlrev_b64_e32 v[8:9], 3, v[4:5]
	v_dual_mov_b32 v12, v14 :: v_dual_mov_b32 v11, v1
	v_mov_b32_e32 v10, v0
	s_mov_b32 s34, 0
	s_delay_alu instid0(VALU_DEP_3) | instskip(SKIP_2) | instid1(VALU_DEP_2)
	v_add_co_u32 v8, s0, s12, v8
	s_wait_alu 0xf1ff
	v_add_co_ci_u32_e64 v9, null, s13, v9, s0
	v_add_co_u32 v8, s0, v8, 4
	s_wait_alu 0xf1ff
	s_delay_alu instid0(VALU_DEP_2)
	v_add_co_ci_u32_e64 v9, null, 0, v9, s0
.LBB31_46:                              ; =>This Inner Loop Header: Depth=1
	global_load_b64 v[15:16], v[8:9], off offset:-4
	v_add_co_u32 v10, s0, 0x100, v10
	s_wait_alu 0xf1ff
	v_add_co_ci_u32_e64 v11, null, 0, v11, s0
	v_add_co_u32 v8, s0, 0x800, v8
	s_wait_alu 0xf1ff
	v_add_co_ci_u32_e64 v9, null, 0, v9, s0
	s_delay_alu instid0(VALU_DEP_3) | instskip(SKIP_4) | instid1(VALU_DEP_1)
	v_cmp_le_i64_e64 s1, s[30:31], v[10:11]
	s_wait_alu 0xfffe
	s_or_b32 s34, s1, s34
	s_wait_loadcnt 0x0
	v_cndmask_b32_e64 v13, v16, -v16, s33
	v_mul_f32_e64 v16, v13, -v7
	v_mul_f32_e32 v17, v6, v13
	s_delay_alu instid0(VALU_DEP_2) | instskip(NEXT) | instid1(VALU_DEP_2)
	v_fmac_f32_e32 v16, v6, v15
	v_fmac_f32_e32 v17, v7, v15
	ds_store_b64 v12, v[16:17]
	v_add_nc_u32_e32 v12, 0x800, v12
	s_wait_alu 0xfffe
	s_and_not1_b32 exec_lo, exec_lo, s34
	s_cbranch_execnz .LBB31_46
.LBB31_47:
	s_or_b32 exec_lo, exec_lo, s29
                                        ; implicit-def: $vgpr6_vgpr7
.LBB31_48:
	s_wait_alu 0xfffe
	s_or_saveexec_b32 s1, s7
	v_lshlrev_b64_e32 v[8:9], 3, v[4:5]
	s_wait_alu 0xfffe
	s_xor_b32 exec_lo, exec_lo, s1
	s_cbranch_execz .LBB31_50
; %bb.49:
	s_delay_alu instid0(VALU_DEP_1)
	v_add_co_u32 v10, s0, s12, v8
	s_wait_alu 0xf1ff
	v_add_co_ci_u32_e64 v11, null, s13, v9, s0
	s_clause 0x3
	global_load_b64 v[12:13], v[10:11], off
	global_load_b64 v[15:16], v[10:11], off offset:2048
	global_load_b64 v[17:18], v[10:11], off offset:4096
	;; [unrolled: 1-line block ×3, first 2 shown]
	s_wait_loadcnt 0x3
	v_cndmask_b32_e64 v13, v13, -v13, s33
	s_wait_loadcnt 0x2
	v_cndmask_b32_e64 v16, v16, -v16, s33
	;; [unrolled: 2-line block ×4, first 2 shown]
	v_mul_f32_e64 v18, v13, -v7
	v_mul_f32_e32 v19, v6, v13
	v_mul_f32_e64 v20, v16, -v7
	v_mul_f32_e32 v21, v6, v16
	;; [unrolled: 2-line block ×4, first 2 shown]
	v_dual_fmac_f32 v18, v6, v12 :: v_dual_fmac_f32 v21, v7, v15
	v_dual_fmac_f32 v19, v7, v12 :: v_dual_fmac_f32 v20, v6, v15
	s_delay_alu instid0(VALU_DEP_3)
	v_dual_fmac_f32 v22, v6, v17 :: v_dual_fmac_f32 v25, v7, v10
	v_dual_fmac_f32 v23, v7, v17 :: v_dual_fmac_f32 v24, v6, v10
	ds_store_2addr_stride64_b64 v14, v[18:19], v[20:21] offset1:4
	ds_store_2addr_stride64_b64 v14, v[22:23], v[24:25] offset0:8 offset1:12
.LBB31_50:
	s_or_b32 exec_lo, exec_lo, s1
	v_lshl_add_u32 v15, v0, 3, 0x2000
	s_mov_b32 s1, exec_lo
	v_cmpx_gt_i64_e64 s[2:3], v[0:1]
	s_cbranch_execz .LBB31_53
; %bb.51:
	v_mov_b32_e32 v7, v1
	v_lshl_add_u32 v10, v0, 3, 0x2000
	v_dual_mov_b32 v11, 0 :: v_dual_mov_b32 v6, v0
	s_mov_b32 s7, 0
.LBB31_52:                              ; =>This Inner Loop Header: Depth=1
	s_delay_alu instid0(VALU_DEP_1)
	v_add_co_u32 v6, s0, 0x100, v6
	s_wait_alu 0xf1ff
	v_add_co_ci_u32_e64 v7, null, 0, v7, s0
	ds_store_2addr_b32 v10, v11, v11 offset1:1
	v_add_nc_u32_e32 v10, 0x800, v10
	v_cmp_le_i64_e64 s0, s[2:3], v[6:7]
	s_wait_alu 0xfffe
	s_or_b32 s7, s0, s7
	s_wait_alu 0xfffe
	s_and_not1_b32 exec_lo, exec_lo, s7
	s_cbranch_execnz .LBB31_52
.LBB31_53:
	s_wait_alu 0xfffe
	s_or_b32 exec_lo, exec_lo, s1
	v_cmp_ge_i64_e64 s7, s[18:19], s[2:3]
	s_sub_nc_u64 s[0:1], s[18:19], s[2:3]
	s_wait_storecnt 0x0
	s_wait_loadcnt_dscnt 0x0
	s_barrier_signal -1
	s_barrier_wait -1
	global_inv scope:SCOPE_SE
	s_and_b32 s7, s7, exec_lo
	s_wait_alu 0xfffe
	s_cselect_b32 s13, s1, 0
	s_cselect_b32 s12, s0, 0
	s_and_saveexec_b32 s0, vcc_lo
	s_wait_alu 0xfffe
	s_xor_b32 s7, exec_lo, s0
	s_cbranch_execz .LBB31_70
; %bb.54:
	s_lshl_b64 s[0:1], s[18:19], 3
	s_mov_b32 s29, exec_lo
	s_wait_alu 0xfffe
	s_add_nc_u64 s[0:1], s[8:9], s[0:1]
	s_load_b64 s[0:1], s[0:1], 0x0
	s_wait_kmcnt 0x0
	s_sub_nc_u64 s[30:31], s[0:1], s[4:5]
	s_wait_alu 0xfffe
	v_cmpx_gt_i64_e64 s[30:31], v[0:1]
	s_cbranch_execz .LBB31_69
; %bb.55:
	s_add_nc_u64 s[34:35], s[18:19], -2
	s_sub_nc_u64 s[36:37], s[0:1], s[24:25]
	s_wait_alu 0xfffe
	s_cmp_lg_u64 s[16:17], s[34:35]
	s_add_nc_u64 s[34:35], s[18:19], -1
	s_cselect_b32 s33, -1, 0
	s_mov_b64 s[38:39], 0
	s_mov_b32 s1, 0
	s_branch .LBB31_58
.LBB31_56:                              ;   in Loop: Header=BB31_58 Depth=1
	s_wait_alu 0xfffe
	s_or_b32 exec_lo, exec_lo, s0
.LBB31_57:                              ;   in Loop: Header=BB31_58 Depth=1
	s_delay_alu instid0(SALU_CYCLE_1)
	s_or_b32 exec_lo, exec_lo, s40
	v_lshlrev_b64_e32 v[2:3], 3, v[2:3]
	v_lshlrev_b32_e32 v11, 3, v10
	s_add_nc_u64 s[38:39], s[38:39], 0x100
	s_wait_alu 0xfffe
	v_add_co_u32 v7, s0, s38, v0
	s_delay_alu instid0(VALU_DEP_3)
	v_add_co_u32 v2, vcc_lo, s14, v2
	s_wait_alu 0xfffd
	v_add_co_ci_u32_e64 v3, null, s15, v3, vcc_lo
	ds_load_b32 v12, v11 offset:4
	s_wait_alu 0xf1ff
	v_add_co_ci_u32_e64 v8, null, s39, 0, s0
	global_load_b64 v[2:3], v[2:3], off
	v_cmp_le_i64_e32 vcc_lo, s[30:31], v[7:8]
	s_or_b32 s1, vcc_lo, s1
	s_wait_loadcnt_dscnt 0x0
	v_mul_f32_e64 v9, v3, -v12
	v_mul_f32_e32 v10, v3, v6
	s_delay_alu instid0(VALU_DEP_2) | instskip(NEXT) | instid1(VALU_DEP_2)
	v_fmac_f32_e32 v9, v6, v2
	v_fmac_f32_e32 v10, v12, v2
	ds_store_b64 v11, v[9:10]
	s_wait_alu 0xfffe
	s_and_not1_b32 exec_lo, exec_lo, s1
	s_cbranch_execz .LBB31_69
.LBB31_58:                              ; =>This Loop Header: Depth=1
                                        ;     Child Loop BB31_60 Depth 2
	v_add_co_u32 v6, vcc_lo, s38, v4
	s_wait_alu 0xfffd
	v_add_co_ci_u32_e64 v7, null, s39, v5, vcc_lo
	v_dual_mov_b32 v8, s16 :: v_dual_mov_b32 v9, s17
	s_wait_alu 0xfffe
	v_dual_mov_b32 v10, s34 :: v_dual_mov_b32 v11, s35
	s_and_not1_b32 vcc_lo, exec_lo, s33
	s_wait_alu 0xfffe
	s_cbranch_vccnz .LBB31_62
; %bb.59:                               ;   in Loop: Header=BB31_58 Depth=1
	v_dual_mov_b32 v8, s16 :: v_dual_mov_b32 v9, s17
	v_dual_mov_b32 v10, s34 :: v_dual_mov_b32 v11, s35
	s_mov_b32 s40, 0
.LBB31_60:                              ;   Parent Loop BB31_58 Depth=1
                                        ; =>  This Inner Loop Header: Depth=2
	s_delay_alu instid0(VALU_DEP_1) | instskip(SKIP_1) | instid1(VALU_DEP_2)
	v_add_co_u32 v2, vcc_lo, v10, v8
	s_wait_alu 0xfffd
	v_add_co_ci_u32_e64 v3, null, v11, v9, vcc_lo
	s_delay_alu instid0(VALU_DEP_1) | instskip(NEXT) | instid1(VALU_DEP_1)
	v_lshrrev_b32_e32 v12, 31, v3
	v_add_co_u32 v2, vcc_lo, v2, v12
	s_wait_alu 0xfffd
	v_add_co_ci_u32_e64 v3, null, 0, v3, vcc_lo
	s_delay_alu instid0(VALU_DEP_1) | instskip(NEXT) | instid1(VALU_DEP_1)
	v_ashrrev_i64 v[2:3], 1, v[2:3]
	v_lshlrev_b64_e32 v[12:13], 3, v[2:3]
	s_delay_alu instid0(VALU_DEP_1) | instskip(SKIP_1) | instid1(VALU_DEP_2)
	v_add_co_u32 v12, vcc_lo, s8, v12
	s_wait_alu 0xfffd
	v_add_co_ci_u32_e64 v13, null, s9, v13, vcc_lo
	global_load_b64 v[12:13], v[12:13], off
	s_wait_loadcnt 0x0
	v_sub_co_u32 v12, vcc_lo, v12, s24
	s_wait_alu 0xfffd
	v_subrev_co_ci_u32_e64 v13, null, 0, v13, vcc_lo
	s_delay_alu instid0(VALU_DEP_1) | instskip(SKIP_3) | instid1(VALU_DEP_2)
	v_cmp_lt_i64_e32 vcc_lo, v[6:7], v[12:13]
	s_wait_alu 0xfffd
	v_dual_cndmask_b32 v11, v11, v3 :: v_dual_cndmask_b32 v10, v10, v2
	v_dual_cndmask_b32 v9, v3, v9 :: v_dual_cndmask_b32 v8, v2, v8
	v_add_co_u32 v2, vcc_lo, v10, -1
	s_wait_alu 0xfffd
	s_delay_alu instid0(VALU_DEP_3) | instskip(NEXT) | instid1(VALU_DEP_3)
	v_add_co_ci_u32_e64 v3, null, -1, v11, vcc_lo
	v_cmp_ge_i64_e32 vcc_lo, v[8:9], v[10:11]
	s_delay_alu instid0(VALU_DEP_2)
	v_cmp_eq_u64_e64 s0, v[8:9], v[2:3]
	s_or_b32 s0, vcc_lo, s0
	s_wait_alu 0xfffe
	s_and_b32 s0, exec_lo, s0
	s_wait_alu 0xfffe
	s_or_b32 s40, s0, s40
	s_delay_alu instid0(SALU_CYCLE_1)
	s_and_not1_b32 exec_lo, exec_lo, s40
	s_cbranch_execnz .LBB31_60
; %bb.61:                               ;   in Loop: Header=BB31_58 Depth=1
	s_or_b32 exec_lo, exec_lo, s40
.LBB31_62:                              ;   in Loop: Header=BB31_58 Depth=1
	s_delay_alu instid0(VALU_DEP_1) | instskip(SKIP_1) | instid1(VALU_DEP_2)
	v_lshlrev_b64_e32 v[2:3], 3, v[10:11]
	v_lshlrev_b64_e32 v[12:13], 3, v[6:7]
	v_add_co_u32 v2, vcc_lo, s8, v2
	s_wait_alu 0xfffd
	s_delay_alu instid0(VALU_DEP_3) | instskip(NEXT) | instid1(VALU_DEP_3)
	v_add_co_ci_u32_e64 v3, null, s9, v3, vcc_lo
	v_add_co_u32 v12, vcc_lo, s10, v12
	s_wait_alu 0xfffd
	v_add_co_ci_u32_e64 v13, null, s11, v13, vcc_lo
	global_load_b64 v[2:3], v[2:3], off
	global_load_b64 v[12:13], v[12:13], off
	s_wait_loadcnt 0x1
	v_sub_co_u32 v2, vcc_lo, v2, s24
	s_wait_alu 0xfffd
	v_subrev_co_ci_u32_e64 v3, null, 0, v3, vcc_lo
	s_delay_alu instid0(VALU_DEP_1)
	v_cmp_lt_i64_e32 vcc_lo, v[6:7], v[2:3]
	s_wait_loadcnt 0x0
	v_sub_co_u32 v2, s0, v12, s24
	s_wait_alu 0xf1ff
	v_subrev_co_ci_u32_e64 v3, null, 0, v13, s0
	v_cmp_le_i64_e64 s0, s[36:37], v[6:7]
	s_wait_alu 0xfffd
	v_dual_cndmask_b32 v9, v11, v9 :: v_dual_cndmask_b32 v8, v10, v8
	v_add_co_u32 v10, null, s38, v0
                                        ; implicit-def: $vgpr6
	s_delay_alu instid0(VALU_DEP_2) | instskip(NEXT) | instid1(VALU_DEP_2)
	v_cmp_eq_u64_e32 vcc_lo, v[2:3], v[8:9]
	v_lshlrev_b32_e32 v11, 3, v10
	s_or_b32 s0, vcc_lo, s0
	s_wait_alu 0xfffe
	s_and_saveexec_b32 s40, s0
	s_delay_alu instid0(SALU_CYCLE_1)
	s_xor_b32 s0, exec_lo, s40
; %bb.63:                               ;   in Loop: Header=BB31_58 Depth=1
	ds_load_b32 v6, v11
                                        ; implicit-def: $vgpr11
                                        ; implicit-def: $vgpr8_vgpr9
; %bb.64:                               ;   in Loop: Header=BB31_58 Depth=1
	s_wait_alu 0xfffe
	s_and_not1_saveexec_b32 s40, s0
	s_cbranch_execz .LBB31_57
; %bb.65:                               ;   in Loop: Header=BB31_58 Depth=1
	v_cmp_gt_i64_e32 vcc_lo, s[12:13], v[2:3]
	v_cmp_le_i64_e64 s0, s[18:19], v[2:3]
	v_lshlrev_b64_e32 v[7:8], 3, v[8:9]
                                        ; implicit-def: $vgpr6
	s_or_b32 s0, vcc_lo, s0
	s_wait_alu 0xfffe
	s_and_saveexec_b32 s41, s0
	s_delay_alu instid0(SALU_CYCLE_1)
	s_xor_b32 s0, exec_lo, s41
	s_cbranch_execz .LBB31_67
; %bb.66:                               ;   in Loop: Header=BB31_58 Depth=1
	s_wait_dscnt 0x0
	v_add_co_u32 v6, vcc_lo, s14, v7
	s_wait_alu 0xfffd
	v_add_co_ci_u32_e64 v7, null, s15, v8, vcc_lo
	global_load_b64 v[8:9], v[6:7], off
	ds_load_b64 v[6:7], v11
	v_lshlrev_b64_e32 v[11:12], 3, v[2:3]
	s_delay_alu instid0(VALU_DEP_1) | instskip(SKIP_1) | instid1(VALU_DEP_2)
	v_add_co_u32 v11, vcc_lo, s20, v11
	s_wait_alu 0xfffd
	v_add_co_ci_u32_e64 v12, null, s21, v12, vcc_lo
	s_wait_loadcnt_dscnt 0x0
	v_mul_f32_e64 v13, v9, -v7
	v_mul_f32_e32 v9, v9, v6
	s_delay_alu instid0(VALU_DEP_2) | instskip(NEXT) | instid1(VALU_DEP_2)
	v_fmac_f32_e32 v13, v6, v8
	v_fmac_f32_e32 v9, v7, v8
                                        ; implicit-def: $vgpr7_vgpr8
	s_clause 0x1
	global_atomic_add_f32 v[11:12], v13, off scope:SCOPE_DEV
	global_atomic_add_f32 v[11:12], v9, off offset:4 scope:SCOPE_DEV
                                        ; implicit-def: $vgpr11
.LBB31_67:                              ;   in Loop: Header=BB31_58 Depth=1
	s_wait_alu 0xfffe
	s_and_not1_saveexec_b32 s0, s0
	s_cbranch_execz .LBB31_56
; %bb.68:                               ;   in Loop: Header=BB31_58 Depth=1
	s_wait_dscnt 0x0
	v_add_co_u32 v6, vcc_lo, s14, v7
	s_wait_alu 0xfffd
	v_add_co_ci_u32_e64 v7, null, s15, v8, vcc_lo
	global_load_b64 v[8:9], v[6:7], off
	ds_load_b64 v[6:7], v11
	v_subrev_nc_u32_e32 v11, s12, v2
	s_delay_alu instid0(VALU_DEP_1) | instskip(SKIP_2) | instid1(VALU_DEP_1)
	v_lshl_add_u32 v11, v11, 3, 0x2000
	s_wait_loadcnt_dscnt 0x0
	v_mul_f32_e64 v12, v9, -v7
	v_dual_mul_f32 v9, v9, v6 :: v_dual_fmac_f32 v12, v6, v8
	s_delay_alu instid0(VALU_DEP_1)
	v_fmac_f32_e32 v9, v7, v8
	ds_add_f32 v11, v12
	ds_add_f32 v11, v9 offset:4
	s_branch .LBB31_56
.LBB31_69:
	s_or_b32 exec_lo, exec_lo, s29
                                        ; implicit-def: $vgpr2_vgpr3
                                        ; implicit-def: $vgpr4
                                        ; implicit-def: $vgpr8_vgpr9
.LBB31_70:
	s_wait_alu 0xfffe
	s_and_not1_saveexec_b32 s1, s7
	s_cbranch_execz .LBB31_112
; %bb.71:
	s_add_nc_u64 s[30:31], s[18:19], -1
	s_add_nc_u64 s[34:35], s[18:19], -2
	v_dual_mov_b32 v10, s16 :: v_dual_mov_b32 v11, s17
	s_wait_alu 0xfffe
	v_dual_mov_b32 v12, s30 :: v_dual_mov_b32 v13, s31
	s_cmp_lg_u64 s[16:17], s[34:35]
	s_cselect_b32 s7, -1, 0
	s_cmp_eq_u64 s[16:17], s[34:35]
	s_cbranch_scc1 .LBB31_75
; %bb.72:
	v_dual_mov_b32 v10, s16 :: v_dual_mov_b32 v11, s17
	v_dual_mov_b32 v12, s30 :: v_dual_mov_b32 v13, s31
	s_mov_b32 s29, 0
.LBB31_73:                              ; =>This Inner Loop Header: Depth=1
	s_delay_alu instid0(VALU_DEP_1) | instskip(SKIP_1) | instid1(VALU_DEP_2)
	v_add_co_u32 v6, vcc_lo, v12, v10
	s_wait_alu 0xfffd
	v_add_co_ci_u32_e64 v7, null, v13, v11, vcc_lo
	s_delay_alu instid0(VALU_DEP_1) | instskip(NEXT) | instid1(VALU_DEP_1)
	v_lshrrev_b32_e32 v16, 31, v7
	v_add_co_u32 v6, vcc_lo, v6, v16
	s_wait_alu 0xfffd
	v_add_co_ci_u32_e64 v7, null, 0, v7, vcc_lo
	s_delay_alu instid0(VALU_DEP_1) | instskip(NEXT) | instid1(VALU_DEP_1)
	v_ashrrev_i64 v[6:7], 1, v[6:7]
	v_lshlrev_b64_e32 v[16:17], 3, v[6:7]
	s_delay_alu instid0(VALU_DEP_1) | instskip(SKIP_1) | instid1(VALU_DEP_2)
	v_add_co_u32 v16, vcc_lo, s8, v16
	s_wait_alu 0xfffd
	v_add_co_ci_u32_e64 v17, null, s9, v17, vcc_lo
	global_load_b64 v[16:17], v[16:17], off
	s_wait_loadcnt 0x0
	v_sub_co_u32 v16, vcc_lo, v16, s24
	s_wait_alu 0xfffd
	v_subrev_co_ci_u32_e64 v17, null, 0, v17, vcc_lo
	s_delay_alu instid0(VALU_DEP_1) | instskip(SKIP_3) | instid1(VALU_DEP_2)
	v_cmp_lt_i64_e32 vcc_lo, v[4:5], v[16:17]
	s_wait_alu 0xfffd
	v_dual_cndmask_b32 v13, v13, v7 :: v_dual_cndmask_b32 v12, v12, v6
	v_dual_cndmask_b32 v11, v7, v11 :: v_dual_cndmask_b32 v10, v6, v10
	v_add_co_u32 v6, vcc_lo, v12, -1
	s_wait_alu 0xfffd
	s_delay_alu instid0(VALU_DEP_3) | instskip(NEXT) | instid1(VALU_DEP_3)
	v_add_co_ci_u32_e64 v7, null, -1, v13, vcc_lo
	v_cmp_ge_i64_e32 vcc_lo, v[10:11], v[12:13]
	s_delay_alu instid0(VALU_DEP_2)
	v_cmp_eq_u64_e64 s0, v[10:11], v[6:7]
	s_or_b32 s0, vcc_lo, s0
	s_wait_alu 0xfffe
	s_and_b32 s0, exec_lo, s0
	s_wait_alu 0xfffe
	s_or_b32 s29, s0, s29
	s_wait_alu 0xfffe
	s_and_not1_b32 exec_lo, exec_lo, s29
	s_cbranch_execnz .LBB31_73
; %bb.74:
	s_or_b32 exec_lo, exec_lo, s29
.LBB31_75:
	v_lshlrev_b64_e32 v[6:7], 3, v[12:13]
	s_mov_b32 s29, exec_lo
	s_delay_alu instid0(VALU_DEP_1) | instskip(SKIP_1) | instid1(VALU_DEP_2)
	v_add_co_u32 v6, vcc_lo, s8, v6
	s_wait_alu 0xfffd
	v_add_co_ci_u32_e64 v7, null, s9, v7, vcc_lo
	global_load_b64 v[16:17], v[6:7], off
	v_add_co_u32 v6, vcc_lo, s10, v8
	s_wait_alu 0xfffd
	v_add_co_ci_u32_e64 v7, null, s11, v9, vcc_lo
	s_lshl_b64 s[10:11], s[18:19], 3
	s_wait_alu 0xfffe
	s_add_nc_u64 s[10:11], s[8:9], s[10:11]
	global_load_b64 v[8:9], v[6:7], off
	s_wait_loadcnt 0x1
	v_sub_co_u32 v16, vcc_lo, v16, s24
	s_wait_alu 0xfffd
	v_subrev_co_ci_u32_e64 v17, null, 0, v17, vcc_lo
	s_delay_alu instid0(VALU_DEP_1)
	v_cmp_lt_i64_e32 vcc_lo, v[4:5], v[16:17]
	s_wait_alu 0xfffd
	v_dual_cndmask_b32 v11, v13, v11 :: v_dual_cndmask_b32 v10, v12, v10
	s_wait_loadcnt 0x0
	v_sub_co_u32 v8, vcc_lo, v8, s24
	s_wait_alu 0xfffd
	v_subrev_co_ci_u32_e64 v9, null, 0, v9, vcc_lo
	s_delay_alu instid0(VALU_DEP_1)
	v_cmpx_ne_u64_e64 v[8:9], v[10:11]
	s_cbranch_execz .LBB31_81
; %bb.76:
	s_load_b64 s[34:35], s[10:11], 0x0
	s_wait_kmcnt 0x0
	s_sub_nc_u64 s[34:35], s[34:35], s[24:25]
	s_wait_alu 0xfffe
	v_cmp_gt_i64_e32 vcc_lo, s[34:35], v[4:5]
	s_and_b32 exec_lo, exec_lo, vcc_lo
	s_cbranch_execz .LBB31_81
; %bb.77:
	v_cmp_gt_i64_e32 vcc_lo, s[12:13], v[8:9]
	v_cmp_le_i64_e64 s0, s[18:19], v[8:9]
	v_lshlrev_b64_e32 v[10:11], 3, v[10:11]
	s_or_b32 s0, vcc_lo, s0
	s_wait_alu 0xfffe
	s_and_saveexec_b32 s33, s0
	s_wait_alu 0xfffe
	s_xor_b32 s0, exec_lo, s33
	s_cbranch_execz .LBB31_79
; %bb.78:
	v_add_co_u32 v10, vcc_lo, s14, v10
	s_wait_alu 0xfffd
	v_add_co_ci_u32_e64 v11, null, s15, v11, vcc_lo
	ds_load_b64 v[12:13], v14
	v_lshlrev_b64_e32 v[16:17], 3, v[8:9]
	global_load_b64 v[10:11], v[10:11], off
	v_add_co_u32 v16, vcc_lo, s20, v16
	s_wait_alu 0xfffd
	v_add_co_ci_u32_e64 v17, null, s21, v17, vcc_lo
	s_wait_loadcnt_dscnt 0x0
	v_mul_f32_e64 v18, v11, -v13
	s_delay_alu instid0(VALU_DEP_1) | instskip(NEXT) | instid1(VALU_DEP_1)
	v_dual_mul_f32 v11, v11, v12 :: v_dual_fmac_f32 v18, v12, v10
	v_fmac_f32_e32 v11, v13, v10
	s_clause 0x1
	global_atomic_add_f32 v[16:17], v18, off scope:SCOPE_DEV
	global_atomic_add_f32 v[16:17], v11, off offset:4 scope:SCOPE_DEV
                                        ; implicit-def: $vgpr10_vgpr11
.LBB31_79:
	s_wait_alu 0xfffe
	s_and_not1_saveexec_b32 s0, s0
	s_cbranch_execz .LBB31_81
; %bb.80:
	v_add_co_u32 v10, vcc_lo, s14, v10
	s_wait_alu 0xfffd
	v_add_co_ci_u32_e64 v11, null, s15, v11, vcc_lo
	ds_load_b64 v[12:13], v14
	v_subrev_nc_u32_e32 v16, s12, v8
	global_load_b64 v[10:11], v[10:11], off
	v_lshl_add_u32 v16, v16, 3, 0x2000
	s_wait_loadcnt_dscnt 0x0
	v_mul_f32_e64 v17, v11, -v13
	v_mul_f32_e32 v11, v11, v12
	s_delay_alu instid0(VALU_DEP_2) | instskip(NEXT) | instid1(VALU_DEP_2)
	v_fmac_f32_e32 v17, v12, v10
	v_fmac_f32_e32 v11, v13, v10
	ds_add_f32 v16, v17
	ds_add_f32 v16, v11 offset:4
.LBB31_81:
	s_or_b32 exec_lo, exec_lo, s29
	v_lshlrev_b64_e32 v[8:9], 3, v[8:9]
	ds_load_b64 v[12:13], v14
	v_cndmask_b32_e64 v16, 0, 1, s7
	v_add_co_u32 v8, vcc_lo, s14, v8
	s_wait_alu 0xfffd
	v_add_co_ci_u32_e64 v9, null, s15, v9, vcc_lo
	global_load_b64 v[10:11], v[8:9], off
	v_add_co_u32 v8, vcc_lo, 0x100, v4
	s_wait_alu 0xfffd
	v_add_co_ci_u32_e64 v9, null, 0, v5, vcc_lo
	s_and_not1_b32 vcc_lo, exec_lo, s7
	s_wait_loadcnt_dscnt 0x0
	v_mul_f32_e64 v17, v11, -v13
	s_delay_alu instid0(VALU_DEP_1) | instskip(NEXT) | instid1(VALU_DEP_1)
	v_dual_mul_f32 v18, v11, v12 :: v_dual_fmac_f32 v17, v12, v10
	v_fmac_f32_e32 v18, v13, v10
	v_mov_b32_e32 v10, s16
	v_dual_mov_b32 v12, s30 :: v_dual_mov_b32 v11, s17
	v_mov_b32_e32 v13, s31
	ds_store_b64 v14, v[17:18]
	s_wait_alu 0xfffe
	s_cbranch_vccnz .LBB31_85
; %bb.82:
	v_dual_mov_b32 v10, s16 :: v_dual_mov_b32 v11, s17
	v_dual_mov_b32 v12, s30 :: v_dual_mov_b32 v13, s31
	s_mov_b32 s7, 0
.LBB31_83:                              ; =>This Inner Loop Header: Depth=1
	s_delay_alu instid0(VALU_DEP_1) | instskip(SKIP_1) | instid1(VALU_DEP_2)
	v_add_co_u32 v17, vcc_lo, v12, v10
	s_wait_alu 0xfffd
	v_add_co_ci_u32_e64 v18, null, v13, v11, vcc_lo
	s_delay_alu instid0(VALU_DEP_1) | instskip(NEXT) | instid1(VALU_DEP_1)
	v_lshrrev_b32_e32 v19, 31, v18
	v_add_co_u32 v17, vcc_lo, v17, v19
	s_wait_alu 0xfffd
	v_add_co_ci_u32_e64 v18, null, 0, v18, vcc_lo
	s_delay_alu instid0(VALU_DEP_1) | instskip(NEXT) | instid1(VALU_DEP_1)
	v_ashrrev_i64 v[17:18], 1, v[17:18]
	v_lshlrev_b64_e32 v[19:20], 3, v[17:18]
	s_delay_alu instid0(VALU_DEP_1) | instskip(SKIP_1) | instid1(VALU_DEP_2)
	v_add_co_u32 v19, vcc_lo, s8, v19
	s_wait_alu 0xfffd
	v_add_co_ci_u32_e64 v20, null, s9, v20, vcc_lo
	global_load_b64 v[19:20], v[19:20], off
	s_wait_loadcnt 0x0
	v_sub_co_u32 v19, vcc_lo, v19, s24
	s_wait_alu 0xfffd
	v_subrev_co_ci_u32_e64 v20, null, 0, v20, vcc_lo
	s_delay_alu instid0(VALU_DEP_1) | instskip(SKIP_3) | instid1(VALU_DEP_2)
	v_cmp_lt_i64_e32 vcc_lo, v[8:9], v[19:20]
	s_wait_alu 0xfffd
	v_dual_cndmask_b32 v13, v13, v18 :: v_dual_cndmask_b32 v12, v12, v17
	v_dual_cndmask_b32 v11, v18, v11 :: v_dual_cndmask_b32 v10, v17, v10
	v_add_co_u32 v17, vcc_lo, v12, -1
	s_wait_alu 0xfffd
	s_delay_alu instid0(VALU_DEP_3) | instskip(NEXT) | instid1(VALU_DEP_3)
	v_add_co_ci_u32_e64 v18, null, -1, v13, vcc_lo
	v_cmp_ge_i64_e32 vcc_lo, v[10:11], v[12:13]
	s_delay_alu instid0(VALU_DEP_2)
	v_cmp_eq_u64_e64 s0, v[10:11], v[17:18]
	s_or_b32 s0, vcc_lo, s0
	s_wait_alu 0xfffe
	s_and_b32 s0, exec_lo, s0
	s_wait_alu 0xfffe
	s_or_b32 s7, s0, s7
	s_wait_alu 0xfffe
	s_and_not1_b32 exec_lo, exec_lo, s7
	s_cbranch_execnz .LBB31_83
; %bb.84:
	s_or_b32 exec_lo, exec_lo, s7
.LBB31_85:
	v_lshlrev_b64_e32 v[17:18], 3, v[12:13]
	s_mov_b32 s7, exec_lo
	s_delay_alu instid0(VALU_DEP_1) | instskip(SKIP_1) | instid1(VALU_DEP_2)
	v_add_co_u32 v17, vcc_lo, s8, v17
	s_wait_alu 0xfffd
	v_add_co_ci_u32_e64 v18, null, s9, v18, vcc_lo
	global_load_b64 v[17:18], v[17:18], off
	global_load_b64 v[19:20], v[6:7], off offset:2048
	s_wait_loadcnt 0x1
	v_sub_co_u32 v17, vcc_lo, v17, s24
	s_wait_alu 0xfffd
	v_subrev_co_ci_u32_e64 v18, null, 0, v18, vcc_lo
	s_delay_alu instid0(VALU_DEP_1)
	v_cmp_lt_i64_e32 vcc_lo, v[8:9], v[17:18]
	s_wait_alu 0xfffd
	v_dual_cndmask_b32 v13, v13, v11 :: v_dual_cndmask_b32 v12, v12, v10
	s_wait_loadcnt 0x0
	v_sub_co_u32 v10, vcc_lo, v19, s24
	s_wait_alu 0xfffd
	v_subrev_co_ci_u32_e64 v11, null, 0, v20, vcc_lo
	s_delay_alu instid0(VALU_DEP_1)
	v_cmpx_ne_u64_e64 v[10:11], v[12:13]
	s_cbranch_execz .LBB31_91
; %bb.86:
	s_load_b64 s[34:35], s[10:11], 0x0
	s_wait_kmcnt 0x0
	s_sub_nc_u64 s[34:35], s[34:35], s[24:25]
	s_wait_alu 0xfffe
	v_cmp_gt_i64_e32 vcc_lo, s[34:35], v[8:9]
	s_and_b32 exec_lo, exec_lo, vcc_lo
	s_cbranch_execz .LBB31_91
; %bb.87:
	v_cmp_gt_i64_e32 vcc_lo, s[12:13], v[10:11]
	v_cmp_le_i64_e64 s0, s[18:19], v[10:11]
	v_lshlrev_b64_e32 v[8:9], 3, v[12:13]
	s_or_b32 s0, vcc_lo, s0
	s_wait_alu 0xfffe
	s_and_saveexec_b32 s29, s0
	s_wait_alu 0xfffe
	s_xor_b32 s0, exec_lo, s29
	s_cbranch_execz .LBB31_89
; %bb.88:
	v_add_co_u32 v8, vcc_lo, s14, v8
	s_wait_alu 0xfffd
	v_add_co_ci_u32_e64 v9, null, s15, v9, vcc_lo
	ds_load_b64 v[12:13], v14 offset:2048
	v_lshlrev_b64_e32 v[17:18], 3, v[10:11]
	global_load_b64 v[8:9], v[8:9], off
	v_add_co_u32 v17, vcc_lo, s20, v17
	s_wait_alu 0xfffd
	v_add_co_ci_u32_e64 v18, null, s21, v18, vcc_lo
	s_wait_loadcnt_dscnt 0x0
	v_mul_f32_e64 v19, v9, -v13
	v_mul_f32_e32 v9, v9, v12
	s_delay_alu instid0(VALU_DEP_2) | instskip(NEXT) | instid1(VALU_DEP_2)
	v_fmac_f32_e32 v19, v12, v8
	v_fmac_f32_e32 v9, v13, v8
	s_clause 0x1
	global_atomic_add_f32 v[17:18], v19, off scope:SCOPE_DEV
	global_atomic_add_f32 v[17:18], v9, off offset:4 scope:SCOPE_DEV
                                        ; implicit-def: $vgpr8_vgpr9
.LBB31_89:
	s_wait_alu 0xfffe
	s_and_not1_saveexec_b32 s0, s0
	s_cbranch_execz .LBB31_91
; %bb.90:
	v_add_co_u32 v8, vcc_lo, s14, v8
	s_wait_alu 0xfffd
	v_add_co_ci_u32_e64 v9, null, s15, v9, vcc_lo
	ds_load_b64 v[12:13], v14 offset:2048
	v_subrev_nc_u32_e32 v17, s12, v10
	global_load_b64 v[8:9], v[8:9], off
	v_lshl_add_u32 v17, v17, 3, 0x2000
	s_wait_loadcnt_dscnt 0x0
	v_mul_f32_e64 v18, v9, -v13
	v_mul_f32_e32 v9, v9, v12
	s_delay_alu instid0(VALU_DEP_2) | instskip(NEXT) | instid1(VALU_DEP_2)
	v_fmac_f32_e32 v18, v12, v8
	v_fmac_f32_e32 v9, v13, v8
	ds_add_f32 v17, v18
	ds_add_f32 v17, v9 offset:4
.LBB31_91:
	s_wait_alu 0xfffe
	s_or_b32 exec_lo, exec_lo, s7
	v_lshlrev_b64_e32 v[8:9], 3, v[10:11]
	ds_load_b64 v[10:11], v14 offset:2048
	v_add_co_u32 v8, vcc_lo, s14, v8
	s_wait_alu 0xfffd
	v_add_co_ci_u32_e64 v9, null, s15, v9, vcc_lo
	v_add_co_u32 v4, vcc_lo, 0x200, v4
	s_wait_alu 0xfffd
	v_add_co_ci_u32_e64 v5, null, 0, v5, vcc_lo
	global_load_b64 v[8:9], v[8:9], off
	v_cmp_ne_u32_e32 vcc_lo, 1, v16
	s_and_b32 vcc_lo, exec_lo, vcc_lo
	s_wait_loadcnt_dscnt 0x0
	v_mul_f32_e64 v12, v9, -v11
	s_delay_alu instid0(VALU_DEP_1) | instskip(NEXT) | instid1(VALU_DEP_1)
	v_dual_mul_f32 v13, v9, v10 :: v_dual_fmac_f32 v12, v10, v8
	v_dual_fmac_f32 v13, v11, v8 :: v_dual_mov_b32 v8, s16
	v_dual_mov_b32 v9, s17 :: v_dual_mov_b32 v10, s30
	v_mov_b32_e32 v11, s31
	ds_store_b64 v14, v[12:13] offset:2048
	s_wait_alu 0xfffe
	s_cbranch_vccnz .LBB31_95
; %bb.92:
	v_dual_mov_b32 v8, s16 :: v_dual_mov_b32 v9, s17
	v_dual_mov_b32 v10, s30 :: v_dual_mov_b32 v11, s31
	s_mov_b32 s7, 0
.LBB31_93:                              ; =>This Inner Loop Header: Depth=1
	s_delay_alu instid0(VALU_DEP_1) | instskip(SKIP_1) | instid1(VALU_DEP_2)
	v_add_co_u32 v12, vcc_lo, v10, v8
	s_wait_alu 0xfffd
	v_add_co_ci_u32_e64 v13, null, v11, v9, vcc_lo
	s_delay_alu instid0(VALU_DEP_1) | instskip(NEXT) | instid1(VALU_DEP_1)
	v_lshrrev_b32_e32 v17, 31, v13
	v_add_co_u32 v12, vcc_lo, v12, v17
	s_wait_alu 0xfffd
	v_add_co_ci_u32_e64 v13, null, 0, v13, vcc_lo
	s_delay_alu instid0(VALU_DEP_1) | instskip(NEXT) | instid1(VALU_DEP_1)
	v_ashrrev_i64 v[12:13], 1, v[12:13]
	v_lshlrev_b64_e32 v[17:18], 3, v[12:13]
	s_delay_alu instid0(VALU_DEP_1) | instskip(SKIP_1) | instid1(VALU_DEP_2)
	v_add_co_u32 v17, vcc_lo, s8, v17
	s_wait_alu 0xfffd
	v_add_co_ci_u32_e64 v18, null, s9, v18, vcc_lo
	global_load_b64 v[17:18], v[17:18], off
	s_wait_loadcnt 0x0
	v_sub_co_u32 v17, vcc_lo, v17, s24
	s_wait_alu 0xfffd
	v_subrev_co_ci_u32_e64 v18, null, 0, v18, vcc_lo
	s_delay_alu instid0(VALU_DEP_1) | instskip(SKIP_3) | instid1(VALU_DEP_2)
	v_cmp_lt_i64_e32 vcc_lo, v[4:5], v[17:18]
	s_wait_alu 0xfffd
	v_dual_cndmask_b32 v11, v11, v13 :: v_dual_cndmask_b32 v10, v10, v12
	v_dual_cndmask_b32 v9, v13, v9 :: v_dual_cndmask_b32 v8, v12, v8
	v_add_co_u32 v12, vcc_lo, v10, -1
	s_wait_alu 0xfffd
	s_delay_alu instid0(VALU_DEP_3) | instskip(NEXT) | instid1(VALU_DEP_3)
	v_add_co_ci_u32_e64 v13, null, -1, v11, vcc_lo
	v_cmp_ge_i64_e32 vcc_lo, v[8:9], v[10:11]
	s_delay_alu instid0(VALU_DEP_2)
	v_cmp_eq_u64_e64 s0, v[8:9], v[12:13]
	s_or_b32 s0, vcc_lo, s0
	s_wait_alu 0xfffe
	s_and_b32 s0, exec_lo, s0
	s_wait_alu 0xfffe
	s_or_b32 s7, s0, s7
	s_wait_alu 0xfffe
	s_and_not1_b32 exec_lo, exec_lo, s7
	s_cbranch_execnz .LBB31_93
; %bb.94:
	s_or_b32 exec_lo, exec_lo, s7
.LBB31_95:
	v_lshlrev_b64_e32 v[12:13], 3, v[10:11]
	s_mov_b32 s7, exec_lo
	s_delay_alu instid0(VALU_DEP_1) | instskip(SKIP_1) | instid1(VALU_DEP_2)
	v_add_co_u32 v12, vcc_lo, s8, v12
	s_wait_alu 0xfffd
	v_add_co_ci_u32_e64 v13, null, s9, v13, vcc_lo
	global_load_b64 v[12:13], v[12:13], off
	global_load_b64 v[17:18], v[6:7], off offset:4096
	s_wait_loadcnt 0x1
	v_sub_co_u32 v12, vcc_lo, v12, s24
	s_wait_alu 0xfffd
	v_subrev_co_ci_u32_e64 v13, null, 0, v13, vcc_lo
	s_delay_alu instid0(VALU_DEP_1)
	v_cmp_lt_i64_e32 vcc_lo, v[4:5], v[12:13]
	s_wait_alu 0xfffd
	v_dual_cndmask_b32 v11, v11, v9 :: v_dual_cndmask_b32 v10, v10, v8
	s_wait_loadcnt 0x0
	v_sub_co_u32 v8, vcc_lo, v17, s24
	s_wait_alu 0xfffd
	v_subrev_co_ci_u32_e64 v9, null, 0, v18, vcc_lo
	s_delay_alu instid0(VALU_DEP_1)
	v_cmpx_ne_u64_e64 v[8:9], v[10:11]
	s_cbranch_execz .LBB31_101
; %bb.96:
	s_load_b64 s[34:35], s[10:11], 0x0
	s_wait_kmcnt 0x0
	s_sub_nc_u64 s[34:35], s[34:35], s[24:25]
	s_wait_alu 0xfffe
	v_cmp_gt_i64_e32 vcc_lo, s[34:35], v[4:5]
	s_and_b32 exec_lo, exec_lo, vcc_lo
	s_cbranch_execz .LBB31_101
; %bb.97:
	v_cmp_gt_i64_e32 vcc_lo, s[12:13], v[8:9]
	v_cmp_le_i64_e64 s0, s[18:19], v[8:9]
	v_lshlrev_b64_e32 v[4:5], 3, v[10:11]
	s_or_b32 s0, vcc_lo, s0
	s_wait_alu 0xfffe
	s_and_saveexec_b32 s29, s0
	s_wait_alu 0xfffe
	s_xor_b32 s0, exec_lo, s29
	s_cbranch_execz .LBB31_99
; %bb.98:
	v_add_co_u32 v4, vcc_lo, s14, v4
	s_wait_alu 0xfffd
	v_add_co_ci_u32_e64 v5, null, s15, v5, vcc_lo
	ds_load_b64 v[10:11], v14 offset:4096
	v_lshlrev_b64_e32 v[12:13], 3, v[8:9]
	global_load_b64 v[4:5], v[4:5], off
	v_add_co_u32 v12, vcc_lo, s20, v12
	s_wait_alu 0xfffd
	v_add_co_ci_u32_e64 v13, null, s21, v13, vcc_lo
	s_wait_loadcnt_dscnt 0x0
	v_mul_f32_e64 v17, v5, -v11
	v_mul_f32_e32 v5, v5, v10
	s_delay_alu instid0(VALU_DEP_2) | instskip(NEXT) | instid1(VALU_DEP_2)
	v_fmac_f32_e32 v17, v10, v4
	v_fmac_f32_e32 v5, v11, v4
	s_clause 0x1
	global_atomic_add_f32 v[12:13], v17, off scope:SCOPE_DEV
	global_atomic_add_f32 v[12:13], v5, off offset:4 scope:SCOPE_DEV
                                        ; implicit-def: $vgpr4_vgpr5
.LBB31_99:
	s_wait_alu 0xfffe
	s_and_not1_saveexec_b32 s0, s0
	s_cbranch_execz .LBB31_101
; %bb.100:
	v_add_co_u32 v4, vcc_lo, s14, v4
	s_wait_alu 0xfffd
	v_add_co_ci_u32_e64 v5, null, s15, v5, vcc_lo
	ds_load_b64 v[10:11], v14 offset:4096
	v_subrev_nc_u32_e32 v12, s12, v8
	global_load_b64 v[4:5], v[4:5], off
	v_lshl_add_u32 v12, v12, 3, 0x2000
	s_wait_loadcnt_dscnt 0x0
	v_mul_f32_e64 v13, v5, -v11
	v_mul_f32_e32 v5, v5, v10
	s_delay_alu instid0(VALU_DEP_2) | instskip(NEXT) | instid1(VALU_DEP_2)
	v_fmac_f32_e32 v13, v10, v4
	v_fmac_f32_e32 v5, v11, v4
	ds_add_f32 v12, v13
	ds_add_f32 v12, v5 offset:4
.LBB31_101:
	s_wait_alu 0xfffe
	s_or_b32 exec_lo, exec_lo, s7
	v_lshlrev_b64_e32 v[4:5], 3, v[8:9]
	ds_load_b64 v[8:9], v14 offset:4096
	v_add_co_u32 v4, vcc_lo, s14, v4
	s_wait_alu 0xfffd
	v_add_co_ci_u32_e64 v5, null, s15, v5, vcc_lo
	v_cmp_ne_u32_e32 vcc_lo, 1, v16
	global_load_b64 v[4:5], v[4:5], off
	s_and_b32 vcc_lo, exec_lo, vcc_lo
	s_wait_loadcnt_dscnt 0x0
	v_mul_f32_e64 v10, v5, -v9
	v_mul_f32_e32 v11, v5, v8
	s_delay_alu instid0(VALU_DEP_2) | instskip(NEXT) | instid1(VALU_DEP_2)
	v_fmac_f32_e32 v10, v8, v4
	v_dual_fmac_f32 v11, v9, v4 :: v_dual_mov_b32 v8, s30
	v_dual_mov_b32 v4, s16 :: v_dual_mov_b32 v5, s17
	v_mov_b32_e32 v9, s31
	ds_store_b64 v14, v[10:11] offset:4096
	s_wait_alu 0xfffe
	s_cbranch_vccnz .LBB31_105
; %bb.102:
	v_dual_mov_b32 v4, s16 :: v_dual_mov_b32 v5, s17
	v_dual_mov_b32 v8, s30 :: v_dual_mov_b32 v9, s31
	s_mov_b32 s7, 0
.LBB31_103:                             ; =>This Inner Loop Header: Depth=1
	s_delay_alu instid0(VALU_DEP_1) | instskip(SKIP_1) | instid1(VALU_DEP_2)
	v_add_co_u32 v10, vcc_lo, v8, v4
	s_wait_alu 0xfffd
	v_add_co_ci_u32_e64 v11, null, v9, v5, vcc_lo
	s_delay_alu instid0(VALU_DEP_1) | instskip(NEXT) | instid1(VALU_DEP_1)
	v_lshrrev_b32_e32 v12, 31, v11
	v_add_co_u32 v10, vcc_lo, v10, v12
	s_wait_alu 0xfffd
	v_add_co_ci_u32_e64 v11, null, 0, v11, vcc_lo
	s_delay_alu instid0(VALU_DEP_1) | instskip(NEXT) | instid1(VALU_DEP_1)
	v_ashrrev_i64 v[10:11], 1, v[10:11]
	v_lshlrev_b64_e32 v[12:13], 3, v[10:11]
	s_delay_alu instid0(VALU_DEP_1) | instskip(SKIP_1) | instid1(VALU_DEP_2)
	v_add_co_u32 v12, vcc_lo, s8, v12
	s_wait_alu 0xfffd
	v_add_co_ci_u32_e64 v13, null, s9, v13, vcc_lo
	global_load_b64 v[12:13], v[12:13], off
	s_wait_loadcnt 0x0
	v_sub_co_u32 v12, vcc_lo, v12, s24
	s_wait_alu 0xfffd
	v_subrev_co_ci_u32_e64 v13, null, 0, v13, vcc_lo
	s_delay_alu instid0(VALU_DEP_1) | instskip(SKIP_3) | instid1(VALU_DEP_2)
	v_cmp_lt_i64_e32 vcc_lo, v[2:3], v[12:13]
	s_wait_alu 0xfffd
	v_dual_cndmask_b32 v9, v9, v11 :: v_dual_cndmask_b32 v8, v8, v10
	v_dual_cndmask_b32 v5, v11, v5 :: v_dual_cndmask_b32 v4, v10, v4
	v_add_co_u32 v10, vcc_lo, v8, -1
	s_wait_alu 0xfffd
	s_delay_alu instid0(VALU_DEP_3) | instskip(NEXT) | instid1(VALU_DEP_3)
	v_add_co_ci_u32_e64 v11, null, -1, v9, vcc_lo
	v_cmp_ge_i64_e32 vcc_lo, v[4:5], v[8:9]
	s_delay_alu instid0(VALU_DEP_2)
	v_cmp_eq_u64_e64 s0, v[4:5], v[10:11]
	s_or_b32 s0, vcc_lo, s0
	s_wait_alu 0xfffe
	s_and_b32 s0, exec_lo, s0
	s_wait_alu 0xfffe
	s_or_b32 s7, s0, s7
	s_wait_alu 0xfffe
	s_and_not1_b32 exec_lo, exec_lo, s7
	s_cbranch_execnz .LBB31_103
; %bb.104:
	s_or_b32 exec_lo, exec_lo, s7
.LBB31_105:
	v_lshlrev_b64_e32 v[10:11], 3, v[8:9]
	s_mov_b32 s7, exec_lo
	s_delay_alu instid0(VALU_DEP_1) | instskip(SKIP_1) | instid1(VALU_DEP_2)
	v_add_co_u32 v10, vcc_lo, s8, v10
	s_wait_alu 0xfffd
	v_add_co_ci_u32_e64 v11, null, s9, v11, vcc_lo
	global_load_b64 v[10:11], v[10:11], off
	global_load_b64 v[12:13], v[6:7], off offset:6144
	s_wait_loadcnt 0x1
	v_sub_co_u32 v6, vcc_lo, v10, s24
	s_wait_alu 0xfffd
	v_subrev_co_ci_u32_e64 v7, null, 0, v11, vcc_lo
	s_delay_alu instid0(VALU_DEP_1)
	v_cmp_lt_i64_e32 vcc_lo, v[2:3], v[6:7]
	s_wait_alu 0xfffd
	v_dual_cndmask_b32 v7, v9, v5 :: v_dual_cndmask_b32 v6, v8, v4
	s_wait_loadcnt 0x0
	v_sub_co_u32 v4, vcc_lo, v12, s24
	s_wait_alu 0xfffd
	v_subrev_co_ci_u32_e64 v5, null, 0, v13, vcc_lo
	s_delay_alu instid0(VALU_DEP_1)
	v_cmpx_ne_u64_e64 v[4:5], v[6:7]
	s_cbranch_execz .LBB31_111
; %bb.106:
	s_load_b64 s[10:11], s[10:11], 0x0
	s_wait_kmcnt 0x0
	s_sub_nc_u64 s[10:11], s[10:11], s[24:25]
	s_wait_alu 0xfffe
	v_cmp_gt_i64_e32 vcc_lo, s[10:11], v[2:3]
	s_and_b32 exec_lo, exec_lo, vcc_lo
	s_cbranch_execz .LBB31_111
; %bb.107:
	v_cmp_gt_i64_e32 vcc_lo, s[12:13], v[4:5]
	v_cmp_le_i64_e64 s0, s[18:19], v[4:5]
	v_lshlrev_b64_e32 v[2:3], 3, v[6:7]
	s_or_b32 s0, vcc_lo, s0
	s_wait_alu 0xfffe
	s_and_saveexec_b32 s10, s0
	s_wait_alu 0xfffe
	s_xor_b32 s0, exec_lo, s10
	s_cbranch_execz .LBB31_109
; %bb.108:
	v_add_co_u32 v2, vcc_lo, s14, v2
	s_wait_alu 0xfffd
	v_add_co_ci_u32_e64 v3, null, s15, v3, vcc_lo
	ds_load_b64 v[6:7], v14 offset:6144
	v_lshlrev_b64_e32 v[8:9], 3, v[4:5]
	global_load_b64 v[2:3], v[2:3], off
	v_add_co_u32 v8, vcc_lo, s20, v8
	s_wait_alu 0xfffd
	v_add_co_ci_u32_e64 v9, null, s21, v9, vcc_lo
	s_wait_loadcnt_dscnt 0x0
	v_mul_f32_e64 v10, v3, -v7
	v_mul_f32_e32 v3, v3, v6
	s_delay_alu instid0(VALU_DEP_2) | instskip(NEXT) | instid1(VALU_DEP_2)
	v_fmac_f32_e32 v10, v6, v2
	v_fmac_f32_e32 v3, v7, v2
	s_clause 0x1
	global_atomic_add_f32 v[8:9], v10, off scope:SCOPE_DEV
	global_atomic_add_f32 v[8:9], v3, off offset:4 scope:SCOPE_DEV
                                        ; implicit-def: $vgpr2_vgpr3
.LBB31_109:
	s_wait_alu 0xfffe
	s_and_not1_saveexec_b32 s0, s0
	s_cbranch_execz .LBB31_111
; %bb.110:
	v_add_co_u32 v2, vcc_lo, s14, v2
	s_wait_alu 0xfffd
	v_add_co_ci_u32_e64 v3, null, s15, v3, vcc_lo
	ds_load_b64 v[6:7], v14 offset:6144
	v_subrev_nc_u32_e32 v8, s12, v4
	global_load_b64 v[2:3], v[2:3], off
	v_lshl_add_u32 v8, v8, 3, 0x2000
	s_wait_loadcnt_dscnt 0x0
	v_mul_f32_e64 v9, v3, -v7
	v_mul_f32_e32 v3, v3, v6
	s_delay_alu instid0(VALU_DEP_2) | instskip(NEXT) | instid1(VALU_DEP_2)
	v_fmac_f32_e32 v9, v6, v2
	v_fmac_f32_e32 v3, v7, v2
	ds_add_f32 v8, v9
	ds_add_f32 v8, v3 offset:4
.LBB31_111:
	s_wait_alu 0xfffe
	s_or_b32 exec_lo, exec_lo, s7
	v_lshlrev_b64_e32 v[2:3], 3, v[4:5]
	ds_load_b64 v[4:5], v14 offset:6144
	v_add_co_u32 v2, vcc_lo, s14, v2
	s_wait_alu 0xfffd
	v_add_co_ci_u32_e64 v3, null, s15, v3, vcc_lo
	global_load_b64 v[2:3], v[2:3], off
	s_wait_loadcnt_dscnt 0x0
	v_mul_f32_e64 v6, v3, -v5
	s_delay_alu instid0(VALU_DEP_1) | instskip(NEXT) | instid1(VALU_DEP_1)
	v_dual_mul_f32 v7, v3, v4 :: v_dual_fmac_f32 v6, v4, v2
	v_fmac_f32_e32 v7, v5, v2
	ds_store_b64 v14, v[6:7] offset:6144
.LBB31_112:
	s_wait_alu 0xfffe
	s_or_b32 exec_lo, exec_lo, s1
	v_cmp_lt_i64_e64 s0, s[18:19], s[2:3]
	s_mov_b32 s1, exec_lo
	s_wait_storecnt 0x0
	s_wait_loadcnt_dscnt 0x0
	s_barrier_signal -1
	s_barrier_wait -1
	global_inv scope:SCOPE_SE
	s_and_b32 s0, s0, exec_lo
	s_cselect_b32 s13, s19, s3
	s_cselect_b32 s12, s18, s2
	s_wait_alu 0xfffe
	s_sub_nc_u64 s[10:11], s[12:13], s[22:23]
	s_wait_alu 0xfffe
	v_cmpx_gt_i64_e64 s[10:11], v[0:1]
	s_cbranch_execz .LBB31_115
; %bb.113:
	v_cmp_gt_i64_e64 s0, s[18:19], s[2:3]
	v_dual_mov_b32 v5, v1 :: v_dual_lshlrev_b32 v2, 3, v0
	v_mov_b32_e32 v4, v0
	s_and_b32 s0, s0, exec_lo
	s_cselect_b32 s15, s19, s3
	s_cselect_b32 s14, s18, s2
	s_lshl_b64 s[2:3], s[2:3], 3
	s_wait_alu 0xfffe
	s_lshl_b64 s[14:15], s[14:15], 3
	s_wait_alu 0xfffe
	v_add_co_u32 v2, s0, s14, v2
	s_wait_alu 0xf1ff
	v_add_co_ci_u32_e64 v3, null, s15, 0, s0
	s_delay_alu instid0(VALU_DEP_2) | instskip(SKIP_1) | instid1(VALU_DEP_2)
	v_sub_co_u32 v2, vcc_lo, v2, s2
	s_wait_alu 0xfffd
	v_subrev_co_ci_u32_e64 v3, null, s3, v3, vcc_lo
	s_mov_b32 s2, 0
	v_or_b32_e32 v2, 4, v2
	s_delay_alu instid0(VALU_DEP_1)
	v_add_co_u32 v2, vcc_lo, s20, v2
	s_wait_alu 0xfffd
	v_add_co_ci_u32_e64 v3, null, s21, v3, vcc_lo
.LBB31_114:                             ; =>This Inner Loop Header: Depth=1
	ds_load_2addr_b32 v[6:7], v15 offset1:1
	v_add_co_u32 v4, vcc_lo, 0x100, v4
	s_wait_alu 0xfffd
	v_add_co_ci_u32_e64 v5, null, 0, v5, vcc_lo
	v_add_nc_u32_e32 v15, 0x800, v15
	s_wait_dscnt 0x0
	s_clause 0x1
	global_atomic_add_f32 v[2:3], v6, off offset:-4 scope:SCOPE_DEV
	global_atomic_add_f32 v[2:3], v7, off scope:SCOPE_DEV
	v_cmp_le_i64_e32 vcc_lo, s[10:11], v[4:5]
	v_add_co_u32 v2, s0, 0x800, v2
	s_wait_alu 0xf1ff
	v_add_co_ci_u32_e64 v3, null, 0, v3, s0
	s_wait_alu 0xfffe
	s_or_b32 s2, vcc_lo, s2
	s_wait_alu 0xfffe
	s_and_not1_b32 exec_lo, exec_lo, s2
	s_cbranch_execnz .LBB31_114
.LBB31_115:
	s_or_b32 exec_lo, exec_lo, s1
	s_add_co_i32 s0, s28, -1
	v_add_co_u32 v6, s2, s16, v0
	s_wait_alu 0xfffe
	s_ashr_i32 s1, s0, 1
	v_add_co_ci_u32_e64 v7, null, s17, 0, s2
	s_wait_alu 0xfffe
	s_or_b32 s0, s1, s0
	s_wait_loadcnt 0x0
	s_wait_storecnt 0x0
	s_wait_alu 0xfffe
	s_ashr_i32 s1, s0, 2
	s_barrier_signal -1
	s_wait_alu 0xfffe
	s_or_b32 s0, s1, s0
	s_barrier_wait -1
	s_wait_alu 0xfffe
	s_ashr_i32 s1, s0, 4
	global_inv scope:SCOPE_SE
	s_wait_alu 0xfffe
	s_or_b32 s0, s1, s0
	s_wait_alu 0xfffe
	s_ashr_i32 s1, s0, 8
	s_wait_alu 0xfffe
	s_or_b32 s0, s1, s0
	s_wait_alu 0xfffe
	s_ashr_i32 s1, s0, 16
	s_wait_alu 0xfffe
	s_or_b32 s1, s1, s0
	s_mov_b32 s0, -1
	s_wait_alu 0xfffe
	s_add_co_i32 s1, s1, 1
	s_wait_alu 0xfffe
	s_ashr_i32 s2, s1, 1
	s_wait_alu 0xfffe
	s_cmp_gt_i32 s2, 1
	s_cbranch_scc1 .LBB31_124
; %bb.116:
	s_mov_b32 s0, exec_lo
	v_cmpx_gt_i64_e64 s[18:19], v[6:7]
	s_cbranch_execz .LBB31_123
; %bb.117:
	s_sub_co_i32 s1, s12, s18
	v_dual_mov_b32 v9, v7 :: v_dual_mov_b32 v8, v6
	s_lshl_b32 s7, s4, 3
	s_wait_alu 0xfffe
	s_lshl_b32 s1, s1, 3
	s_mov_b32 s3, 0
	s_wait_alu 0xfffe
	s_addk_co_i32 s1, 0x2000
	s_sub_co_i32 s7, 0, s7
	s_branch .LBB31_119
.LBB31_118:                             ;   in Loop: Header=BB31_119 Depth=1
	s_wait_alu 0xfffe
	s_or_b32 exec_lo, exec_lo, s11
	v_lshl_add_u32 v2, v8, 3, s1
	v_add_co_u32 v4, vcc_lo, s20, v10
	s_wait_alu 0xfffd
	v_add_co_ci_u32_e64 v5, null, s21, v11, vcc_lo
	ds_load_2addr_b32 v[2:3], v2 offset1:1
	v_add_co_u32 v8, vcc_lo, v8, s6
	s_wait_alu 0xfffd
	v_add_co_ci_u32_e64 v9, null, 0, v9, vcc_lo
	s_delay_alu instid0(VALU_DEP_1)
	v_cmp_le_i64_e32 vcc_lo, s[18:19], v[8:9]
	s_or_b32 s3, vcc_lo, s3
	s_wait_dscnt 0x0
	v_dual_add_f32 v2, v16, v2 :: v_dual_add_f32 v3, v15, v3
	s_clause 0x1
	global_atomic_add_f32 v[4:5], v2, off scope:SCOPE_DEV
	global_atomic_add_f32 v[4:5], v3, off offset:4 scope:SCOPE_DEV
	s_wait_alu 0xfffe
	s_and_not1_b32 exec_lo, exec_lo, s3
	s_cbranch_execz .LBB31_123
.LBB31_119:                             ; =>This Loop Header: Depth=1
                                        ;     Child Loop BB31_121 Depth 2
	v_lshlrev_b64_e32 v[10:11], 3, v[8:9]
	v_dual_mov_b32 v15, 0 :: v_dual_mov_b32 v16, 0
	s_mov_b32 s11, exec_lo
	s_delay_alu instid0(VALU_DEP_2) | instskip(SKIP_1) | instid1(VALU_DEP_3)
	v_add_co_u32 v2, vcc_lo, s8, v10
	s_wait_alu 0xfffd
	v_add_co_ci_u32_e64 v3, null, s9, v11, vcc_lo
	global_load_b128 v[2:5], v[2:3], off
	s_wait_loadcnt 0x0
	v_cmpx_lt_i64_e64 v[2:3], v[4:5]
	s_cbranch_execz .LBB31_118
; %bb.120:                              ;   in Loop: Header=BB31_119 Depth=1
	v_sub_co_u32 v4, vcc_lo, v4, s4
	s_wait_alu 0xfffd
	v_subrev_co_ci_u32_e64 v5, null, s5, v5, vcc_lo
	v_sub_co_u32 v12, vcc_lo, v2, s4
	s_wait_alu 0xfffd
	v_subrev_co_ci_u32_e64 v13, null, s5, v3, vcc_lo
	s_wait_alu 0xfffe
	v_lshl_add_u32 v2, v2, 3, s7
	v_dual_mov_b32 v15, 0 :: v_dual_mov_b32 v16, 0
	s_mov_b32 s12, 0
.LBB31_121:                             ;   Parent Loop BB31_119 Depth=1
                                        ; =>  This Inner Loop Header: Depth=2
	ds_load_b64 v[17:18], v2
	v_add_co_u32 v12, vcc_lo, v12, 1
	s_wait_alu 0xfffd
	v_add_co_ci_u32_e64 v13, null, 0, v13, vcc_lo
	v_add_nc_u32_e32 v2, 8, v2
	s_delay_alu instid0(VALU_DEP_2)
	v_cmp_ge_i64_e32 vcc_lo, v[12:13], v[4:5]
	s_wait_alu 0xfffe
	s_or_b32 s12, vcc_lo, s12
	s_wait_dscnt 0x0
	v_dual_add_f32 v16, v16, v17 :: v_dual_add_f32 v15, v15, v18
	s_wait_alu 0xfffe
	s_and_not1_b32 exec_lo, exec_lo, s12
	s_cbranch_execnz .LBB31_121
; %bb.122:                              ;   in Loop: Header=BB31_119 Depth=1
	s_or_b32 exec_lo, exec_lo, s12
	s_branch .LBB31_118
.LBB31_123:
	s_wait_alu 0xfffe
	s_or_b32 exec_lo, exec_lo, s0
	s_mov_b32 s0, 0
.LBB31_124:
	s_wait_alu 0xfffe
	s_and_not1_b32 vcc_lo, exec_lo, s0
	s_wait_alu 0xfffe
	s_cbranch_vccnz .LBB31_141
; %bb.125:
	s_cvt_f32_u32 s0, s2
	s_sub_co_i32 s1, 0, s2
	s_wait_alu 0xfffe
	s_delay_alu instid0(SALU_CYCLE_1) | instskip(NEXT) | instid1(TRANS32_DEP_1)
	v_rcp_iflag_f32_e32 v2, s0
	v_readfirstlane_b32 s0, v2
	s_mul_f32 s0, s0, 0x4f7ffffe
	s_wait_alu 0xfffe
	s_delay_alu instid0(SALU_CYCLE_2) | instskip(SKIP_1) | instid1(SALU_CYCLE_2)
	s_cvt_u32_f32 s0, s0
	s_wait_alu 0xfffe
	s_mul_i32 s3, s1, s0
	s_wait_alu 0xfffe
	s_mul_hi_u32 s3, s0, s3
	s_wait_alu 0xfffe
	s_add_co_i32 s0, s0, s3
	s_mov_b32 s3, 0
	s_wait_alu 0xfffe
	v_mul_hi_u32 v2, v0, s0
	s_mov_b32 s0, exec_lo
	s_delay_alu instid0(VALU_DEP_1) | instskip(NEXT) | instid1(VALU_DEP_1)
	v_mul_lo_u32 v3, v2, s2
	v_sub_nc_u32_e32 v3, v0, v3
	s_delay_alu instid0(VALU_DEP_1) | instskip(SKIP_2) | instid1(VALU_DEP_2)
	v_subrev_nc_u32_e32 v5, s2, v3
	v_cmp_le_u32_e32 vcc_lo, s2, v3
	s_wait_alu 0xfffd
	v_dual_cndmask_b32 v3, v3, v5 :: v_dual_add_nc_u32 v4, 1, v2
	s_delay_alu instid0(VALU_DEP_1) | instskip(NEXT) | instid1(VALU_DEP_2)
	v_dual_cndmask_b32 v2, v2, v4 :: v_dual_mov_b32 v5, 0
	v_cmp_le_u32_e32 vcc_lo, s2, v3
	s_delay_alu instid0(VALU_DEP_2) | instskip(SKIP_1) | instid1(VALU_DEP_1)
	v_add_nc_u32_e32 v4, 1, v2
	s_wait_alu 0xfffd
	v_cndmask_b32_e32 v4, v2, v4, vcc_lo
	s_delay_alu instid0(VALU_DEP_1) | instskip(NEXT) | instid1(VALU_DEP_1)
	v_lshlrev_b64_e32 v[2:3], 3, v[4:5]
	v_add_co_u32 v2, vcc_lo, s26, v2
	s_wait_alu 0xfffd
	s_delay_alu instid0(VALU_DEP_2)
	v_add_co_ci_u32_e64 v3, null, s27, v3, vcc_lo
	global_load_b128 v[8:11], v[2:3], off
	s_wait_loadcnt 0x0
	v_sub_co_u32 v2, vcc_lo, v8, s4
	s_wait_alu 0xfffd
	v_subrev_co_ci_u32_e64 v3, null, s5, v9, vcc_lo
	v_sub_co_u32 v15, vcc_lo, v10, s4
	s_wait_alu 0xfffd
	v_subrev_co_ci_u32_e64 v16, null, s5, v11, vcc_lo
	v_mov_b32_e32 v8, v5
	s_delay_alu instid0(VALU_DEP_3) | instskip(SKIP_1) | instid1(VALU_DEP_3)
	v_sub_co_u32 v12, vcc_lo, v15, v2
	s_wait_alu 0xfffd
	v_sub_co_ci_u32_e64 v9, null, v16, v3, vcc_lo
                                        ; implicit-def: $vgpr10_vgpr11
	s_delay_alu instid0(VALU_DEP_1)
	v_cmpx_ne_u64_e32 0, v[8:9]
	s_wait_alu 0xfffe
	s_xor_b32 s6, exec_lo, s0
	s_cbranch_execz .LBB31_127
; %bb.126:
	s_add_nc_u64 s[4:5], s[2:3], 0
	s_mov_b32 s15, s3
	s_wait_alu 0xfffe
	s_xor_b64 s[4:5], s[4:5], 0
	s_mov_b32 s19, s3
	s_wait_alu 0xfffe
	s_cvt_f32_u32 s0, s4
	s_cvt_f32_u32 s7, s5
	s_sub_nc_u64 s[12:13], 0, s[4:5]
	v_ashrrev_i32_e32 v17, 31, v9
	s_wait_alu 0xfffe
	s_fmamk_f32 s0, s7, 0x4f800000, s0
	s_delay_alu instid0(VALU_DEP_1) | instskip(SKIP_1) | instid1(SALU_CYCLE_1)
	v_add_co_u32 v8, vcc_lo, v12, v17
	s_wait_alu 0xfffe
	v_s_rcp_f32 s0, s0
	s_wait_alu 0xfffd
	v_add_co_ci_u32_e64 v9, null, v9, v17, vcc_lo
	v_xor_b32_e32 v18, v8, v17
	s_delay_alu instid0(VALU_DEP_2) | instskip(NEXT) | instid1(TRANS32_DEP_1)
	v_xor_b32_e32 v19, v9, v17
	s_mul_f32 s0, s0, 0x5f7ffffc
	s_wait_alu 0xfffe
	s_delay_alu instid0(SALU_CYCLE_2) | instskip(SKIP_1) | instid1(SALU_CYCLE_2)
	s_mul_f32 s7, s0, 0x2f800000
	s_wait_alu 0xfffe
	s_trunc_f32 s7, s7
	s_wait_alu 0xfffe
	s_delay_alu instid0(SALU_CYCLE_2) | instskip(SKIP_2) | instid1(SALU_CYCLE_1)
	s_fmamk_f32 s0, s7, 0xcf800000, s0
	s_cvt_u32_f32 s9, s7
	s_wait_alu 0xfffe
	s_cvt_u32_f32 s8, s0
	s_wait_alu 0xfffe
	s_delay_alu instid0(SALU_CYCLE_2)
	s_mul_u64 s[16:17], s[12:13], s[8:9]
	s_wait_alu 0xfffe
	s_mul_hi_u32 s25, s8, s17
	s_mul_i32 s24, s8, s17
	s_mul_hi_u32 s14, s8, s16
	s_mul_i32 s7, s9, s16
	s_wait_alu 0xfffe
	s_add_nc_u64 s[14:15], s[14:15], s[24:25]
	s_mul_hi_u32 s0, s9, s16
	s_mul_hi_u32 s11, s9, s17
	s_wait_alu 0xfffe
	s_add_co_u32 s7, s14, s7
	s_add_co_ci_u32 s18, s15, s0
	s_mul_i32 s16, s9, s17
	s_add_co_ci_u32 s17, s11, 0
	s_wait_alu 0xfffe
	s_add_nc_u64 s[14:15], s[18:19], s[16:17]
	s_mov_b32 s17, s3
	s_wait_alu 0xfffe
	s_add_co_u32 s8, s8, s14
	s_cselect_b32 s0, -1, 0
	s_wait_alu 0xfffe
	s_cmp_lg_u32 s0, 0
	s_add_co_ci_u32 s9, s9, s15
	s_mov_b32 s15, s3
	s_wait_alu 0xfffe
	s_mul_u64 s[12:13], s[12:13], s[8:9]
	s_wait_alu 0xfffe
	s_mul_hi_u32 s19, s8, s13
	s_mul_i32 s18, s8, s13
	s_mul_hi_u32 s16, s8, s12
	s_mul_i32 s3, s9, s12
	s_wait_alu 0xfffe
	s_add_nc_u64 s[16:17], s[16:17], s[18:19]
	s_mul_hi_u32 s0, s9, s12
	s_mul_hi_u32 s7, s9, s13
	s_wait_alu 0xfffe
	s_add_co_u32 s3, s16, s3
	s_add_co_ci_u32 s14, s17, s0
	s_mul_i32 s12, s9, s13
	s_add_co_ci_u32 s13, s7, 0
	s_wait_alu 0xfffe
	s_add_nc_u64 s[12:13], s[14:15], s[12:13]
	s_wait_alu 0xfffe
	s_add_co_u32 s0, s8, s12
	s_cselect_b32 s3, -1, 0
	s_wait_alu 0xfffe
	v_mul_hi_u32 v20, v18, s0
	s_cmp_lg_u32 s3, 0
	v_mad_co_u64_u32 v[10:11], null, v19, s0, 0
	s_add_co_ci_u32 s3, s9, s13
	s_wait_alu 0xfffe
	v_mad_co_u64_u32 v[8:9], null, v18, s3, 0
	v_mad_co_u64_u32 v[12:13], null, v19, s3, 0
	s_delay_alu instid0(VALU_DEP_2) | instskip(SKIP_1) | instid1(VALU_DEP_3)
	v_add_co_u32 v8, vcc_lo, v20, v8
	s_wait_alu 0xfffd
	v_add_co_ci_u32_e64 v9, null, 0, v9, vcc_lo
	s_delay_alu instid0(VALU_DEP_2) | instskip(SKIP_1) | instid1(VALU_DEP_2)
	v_add_co_u32 v8, vcc_lo, v8, v10
	s_wait_alu 0xfffd
	v_add_co_ci_u32_e32 v8, vcc_lo, v9, v11, vcc_lo
	s_wait_alu 0xfffd
	v_add_co_ci_u32_e32 v9, vcc_lo, 0, v13, vcc_lo
	s_delay_alu instid0(VALU_DEP_2) | instskip(SKIP_1) | instid1(VALU_DEP_2)
	v_add_co_u32 v10, vcc_lo, v8, v12
	s_wait_alu 0xfffd
	v_add_co_ci_u32_e64 v11, null, 0, v9, vcc_lo
	s_delay_alu instid0(VALU_DEP_2) | instskip(SKIP_1) | instid1(VALU_DEP_3)
	v_mul_lo_u32 v12, s5, v10
	v_mad_co_u64_u32 v[8:9], null, s4, v10, 0
	v_mul_lo_u32 v13, s4, v11
	s_delay_alu instid0(VALU_DEP_2) | instskip(NEXT) | instid1(VALU_DEP_2)
	v_sub_co_u32 v8, vcc_lo, v18, v8
	v_add3_u32 v9, v9, v13, v12
	v_add_co_u32 v13, s0, v10, 2
	s_wait_alu 0xf1ff
	v_add_co_ci_u32_e64 v18, null, 0, v11, s0
	s_delay_alu instid0(VALU_DEP_3) | instskip(SKIP_3) | instid1(VALU_DEP_3)
	v_sub_nc_u32_e32 v12, v19, v9
	v_sub_co_u32 v20, s0, v8, s4
	s_wait_alu 0xfffd
	v_sub_co_ci_u32_e64 v9, null, v19, v9, vcc_lo
	v_subrev_co_ci_u32_e64 v12, null, s5, v12, vcc_lo
	s_delay_alu instid0(VALU_DEP_3) | instskip(SKIP_1) | instid1(VALU_DEP_2)
	v_cmp_le_u32_e32 vcc_lo, s4, v20
	s_wait_alu 0xf1ff
	v_subrev_co_ci_u32_e64 v12, null, 0, v12, s0
	s_wait_alu 0xfffd
	v_cndmask_b32_e64 v19, 0, -1, vcc_lo
	v_cmp_eq_u32_e64 s0, s5, v9
	s_delay_alu instid0(VALU_DEP_3)
	v_cmp_le_u32_e32 vcc_lo, s5, v12
	s_wait_alu 0xfffd
	v_cndmask_b32_e64 v20, 0, -1, vcc_lo
	v_cmp_le_u32_e32 vcc_lo, s4, v8
	s_wait_alu 0xfffd
	v_cndmask_b32_e64 v8, 0, -1, vcc_lo
	;; [unrolled: 3-line block ×3, first 2 shown]
	v_cmp_eq_u32_e32 vcc_lo, s5, v12
	s_wait_alu 0xf1ff
	s_delay_alu instid0(VALU_DEP_2)
	v_cndmask_b32_e64 v8, v21, v8, s0
	s_wait_alu 0xfffd
	v_cndmask_b32_e32 v12, v20, v19, vcc_lo
	v_add_co_u32 v19, vcc_lo, v10, 1
	s_wait_alu 0xfffd
	v_add_co_ci_u32_e64 v20, null, 0, v11, vcc_lo
	s_delay_alu instid0(VALU_DEP_3) | instskip(SKIP_1) | instid1(VALU_DEP_2)
	v_cmp_ne_u32_e32 vcc_lo, 0, v12
	s_wait_alu 0xfffd
	v_dual_cndmask_b32 v9, v20, v18 :: v_dual_cndmask_b32 v12, v19, v13
	v_cmp_ne_u32_e32 vcc_lo, 0, v8
	s_wait_alu 0xfffd
	s_delay_alu instid0(VALU_DEP_2) | instskip(NEXT) | instid1(VALU_DEP_1)
	v_dual_cndmask_b32 v8, v11, v9 :: v_dual_cndmask_b32 v9, v10, v12
                                        ; implicit-def: $vgpr12
	v_xor_b32_e32 v8, v8, v17
	s_delay_alu instid0(VALU_DEP_2) | instskip(NEXT) | instid1(VALU_DEP_1)
	v_xor_b32_e32 v9, v9, v17
	v_sub_co_u32 v10, vcc_lo, v9, v17
	s_wait_alu 0xfffd
	s_delay_alu instid0(VALU_DEP_3)
	v_sub_co_ci_u32_e64 v11, null, v8, v17, vcc_lo
.LBB31_127:
	s_wait_alu 0xfffe
	s_and_not1_saveexec_b32 s0, s6
	s_cbranch_execz .LBB31_129
; %bb.128:
	v_cvt_f32_u32_e32 v8, s2
	s_delay_alu instid0(VALU_DEP_1) | instskip(NEXT) | instid1(TRANS32_DEP_1)
	v_rcp_iflag_f32_e32 v8, v8
	v_mul_f32_e32 v8, 0x4f7ffffe, v8
	s_delay_alu instid0(VALU_DEP_1) | instskip(NEXT) | instid1(VALU_DEP_1)
	v_cvt_u32_f32_e32 v8, v8
	v_mul_lo_u32 v9, s1, v8
	s_delay_alu instid0(VALU_DEP_1) | instskip(NEXT) | instid1(VALU_DEP_1)
	v_mul_hi_u32 v9, v8, v9
	v_add_nc_u32_e32 v8, v8, v9
	s_delay_alu instid0(VALU_DEP_1) | instskip(NEXT) | instid1(VALU_DEP_1)
	v_mul_hi_u32 v8, v12, v8
	v_mul_lo_u32 v9, v8, s2
	v_add_nc_u32_e32 v10, 1, v8
	s_delay_alu instid0(VALU_DEP_2) | instskip(NEXT) | instid1(VALU_DEP_1)
	v_sub_nc_u32_e32 v9, v12, v9
	v_subrev_nc_u32_e32 v11, s2, v9
	v_cmp_le_u32_e32 vcc_lo, s2, v9
	s_wait_alu 0xfffd
	s_delay_alu instid0(VALU_DEP_2) | instskip(SKIP_1) | instid1(VALU_DEP_2)
	v_dual_cndmask_b32 v9, v9, v11 :: v_dual_cndmask_b32 v8, v8, v10
	v_mov_b32_e32 v11, 0
	v_cmp_le_u32_e32 vcc_lo, s2, v9
	s_delay_alu instid0(VALU_DEP_3) | instskip(SKIP_1) | instid1(VALU_DEP_1)
	v_add_nc_u32_e32 v10, 1, v8
	s_wait_alu 0xfffd
	v_cndmask_b32_e32 v10, v8, v10, vcc_lo
.LBB31_129:
	s_wait_alu 0xfffe
	s_or_b32 exec_lo, exec_lo, s0
	v_cmp_gt_i64_e32 vcc_lo, s[22:23], v[4:5]
	v_dual_mov_b32 v5, 0 :: v_dual_mov_b32 v4, 0
	s_and_saveexec_b32 s0, vcc_lo
	s_cbranch_execz .LBB31_137
; %bb.130:
	s_add_co_i32 s1, s2, -1
	s_wait_alu 0xfffe
	v_dual_mov_b32 v5, 0 :: v_dual_and_b32 v8, s1, v0
	s_mov_b32 s1, exec_lo
	s_delay_alu instid0(VALU_DEP_1)
	v_dual_mov_b32 v4, 0 :: v_dual_lshlrev_b32 v17, 3, v8
	v_cmpx_lt_i64_e32 0, v[10:11]
	s_cbranch_execz .LBB31_134
; %bb.131:
	v_mov_b32_e32 v5, 0
	v_mov_b32_e32 v13, v11
	v_lshl_add_u32 v9, v2, 3, v17
	v_mov_b32_e32 v12, v10
	s_lshl_b32 s4, s2, 3
	v_mov_b32_e32 v4, v5
	s_mov_b32 s3, 0
.LBB31_132:                             ; =>This Inner Loop Header: Depth=1
	ds_load_b64 v[18:19], v9
	v_add_co_u32 v12, vcc_lo, v12, -1
	s_wait_alu 0xfffd
	v_add_co_ci_u32_e64 v13, null, -1, v13, vcc_lo
	s_wait_alu 0xfffe
	v_add_nc_u32_e32 v9, s4, v9
	s_delay_alu instid0(VALU_DEP_2)
	v_cmp_eq_u64_e32 vcc_lo, 0, v[12:13]
	s_or_b32 s3, vcc_lo, s3
	s_wait_dscnt 0x0
	v_dual_add_f32 v4, v4, v18 :: v_dual_add_f32 v5, v5, v19
	s_wait_alu 0xfffe
	s_and_not1_b32 exec_lo, exec_lo, s3
	s_cbranch_execnz .LBB31_132
; %bb.133:
	s_or_b32 exec_lo, exec_lo, s3
.LBB31_134:
	s_wait_alu 0xfffe
	s_or_b32 exec_lo, exec_lo, s1
	v_mad_co_u64_u32 v[2:3], null, v10, s2, v[2:3]
	v_mov_b32_e32 v9, 0
	s_mov_b32 s1, exec_lo
	s_delay_alu instid0(VALU_DEP_2) | instskip(NEXT) | instid1(VALU_DEP_3)
	v_mad_co_u64_u32 v[10:11], null, v11, s2, v[3:4]
	v_sub_co_u32 v11, vcc_lo, v15, v2
	s_wait_alu 0xfffd
	s_delay_alu instid0(VALU_DEP_2) | instskip(NEXT) | instid1(VALU_DEP_1)
	v_sub_co_ci_u32_e64 v12, null, v16, v10, vcc_lo
	v_cmpx_gt_i64_e64 v[11:12], v[8:9]
	s_cbranch_execz .LBB31_136
; %bb.135:
	v_lshl_add_u32 v2, v2, 3, v17
	ds_load_b64 v[2:3], v2
	s_wait_dscnt 0x0
	v_dual_add_f32 v4, v4, v2 :: v_dual_add_f32 v5, v5, v3
.LBB31_136:
	s_wait_alu 0xfffe
	s_or_b32 exec_lo, exec_lo, s1
.LBB31_137:
	s_wait_alu 0xfffe
	s_or_b32 exec_lo, exec_lo, s0
	v_cmp_gt_i64_e32 vcc_lo, s[22:23], v[0:1]
	s_wait_storecnt 0x0
	s_barrier_signal -1
	s_barrier_wait -1
	global_inv scope:SCOPE_SE
	ds_store_b64 v14, v[4:5]
	s_wait_loadcnt_dscnt 0x0
	s_barrier_signal -1
	s_barrier_wait -1
	global_inv scope:SCOPE_SE
	s_and_b32 exec_lo, exec_lo, vcc_lo
	s_cbranch_execz .LBB31_141
; %bb.138:
	v_mul_lo_u32 v2, s2, v0
	v_mov_b32_e32 v1, 0
	s_delay_alu instid0(VALU_DEP_2)
	v_dual_mov_b32 v2, 0 :: v_dual_lshlrev_b32 v3, 3, v2
.LBB31_139:                             ; =>This Inner Loop Header: Depth=1
	ds_load_b64 v[4:5], v3
	v_add_nc_u32_e32 v3, 8, v3
	s_add_co_i32 s2, s2, -1
	s_wait_alu 0xfffe
	s_cmp_eq_u32 s2, 0
	s_wait_dscnt 0x0
	v_dual_add_f32 v2, v2, v4 :: v_dual_add_f32 v1, v1, v5
	s_cbranch_scc0 .LBB31_139
; %bb.140:
	v_lshlrev_b32_e32 v0, 3, v0
	s_lshl_b32 s0, s10, 3
	v_lshlrev_b64_e32 v[5:6], 3, v[6:7]
	s_wait_alu 0xfffe
	s_delay_alu instid0(VALU_DEP_2)
	v_add3_u32 v0, 0x2000, s0, v0
	ds_load_2addr_b32 v[3:4], v0 offset1:1
	s_wait_dscnt 0x0
	v_dual_add_f32 v0, v2, v3 :: v_dual_add_f32 v1, v1, v4
	v_add_co_u32 v2, vcc_lo, s20, v5
	s_wait_alu 0xfffd
	v_add_co_ci_u32_e64 v3, null, s21, v6, vcc_lo
	s_clause 0x1
	global_atomic_add_f32 v[2:3], v0, off scope:SCOPE_DEV
	global_atomic_add_f32 v[2:3], v1, off offset:4 scope:SCOPE_DEV
.LBB31_141:
	s_endpgm
	.section	.rodata,"a",@progbits
	.p2align	6, 0x0
	.amdhsa_kernel _ZN9rocsparseL27csrmvn_symm_adaptive_kernelIll21rocsparse_complex_numIfES2_S2_S2_EEvbT_S3_PKS3_NS_24const_host_device_scalarIT4_EES5_PKT0_PKT1_PKT2_S8_PT3_21rocsparse_index_base_b
		.amdhsa_group_segment_fixed_size 8192
		.amdhsa_private_segment_fixed_size 0
		.amdhsa_kernarg_size 352
		.amdhsa_user_sgpr_count 2
		.amdhsa_user_sgpr_dispatch_ptr 0
		.amdhsa_user_sgpr_queue_ptr 0
		.amdhsa_user_sgpr_kernarg_segment_ptr 1
		.amdhsa_user_sgpr_dispatch_id 0
		.amdhsa_user_sgpr_private_segment_size 0
		.amdhsa_wavefront_size32 1
		.amdhsa_uses_dynamic_stack 0
		.amdhsa_enable_private_segment 0
		.amdhsa_system_sgpr_workgroup_id_x 1
		.amdhsa_system_sgpr_workgroup_id_y 0
		.amdhsa_system_sgpr_workgroup_id_z 0
		.amdhsa_system_sgpr_workgroup_info 0
		.amdhsa_system_vgpr_workitem_id 0
		.amdhsa_next_free_vgpr 26
		.amdhsa_next_free_sgpr 42
		.amdhsa_reserve_vcc 1
		.amdhsa_float_round_mode_32 0
		.amdhsa_float_round_mode_16_64 0
		.amdhsa_float_denorm_mode_32 3
		.amdhsa_float_denorm_mode_16_64 3
		.amdhsa_fp16_overflow 0
		.amdhsa_workgroup_processor_mode 1
		.amdhsa_memory_ordered 1
		.amdhsa_forward_progress 1
		.amdhsa_inst_pref_size 84
		.amdhsa_round_robin_scheduling 0
		.amdhsa_exception_fp_ieee_invalid_op 0
		.amdhsa_exception_fp_denorm_src 0
		.amdhsa_exception_fp_ieee_div_zero 0
		.amdhsa_exception_fp_ieee_overflow 0
		.amdhsa_exception_fp_ieee_underflow 0
		.amdhsa_exception_fp_ieee_inexact 0
		.amdhsa_exception_int_div_zero 0
	.end_amdhsa_kernel
	.section	.text._ZN9rocsparseL27csrmvn_symm_adaptive_kernelIll21rocsparse_complex_numIfES2_S2_S2_EEvbT_S3_PKS3_NS_24const_host_device_scalarIT4_EES5_PKT0_PKT1_PKT2_S8_PT3_21rocsparse_index_base_b,"axG",@progbits,_ZN9rocsparseL27csrmvn_symm_adaptive_kernelIll21rocsparse_complex_numIfES2_S2_S2_EEvbT_S3_PKS3_NS_24const_host_device_scalarIT4_EES5_PKT0_PKT1_PKT2_S8_PT3_21rocsparse_index_base_b,comdat
.Lfunc_end31:
	.size	_ZN9rocsparseL27csrmvn_symm_adaptive_kernelIll21rocsparse_complex_numIfES2_S2_S2_EEvbT_S3_PKS3_NS_24const_host_device_scalarIT4_EES5_PKT0_PKT1_PKT2_S8_PT3_21rocsparse_index_base_b, .Lfunc_end31-_ZN9rocsparseL27csrmvn_symm_adaptive_kernelIll21rocsparse_complex_numIfES2_S2_S2_EEvbT_S3_PKS3_NS_24const_host_device_scalarIT4_EES5_PKT0_PKT1_PKT2_S8_PT3_21rocsparse_index_base_b
                                        ; -- End function
	.set _ZN9rocsparseL27csrmvn_symm_adaptive_kernelIll21rocsparse_complex_numIfES2_S2_S2_EEvbT_S3_PKS3_NS_24const_host_device_scalarIT4_EES5_PKT0_PKT1_PKT2_S8_PT3_21rocsparse_index_base_b.num_vgpr, 26
	.set _ZN9rocsparseL27csrmvn_symm_adaptive_kernelIll21rocsparse_complex_numIfES2_S2_S2_EEvbT_S3_PKS3_NS_24const_host_device_scalarIT4_EES5_PKT0_PKT1_PKT2_S8_PT3_21rocsparse_index_base_b.num_agpr, 0
	.set _ZN9rocsparseL27csrmvn_symm_adaptive_kernelIll21rocsparse_complex_numIfES2_S2_S2_EEvbT_S3_PKS3_NS_24const_host_device_scalarIT4_EES5_PKT0_PKT1_PKT2_S8_PT3_21rocsparse_index_base_b.numbered_sgpr, 42
	.set _ZN9rocsparseL27csrmvn_symm_adaptive_kernelIll21rocsparse_complex_numIfES2_S2_S2_EEvbT_S3_PKS3_NS_24const_host_device_scalarIT4_EES5_PKT0_PKT1_PKT2_S8_PT3_21rocsparse_index_base_b.num_named_barrier, 0
	.set _ZN9rocsparseL27csrmvn_symm_adaptive_kernelIll21rocsparse_complex_numIfES2_S2_S2_EEvbT_S3_PKS3_NS_24const_host_device_scalarIT4_EES5_PKT0_PKT1_PKT2_S8_PT3_21rocsparse_index_base_b.private_seg_size, 0
	.set _ZN9rocsparseL27csrmvn_symm_adaptive_kernelIll21rocsparse_complex_numIfES2_S2_S2_EEvbT_S3_PKS3_NS_24const_host_device_scalarIT4_EES5_PKT0_PKT1_PKT2_S8_PT3_21rocsparse_index_base_b.uses_vcc, 1
	.set _ZN9rocsparseL27csrmvn_symm_adaptive_kernelIll21rocsparse_complex_numIfES2_S2_S2_EEvbT_S3_PKS3_NS_24const_host_device_scalarIT4_EES5_PKT0_PKT1_PKT2_S8_PT3_21rocsparse_index_base_b.uses_flat_scratch, 0
	.set _ZN9rocsparseL27csrmvn_symm_adaptive_kernelIll21rocsparse_complex_numIfES2_S2_S2_EEvbT_S3_PKS3_NS_24const_host_device_scalarIT4_EES5_PKT0_PKT1_PKT2_S8_PT3_21rocsparse_index_base_b.has_dyn_sized_stack, 0
	.set _ZN9rocsparseL27csrmvn_symm_adaptive_kernelIll21rocsparse_complex_numIfES2_S2_S2_EEvbT_S3_PKS3_NS_24const_host_device_scalarIT4_EES5_PKT0_PKT1_PKT2_S8_PT3_21rocsparse_index_base_b.has_recursion, 0
	.set _ZN9rocsparseL27csrmvn_symm_adaptive_kernelIll21rocsparse_complex_numIfES2_S2_S2_EEvbT_S3_PKS3_NS_24const_host_device_scalarIT4_EES5_PKT0_PKT1_PKT2_S8_PT3_21rocsparse_index_base_b.has_indirect_call, 0
	.section	.AMDGPU.csdata,"",@progbits
; Kernel info:
; codeLenInByte = 10708
; TotalNumSgprs: 44
; NumVgprs: 26
; ScratchSize: 0
; MemoryBound: 0
; FloatMode: 240
; IeeeMode: 1
; LDSByteSize: 8192 bytes/workgroup (compile time only)
; SGPRBlocks: 0
; VGPRBlocks: 3
; NumSGPRsForWavesPerEU: 44
; NumVGPRsForWavesPerEU: 26
; Occupancy: 16
; WaveLimiterHint : 1
; COMPUTE_PGM_RSRC2:SCRATCH_EN: 0
; COMPUTE_PGM_RSRC2:USER_SGPR: 2
; COMPUTE_PGM_RSRC2:TRAP_HANDLER: 0
; COMPUTE_PGM_RSRC2:TGID_X_EN: 1
; COMPUTE_PGM_RSRC2:TGID_Y_EN: 0
; COMPUTE_PGM_RSRC2:TGID_Z_EN: 0
; COMPUTE_PGM_RSRC2:TIDIG_COMP_CNT: 0
	.section	.text._ZL33csrmvn_symm_large_adaptive_kernelIll21rocsparse_complex_numIfES1_S1_S1_EvbT_PKS2_N9rocsparse24const_host_device_scalarIT4_EES4_PKT0_PKT1_PKT2_S8_PT3_21rocsparse_index_base_b,"axG",@progbits,_ZL33csrmvn_symm_large_adaptive_kernelIll21rocsparse_complex_numIfES1_S1_S1_EvbT_PKS2_N9rocsparse24const_host_device_scalarIT4_EES4_PKT0_PKT1_PKT2_S8_PT3_21rocsparse_index_base_b,comdat
	.globl	_ZL33csrmvn_symm_large_adaptive_kernelIll21rocsparse_complex_numIfES1_S1_S1_EvbT_PKS2_N9rocsparse24const_host_device_scalarIT4_EES4_PKT0_PKT1_PKT2_S8_PT3_21rocsparse_index_base_b ; -- Begin function _ZL33csrmvn_symm_large_adaptive_kernelIll21rocsparse_complex_numIfES1_S1_S1_EvbT_PKS2_N9rocsparse24const_host_device_scalarIT4_EES4_PKT0_PKT1_PKT2_S8_PT3_21rocsparse_index_base_b
	.p2align	8
	.type	_ZL33csrmvn_symm_large_adaptive_kernelIll21rocsparse_complex_numIfES1_S1_S1_EvbT_PKS2_N9rocsparse24const_host_device_scalarIT4_EES4_PKT0_PKT1_PKT2_S8_PT3_21rocsparse_index_base_b,@function
_ZL33csrmvn_symm_large_adaptive_kernelIll21rocsparse_complex_numIfES1_S1_S1_EvbT_PKS2_N9rocsparse24const_host_device_scalarIT4_EES4_PKT0_PKT1_PKT2_S8_PT3_21rocsparse_index_base_b: ; @_ZL33csrmvn_symm_large_adaptive_kernelIll21rocsparse_complex_numIfES1_S1_S1_EvbT_PKS2_N9rocsparse24const_host_device_scalarIT4_EES4_PKT0_PKT1_PKT2_S8_PT3_21rocsparse_index_base_b
; %bb.0:
	s_clause 0x1
	s_load_b64 s[6:7], s[0:1], 0x50
	s_load_b64 s[4:5], s[0:1], 0x18
	s_add_nc_u64 s[8:9], s[0:1], 24
	s_wait_kmcnt 0x0
	s_bitcmp1_b32 s7, 0
	s_cselect_b32 s3, -1, 0
	s_delay_alu instid0(SALU_CYCLE_1) | instskip(SKIP_2) | instid1(SALU_CYCLE_1)
	s_and_b32 s2, s3, exec_lo
	s_cselect_b32 s2, s8, s4
	s_cselect_b32 s4, s9, s5
	v_dual_mov_b32 v1, s2 :: v_dual_mov_b32 v2, s4
	flat_load_b64 v[1:2], v[1:2]
	s_wait_loadcnt_dscnt 0x0
	v_cmp_eq_f32_e32 vcc_lo, 0, v1
	v_cmp_eq_f32_e64 s2, 0, v2
	s_and_b32 s5, vcc_lo, s2
	s_mov_b32 s2, -1
	s_wait_alu 0xfffe
	s_and_saveexec_b32 s4, s5
	s_cbranch_execz .LBB32_2
; %bb.1:
	s_load_b64 s[8:9], s[0:1], 0x40
	s_add_nc_u64 s[10:11], s[0:1], 64
	s_and_b32 s2, s3, exec_lo
	s_wait_kmcnt 0x0
	s_cselect_b32 s2, s10, s8
	s_cselect_b32 s3, s11, s9
	s_wait_alu 0xfffe
	v_dual_mov_b32 v3, s2 :: v_dual_mov_b32 v4, s3
	flat_load_b64 v[3:4], v[3:4]
	s_wait_loadcnt_dscnt 0x0
	v_cmp_neq_f32_e32 vcc_lo, 1.0, v3
	v_cmp_neq_f32_e64 s2, 0, v4
	s_or_b32 s2, vcc_lo, s2
	s_wait_alu 0xfffe
	s_or_not1_b32 s2, s2, exec_lo
.LBB32_2:
	s_wait_alu 0xfffe
	s_or_b32 exec_lo, exec_lo, s4
	s_and_saveexec_b32 s3, s2
	s_cbranch_execz .LBB32_38
; %bb.3:
	s_clause 0x1
	s_load_b32 s3, s[0:1], 0x0
	s_load_b64 s[4:5], s[0:1], 0x10
	s_mov_b32 s22, 0
	s_mov_b32 s2, ttmp9
	s_mov_b32 s23, s22
	v_dual_mov_b32 v3, s22 :: v_dual_mov_b32 v14, 0
	v_dual_mov_b32 v4, s23 :: v_dual_lshlrev_b32 v11, 3, v0
	s_mov_b32 s7, s22
	ds_store_2addr_stride64_b64 v11, v[3:4], v[3:4] offset1:4
	ds_store_2addr_stride64_b64 v11, v[3:4], v[3:4] offset0:8 offset1:12
	s_wait_dscnt 0x0
	s_barrier_signal -1
	s_barrier_wait -1
	global_inv scope:SCOPE_SE
	s_wait_kmcnt 0x0
	s_bitcmp1_b32 s3, 0
	s_cselect_b32 s30, -1, 0
	s_ashr_i32 s3, ttmp9, 31
	s_wait_alu 0xfffe
	s_lshl_b64 s[2:3], s[2:3], 3
	s_wait_alu 0xfffe
	s_add_nc_u64 s[2:3], s[4:5], s[2:3]
	s_load_b128 s[16:19], s[2:3], 0x0
	s_clause 0x1
	s_load_b256 s[8:15], s[0:1], 0x20
	s_load_b64 s[20:21], s[0:1], 0x48
	v_sub_co_u32 v12, s1, v0, s6
	s_delay_alu instid0(VALU_DEP_1)
	v_sub_co_ci_u32_e64 v13, null, 0, 0, s1
	s_wait_kmcnt 0x0
	v_cmp_ge_i64_e64 s0, s[16:17], s[18:19]
	s_and_b32 vcc_lo, exec_lo, s0
	s_cbranch_vccnz .LBB32_29
; %bb.4:
	v_cmp_gt_u32_e64 s0, 0x100, v0
	v_cmp_gt_u32_e64 s1, 64, v0
	;; [unrolled: 1-line block ×4, first 2 shown]
	v_cmp_eq_u32_e64 s4, 0, v0
	s_add_nc_u64 s[22:23], s[12:13], 4
	s_mov_b64 s[24:25], s[16:17]
	s_branch .LBB32_6
.LBB32_5:                               ;   in Loop: Header=BB32_6 Depth=1
	s_wait_alu 0xfffe
	s_or_b32 exec_lo, exec_lo, s5
	s_add_nc_u64 s[24:25], s[24:25], 1
	s_wait_alu 0xfffe
	v_cmp_ge_i64_e64 s5, s[24:25], s[18:19]
	s_and_b32 vcc_lo, exec_lo, s5
	s_wait_alu 0xfffe
	s_cbranch_vccnz .LBB32_29
.LBB32_6:                               ; =>This Loop Header: Depth=1
                                        ;     Child Loop BB32_8 Depth 2
                                        ;     Child Loop BB32_22 Depth 2
	;; [unrolled: 1-line block ×3, first 2 shown]
	s_lshl_b64 s[26:27], s[24:25], 3
	v_dual_mov_b32 v6, 0 :: v_dual_mov_b32 v5, 0
	s_add_nc_u64 s[28:29], s[8:9], s[26:27]
	s_mov_b32 s31, exec_lo
	s_load_b128 s[36:39], s[28:29], 0x0
	s_wait_kmcnt 0x0
	v_add_co_u32 v3, vcc_lo, s36, v12
	s_wait_alu 0xfffd
	v_add_co_ci_u32_e64 v4, null, s37, v13, vcc_lo
	s_sub_nc_u64 s[28:29], s[38:39], s[6:7]
	s_wait_alu 0xfffe
	v_cmpx_gt_i64_e64 s[28:29], v[3:4]
	s_cbranch_execz .LBB32_10
; %bb.7:                                ;   in Loop: Header=BB32_6 Depth=1
	v_lshlrev_b64_e32 v[9:10], 3, v[3:4]
	v_mov_b32_e32 v6, 0
	s_mov_b32 s33, 0
	s_delay_alu instid0(VALU_DEP_1) | instskip(NEXT) | instid1(VALU_DEP_3)
	v_mov_b32_e32 v5, v6
	v_add_co_u32 v7, vcc_lo, s10, v9
	s_wait_alu 0xfffd
	v_add_co_ci_u32_e64 v8, null, s11, v10, vcc_lo
	v_add_co_u32 v9, vcc_lo, s22, v9
	s_wait_alu 0xfffd
	v_add_co_ci_u32_e64 v10, null, s23, v10, vcc_lo
.LBB32_8:                               ;   Parent Loop BB32_6 Depth=1
                                        ; =>  This Inner Loop Header: Depth=2
	global_load_b64 v[15:16], v[7:8], off
	global_load_b64 v[17:18], v[9:10], off offset:-4
	s_wait_loadcnt 0x1
	v_sub_co_u32 v15, vcc_lo, v15, s6
	s_wait_alu 0xfffd
	v_subrev_co_ci_u32_e64 v16, null, 0, v16, vcc_lo
	s_wait_loadcnt 0x0
	v_cndmask_b32_e64 v0, v18, -v18, s30
	s_delay_alu instid0(VALU_DEP_2) | instskip(NEXT) | instid1(VALU_DEP_1)
	v_lshlrev_b64_e32 v[15:16], 3, v[15:16]
	v_add_co_u32 v15, vcc_lo, s14, v15
	s_wait_alu 0xfffd
	s_delay_alu instid0(VALU_DEP_2)
	v_add_co_ci_u32_e64 v16, null, s15, v16, vcc_lo
	v_add_co_u32 v3, vcc_lo, 0x100, v3
	s_wait_alu 0xfffd
	v_add_co_ci_u32_e64 v4, null, 0, v4, vcc_lo
	global_load_b64 v[15:16], v[15:16], off
	v_add_co_u32 v7, vcc_lo, 0x800, v7
	v_cmp_le_i64_e64 s5, s[28:29], v[3:4]
	s_wait_alu 0xfffd
	v_add_co_ci_u32_e64 v8, null, 0, v8, vcc_lo
	v_add_co_u32 v9, vcc_lo, 0x800, v9
	s_wait_alu 0xfffd
	v_add_co_ci_u32_e64 v10, null, 0, v10, vcc_lo
	s_or_b32 s33, s5, s33
	s_wait_loadcnt 0x0
	v_fmac_f32_e32 v5, v17, v15
	v_fmac_f32_e32 v6, v0, v15
	s_delay_alu instid0(VALU_DEP_2) | instskip(NEXT) | instid1(VALU_DEP_2)
	v_fma_f32 v5, -v0, v16, v5
	v_fmac_f32_e32 v6, v17, v16
	s_and_not1_b32 exec_lo, exec_lo, s33
	s_cbranch_execnz .LBB32_8
; %bb.9:                                ;   in Loop: Header=BB32_6 Depth=1
	s_or_b32 exec_lo, exec_lo, s33
.LBB32_10:                              ;   in Loop: Header=BB32_6 Depth=1
	s_delay_alu instid0(SALU_CYCLE_1)
	s_or_b32 exec_lo, exec_lo, s31
	ds_store_b64 v11, v[5:6]
	s_wait_loadcnt_dscnt 0x0
	s_barrier_signal -1
	s_barrier_wait -1
	global_inv scope:SCOPE_SE
	s_and_saveexec_b32 s5, s0
	s_cbranch_execz .LBB32_12
; %bb.11:                               ;   in Loop: Header=BB32_6 Depth=1
	ds_load_2addr_stride64_b64 v[3:6], v11 offset1:4
	ds_load_2addr_stride64_b64 v[7:10], v11 offset0:8 offset1:12
	s_wait_dscnt 0x0
	v_dual_add_f32 v0, v7, v5 :: v_dual_add_f32 v5, v8, v6
	s_delay_alu instid0(VALU_DEP_1) | instskip(NEXT) | instid1(VALU_DEP_1)
	v_dual_add_f32 v0, v9, v0 :: v_dual_add_f32 v5, v10, v5
	v_dual_add_f32 v3, v0, v3 :: v_dual_add_f32 v4, v5, v4
	ds_store_b64 v11, v[3:4]
.LBB32_12:                              ;   in Loop: Header=BB32_6 Depth=1
	s_wait_alu 0xfffe
	s_or_b32 exec_lo, exec_lo, s5
	s_wait_loadcnt_dscnt 0x0
	s_barrier_signal -1
	s_barrier_wait -1
	global_inv scope:SCOPE_SE
	s_and_saveexec_b32 s5, s1
	s_cbranch_execz .LBB32_14
; %bb.13:                               ;   in Loop: Header=BB32_6 Depth=1
	ds_load_2addr_stride64_b64 v[3:6], v11 offset1:1
	ds_load_2addr_stride64_b64 v[7:10], v11 offset0:2 offset1:3
	s_wait_dscnt 0x0
	v_dual_add_f32 v0, v7, v5 :: v_dual_add_f32 v5, v8, v6
	s_delay_alu instid0(VALU_DEP_1) | instskip(NEXT) | instid1(VALU_DEP_1)
	v_dual_add_f32 v0, v9, v0 :: v_dual_add_f32 v5, v10, v5
	v_dual_add_f32 v3, v0, v3 :: v_dual_add_f32 v4, v5, v4
	ds_store_b64 v11, v[3:4]
.LBB32_14:                              ;   in Loop: Header=BB32_6 Depth=1
	s_wait_alu 0xfffe
	s_or_b32 exec_lo, exec_lo, s5
	s_wait_loadcnt_dscnt 0x0
	s_barrier_signal -1
	s_barrier_wait -1
	global_inv scope:SCOPE_SE
	s_and_saveexec_b32 s5, s2
	s_cbranch_execz .LBB32_16
; %bb.15:                               ;   in Loop: Header=BB32_6 Depth=1
	ds_load_2addr_b64 v[3:6], v11 offset1:16
	ds_load_2addr_b64 v[7:10], v11 offset0:32 offset1:48
	s_wait_dscnt 0x0
	v_dual_add_f32 v0, v7, v5 :: v_dual_add_f32 v5, v8, v6
	s_delay_alu instid0(VALU_DEP_1) | instskip(NEXT) | instid1(VALU_DEP_1)
	v_dual_add_f32 v0, v9, v0 :: v_dual_add_f32 v5, v10, v5
	v_dual_add_f32 v3, v0, v3 :: v_dual_add_f32 v4, v5, v4
	ds_store_b64 v11, v[3:4]
.LBB32_16:                              ;   in Loop: Header=BB32_6 Depth=1
	s_wait_alu 0xfffe
	s_or_b32 exec_lo, exec_lo, s5
	s_wait_loadcnt_dscnt 0x0
	s_barrier_signal -1
	s_barrier_wait -1
	global_inv scope:SCOPE_SE
	s_and_saveexec_b32 s5, s3
	s_cbranch_execz .LBB32_18
; %bb.17:                               ;   in Loop: Header=BB32_6 Depth=1
	ds_load_2addr_b64 v[3:6], v11 offset1:4
	ds_load_2addr_b64 v[7:10], v11 offset0:8 offset1:12
	s_wait_dscnt 0x0
	v_dual_add_f32 v0, v7, v5 :: v_dual_add_f32 v5, v8, v6
	s_delay_alu instid0(VALU_DEP_1) | instskip(NEXT) | instid1(VALU_DEP_1)
	v_dual_add_f32 v0, v9, v0 :: v_dual_add_f32 v5, v10, v5
	v_dual_add_f32 v3, v0, v3 :: v_dual_add_f32 v4, v5, v4
	ds_store_b64 v11, v[3:4]
.LBB32_18:                              ;   in Loop: Header=BB32_6 Depth=1
	s_wait_alu 0xfffe
	s_or_b32 exec_lo, exec_lo, s5
	s_wait_loadcnt_dscnt 0x0
	s_barrier_signal -1
	s_barrier_wait -1
	global_inv scope:SCOPE_SE
	s_and_saveexec_b32 s5, s4
	s_cbranch_execz .LBB32_20
; %bb.19:                               ;   in Loop: Header=BB32_6 Depth=1
	ds_load_b128 v[3:6], v14 offset:16
	ds_load_b64 v[7:8], v14 offset:8
	ds_load_b64 v[9:10], v11
	s_wait_dscnt 0x1
	v_dual_add_f32 v0, v3, v7 :: v_dual_add_f32 v3, v4, v8
	s_delay_alu instid0(VALU_DEP_1) | instskip(SKIP_1) | instid1(VALU_DEP_1)
	v_add_f32_e32 v0, v5, v0
	s_wait_dscnt 0x0
	v_dual_add_f32 v4, v6, v3 :: v_dual_add_f32 v3, v0, v9
	s_delay_alu instid0(VALU_DEP_1)
	v_add_f32_e32 v4, v4, v10
	ds_store_b64 v11, v[3:4]
.LBB32_20:                              ;   in Loop: Header=BB32_6 Depth=1
	s_wait_alu 0xfffe
	s_or_b32 exec_lo, exec_lo, s5
	s_wait_loadcnt_dscnt 0x0
	s_barrier_signal -1
	s_barrier_wait -1
	global_inv scope:SCOPE_SE
	s_and_saveexec_b32 s5, s4
	s_cbranch_execz .LBB32_5
; %bb.21:                               ;   in Loop: Header=BB32_6 Depth=1
	ds_load_b64 v[3:4], v14
	s_mov_b32 s29, exec_lo
	s_brev_b32 s28, 1
	s_wait_dscnt 0x0
	v_mul_f32_e64 v0, v4, -v2
	s_delay_alu instid0(VALU_DEP_1)
	v_fmac_f32_e32 v0, v1, v3
.LBB32_22:                              ;   Parent Loop BB32_6 Depth=1
                                        ; =>  This Inner Loop Header: Depth=2
	s_wait_alu 0xfffe
	s_ctz_i32_b32 s31, s29
	s_wait_alu 0xfffe
	s_delay_alu instid0(VALU_DEP_1)
	v_readlane_b32 s33, v0, s31
	s_lshl_b32 s31, 1, s31
	s_wait_alu 0xfffe
	s_and_not1_b32 s29, s29, s31
	s_wait_alu 0xfffe
	s_cmp_lg_u32 s29, 0
	s_add_f32 s28, s28, s33
	s_cbranch_scc1 .LBB32_22
; %bb.23:                               ;   in Loop: Header=BB32_6 Depth=1
	v_mbcnt_lo_u32_b32 v0, exec_lo, 0
	s_add_nc_u64 s[26:27], s[20:21], s[26:27]
	s_mov_b32 s29, exec_lo
	s_delay_alu instid0(VALU_DEP_1)
	v_cmpx_eq_u32_e32 0, v0
	s_wait_alu 0xfffe
	s_xor_b32 s29, exec_lo, s29
	s_cbranch_execz .LBB32_25
; %bb.24:                               ;   in Loop: Header=BB32_6 Depth=1
	v_mov_b32_e32 v0, s28
	global_atomic_add_f32 v14, v0, s[26:27] scope:SCOPE_DEV
.LBB32_25:                              ;   in Loop: Header=BB32_6 Depth=1
	s_wait_alu 0xfffe
	s_or_b32 exec_lo, exec_lo, s29
	v_mul_f32_e32 v0, v1, v4
	s_mov_b32 s29, exec_lo
	s_brev_b32 s28, 1
	s_delay_alu instid0(VALU_DEP_1)
	v_fmac_f32_e32 v0, v2, v3
.LBB32_26:                              ;   Parent Loop BB32_6 Depth=1
                                        ; =>  This Inner Loop Header: Depth=2
	s_wait_alu 0xfffe
	s_ctz_i32_b32 s31, s29
	s_wait_alu 0xfffe
	s_delay_alu instid0(VALU_DEP_1)
	v_readlane_b32 s33, v0, s31
	s_lshl_b32 s31, 1, s31
	s_wait_alu 0xfffe
	s_and_not1_b32 s29, s29, s31
	s_wait_alu 0xfffe
	s_cmp_lg_u32 s29, 0
	s_add_f32 s28, s28, s33
	s_cbranch_scc1 .LBB32_26
; %bb.27:                               ;   in Loop: Header=BB32_6 Depth=1
	v_mbcnt_lo_u32_b32 v0, exec_lo, 0
	s_mov_b32 s29, exec_lo
	s_delay_alu instid0(VALU_DEP_1)
	v_cmpx_eq_u32_e32 0, v0
	s_wait_alu 0xfffe
	s_xor_b32 s29, exec_lo, s29
	s_cbranch_execz .LBB32_5
; %bb.28:                               ;   in Loop: Header=BB32_6 Depth=1
	v_mov_b32_e32 v0, s28
	global_atomic_add_f32 v14, v0, s[26:27] offset:4 scope:SCOPE_DEV
	s_branch .LBB32_5
.LBB32_29:
	s_lshl_b64 s[0:1], s[16:17], 3
	s_lshl_b64 s[2:3], s[18:19], 3
	s_wait_alu 0xfffe
	s_add_nc_u64 s[0:1], s[8:9], s[0:1]
	s_add_nc_u64 s[2:3], s[8:9], s[2:3]
	s_clause 0x1
	s_load_b64 s[0:1], s[0:1], 0x0
	s_load_b64 s[2:3], s[2:3], 0x0
	s_wait_kmcnt 0x0
	v_add_co_u32 v3, vcc_lo, s0, v12
	s_wait_alu 0xfffd
	v_add_co_ci_u32_e64 v4, null, s1, v13, vcc_lo
	s_sub_nc_u64 s[2:3], s[2:3], s[6:7]
	s_wait_alu 0xfffe
	v_cmp_gt_i64_e32 vcc_lo, s[2:3], v[3:4]
	s_and_b32 exec_lo, exec_lo, vcc_lo
	s_cbranch_execz .LBB32_38
; %bb.30:
	s_add_nc_u64 s[4:5], s[18:19], -1
	s_add_nc_u64 s[0:1], s[18:19], -2
	s_wait_alu 0xfffe
	v_cmp_lt_i64_e64 s7, s[16:17], s[4:5]
	s_cmp_lg_u64 s[16:17], s[0:1]
	s_cselect_b32 s0, -1, 0
	s_wait_alu 0xfffe
	s_and_b32 s1, s7, s0
	s_mov_b32 s7, 0
	s_branch .LBB32_32
.LBB32_31:                              ;   in Loop: Header=BB32_32 Depth=1
	s_wait_alu 0xfffe
	s_or_b32 exec_lo, exec_lo, s0
	v_add_co_u32 v3, vcc_lo, 0x100, v3
	s_wait_alu 0xfffd
	v_add_co_ci_u32_e64 v4, null, 0, v4, vcc_lo
	s_delay_alu instid0(VALU_DEP_1)
	v_cmp_le_i64_e32 vcc_lo, s[2:3], v[3:4]
	s_or_b32 s7, vcc_lo, s7
	s_wait_alu 0xfffe
	s_and_not1_b32 exec_lo, exec_lo, s7
	s_cbranch_execz .LBB32_38
.LBB32_32:                              ; =>This Loop Header: Depth=1
                                        ;     Child Loop BB32_34 Depth 2
	v_dual_mov_b32 v5, s16 :: v_dual_mov_b32 v6, s17
	v_dual_mov_b32 v8, s5 :: v_dual_mov_b32 v7, s4
	s_wait_alu 0xfffe
	s_and_not1_b32 vcc_lo, exec_lo, s1
	s_wait_alu 0xfffe
	s_cbranch_vccnz .LBB32_36
; %bb.33:                               ;   in Loop: Header=BB32_32 Depth=1
	v_dual_mov_b32 v5, s16 :: v_dual_mov_b32 v6, s17
	v_dual_mov_b32 v8, s5 :: v_dual_mov_b32 v7, s4
	s_mov_b32 s18, 0
.LBB32_34:                              ;   Parent Loop BB32_32 Depth=1
                                        ; =>  This Inner Loop Header: Depth=2
	s_delay_alu instid0(VALU_DEP_1) | instskip(SKIP_1) | instid1(VALU_DEP_2)
	v_add_co_u32 v0, vcc_lo, v7, v5
	s_wait_alu 0xfffd
	v_add_co_ci_u32_e64 v10, null, v8, v6, vcc_lo
	s_delay_alu instid0(VALU_DEP_1) | instskip(NEXT) | instid1(VALU_DEP_1)
	v_lshrrev_b32_e32 v9, 31, v10
	v_add_co_u32 v9, vcc_lo, v0, v9
	s_wait_alu 0xfffd
	v_add_co_ci_u32_e64 v10, null, 0, v10, vcc_lo
	s_delay_alu instid0(VALU_DEP_1) | instskip(NEXT) | instid1(VALU_DEP_1)
	v_ashrrev_i64 v[9:10], 1, v[9:10]
	v_lshlrev_b64_e32 v[11:12], 3, v[9:10]
	s_delay_alu instid0(VALU_DEP_1) | instskip(SKIP_1) | instid1(VALU_DEP_2)
	v_add_co_u32 v11, vcc_lo, s8, v11
	s_wait_alu 0xfffd
	v_add_co_ci_u32_e64 v12, null, s9, v12, vcc_lo
	global_load_b64 v[11:12], v[11:12], off
	s_wait_loadcnt 0x0
	v_sub_co_u32 v11, vcc_lo, v11, s6
	s_wait_alu 0xfffd
	v_subrev_co_ci_u32_e64 v12, null, 0, v12, vcc_lo
	s_delay_alu instid0(VALU_DEP_1) | instskip(SKIP_3) | instid1(VALU_DEP_2)
	v_cmp_lt_i64_e32 vcc_lo, v[3:4], v[11:12]
	s_wait_alu 0xfffd
	v_dual_cndmask_b32 v8, v8, v10 :: v_dual_cndmask_b32 v7, v7, v9
	v_dual_cndmask_b32 v6, v10, v6 :: v_dual_cndmask_b32 v5, v9, v5
	v_add_co_u32 v9, vcc_lo, v7, -1
	s_wait_alu 0xfffd
	s_delay_alu instid0(VALU_DEP_3) | instskip(NEXT) | instid1(VALU_DEP_3)
	v_add_co_ci_u32_e64 v10, null, -1, v8, vcc_lo
	v_cmp_ge_i64_e32 vcc_lo, v[5:6], v[7:8]
	s_delay_alu instid0(VALU_DEP_2)
	v_cmp_eq_u64_e64 s0, v[5:6], v[9:10]
	s_or_b32 s0, vcc_lo, s0
	s_wait_alu 0xfffe
	s_and_b32 s0, exec_lo, s0
	s_wait_alu 0xfffe
	s_or_b32 s18, s0, s18
	s_wait_alu 0xfffe
	s_and_not1_b32 exec_lo, exec_lo, s18
	s_cbranch_execnz .LBB32_34
; %bb.35:                               ;   in Loop: Header=BB32_32 Depth=1
	s_or_b32 exec_lo, exec_lo, s18
.LBB32_36:                              ;   in Loop: Header=BB32_32 Depth=1
	v_lshlrev_b64_e32 v[9:10], 3, v[7:8]
	s_mov_b32 s0, exec_lo
	s_delay_alu instid0(VALU_DEP_1) | instskip(SKIP_1) | instid1(VALU_DEP_2)
	v_add_co_u32 v9, vcc_lo, s8, v9
	s_wait_alu 0xfffd
	v_add_co_ci_u32_e64 v10, null, s9, v10, vcc_lo
	global_load_b64 v[11:12], v[9:10], off
	v_lshlrev_b64_e32 v[9:10], 3, v[3:4]
	s_delay_alu instid0(VALU_DEP_1) | instskip(SKIP_1) | instid1(VALU_DEP_2)
	v_add_co_u32 v13, vcc_lo, s10, v9
	s_wait_alu 0xfffd
	v_add_co_ci_u32_e64 v14, null, s11, v10, vcc_lo
	global_load_b64 v[13:14], v[13:14], off
	s_wait_loadcnt 0x1
	v_sub_co_u32 v11, vcc_lo, v11, s6
	s_wait_alu 0xfffd
	v_subrev_co_ci_u32_e64 v12, null, 0, v12, vcc_lo
	s_delay_alu instid0(VALU_DEP_1)
	v_cmp_lt_i64_e32 vcc_lo, v[3:4], v[11:12]
	s_wait_alu 0xfffd
	v_dual_cndmask_b32 v8, v8, v6 :: v_dual_cndmask_b32 v7, v7, v5
	s_wait_loadcnt 0x0
	v_sub_co_u32 v5, vcc_lo, v13, s6
	s_wait_alu 0xfffd
	v_subrev_co_ci_u32_e64 v6, null, 0, v14, vcc_lo
	s_delay_alu instid0(VALU_DEP_1)
	v_cmpx_ne_u64_e64 v[5:6], v[7:8]
	s_cbranch_execz .LBB32_31
; %bb.37:                               ;   in Loop: Header=BB32_32 Depth=1
	v_add_co_u32 v9, vcc_lo, s12, v9
	s_wait_alu 0xfffd
	v_add_co_ci_u32_e64 v10, null, s13, v10, vcc_lo
	v_lshlrev_b64_e32 v[7:8], 3, v[7:8]
	v_lshlrev_b64_e32 v[5:6], 3, v[5:6]
	global_load_b64 v[9:10], v[9:10], off
	v_add_co_u32 v7, vcc_lo, s14, v7
	s_wait_alu 0xfffd
	v_add_co_ci_u32_e64 v8, null, s15, v8, vcc_lo
	v_add_co_u32 v5, vcc_lo, s20, v5
	s_wait_alu 0xfffd
	v_add_co_ci_u32_e64 v6, null, s21, v6, vcc_lo
	global_load_b64 v[7:8], v[7:8], off
	s_wait_loadcnt 0x1
	v_cndmask_b32_e64 v0, v10, -v10, s30
	s_delay_alu instid0(VALU_DEP_1) | instskip(SKIP_1) | instid1(VALU_DEP_2)
	v_mul_f32_e32 v10, v1, v0
	v_mul_f32_e64 v0, v0, -v2
	v_fmac_f32_e32 v10, v2, v9
	s_delay_alu instid0(VALU_DEP_2) | instskip(SKIP_1) | instid1(VALU_DEP_2)
	v_fmac_f32_e32 v0, v1, v9
	s_wait_loadcnt 0x0
	v_mul_f32_e64 v9, v8, -v10
	s_delay_alu instid0(VALU_DEP_2) | instskip(NEXT) | instid1(VALU_DEP_2)
	v_mul_f32_e32 v8, v8, v0
	v_fmac_f32_e32 v9, v0, v7
	s_delay_alu instid0(VALU_DEP_2)
	v_fmac_f32_e32 v8, v10, v7
	s_clause 0x1
	global_atomic_add_f32 v[5:6], v9, off scope:SCOPE_DEV
	global_atomic_add_f32 v[5:6], v8, off offset:4 scope:SCOPE_DEV
	s_branch .LBB32_31
.LBB32_38:
	s_endpgm
	.section	.rodata,"a",@progbits
	.p2align	6, 0x0
	.amdhsa_kernel _ZL33csrmvn_symm_large_adaptive_kernelIll21rocsparse_complex_numIfES1_S1_S1_EvbT_PKS2_N9rocsparse24const_host_device_scalarIT4_EES4_PKT0_PKT1_PKT2_S8_PT3_21rocsparse_index_base_b
		.amdhsa_group_segment_fixed_size 8192
		.amdhsa_private_segment_fixed_size 0
		.amdhsa_kernarg_size 88
		.amdhsa_user_sgpr_count 2
		.amdhsa_user_sgpr_dispatch_ptr 0
		.amdhsa_user_sgpr_queue_ptr 0
		.amdhsa_user_sgpr_kernarg_segment_ptr 1
		.amdhsa_user_sgpr_dispatch_id 0
		.amdhsa_user_sgpr_private_segment_size 0
		.amdhsa_wavefront_size32 1
		.amdhsa_uses_dynamic_stack 0
		.amdhsa_enable_private_segment 0
		.amdhsa_system_sgpr_workgroup_id_x 1
		.amdhsa_system_sgpr_workgroup_id_y 0
		.amdhsa_system_sgpr_workgroup_id_z 0
		.amdhsa_system_sgpr_workgroup_info 0
		.amdhsa_system_vgpr_workitem_id 0
		.amdhsa_next_free_vgpr 19
		.amdhsa_next_free_sgpr 40
		.amdhsa_reserve_vcc 1
		.amdhsa_float_round_mode_32 0
		.amdhsa_float_round_mode_16_64 0
		.amdhsa_float_denorm_mode_32 3
		.amdhsa_float_denorm_mode_16_64 3
		.amdhsa_fp16_overflow 0
		.amdhsa_workgroup_processor_mode 1
		.amdhsa_memory_ordered 1
		.amdhsa_forward_progress 1
		.amdhsa_inst_pref_size 20
		.amdhsa_round_robin_scheduling 0
		.amdhsa_exception_fp_ieee_invalid_op 0
		.amdhsa_exception_fp_denorm_src 0
		.amdhsa_exception_fp_ieee_div_zero 0
		.amdhsa_exception_fp_ieee_overflow 0
		.amdhsa_exception_fp_ieee_underflow 0
		.amdhsa_exception_fp_ieee_inexact 0
		.amdhsa_exception_int_div_zero 0
	.end_amdhsa_kernel
	.section	.text._ZL33csrmvn_symm_large_adaptive_kernelIll21rocsparse_complex_numIfES1_S1_S1_EvbT_PKS2_N9rocsparse24const_host_device_scalarIT4_EES4_PKT0_PKT1_PKT2_S8_PT3_21rocsparse_index_base_b,"axG",@progbits,_ZL33csrmvn_symm_large_adaptive_kernelIll21rocsparse_complex_numIfES1_S1_S1_EvbT_PKS2_N9rocsparse24const_host_device_scalarIT4_EES4_PKT0_PKT1_PKT2_S8_PT3_21rocsparse_index_base_b,comdat
.Lfunc_end32:
	.size	_ZL33csrmvn_symm_large_adaptive_kernelIll21rocsparse_complex_numIfES1_S1_S1_EvbT_PKS2_N9rocsparse24const_host_device_scalarIT4_EES4_PKT0_PKT1_PKT2_S8_PT3_21rocsparse_index_base_b, .Lfunc_end32-_ZL33csrmvn_symm_large_adaptive_kernelIll21rocsparse_complex_numIfES1_S1_S1_EvbT_PKS2_N9rocsparse24const_host_device_scalarIT4_EES4_PKT0_PKT1_PKT2_S8_PT3_21rocsparse_index_base_b
                                        ; -- End function
	.set _ZL33csrmvn_symm_large_adaptive_kernelIll21rocsparse_complex_numIfES1_S1_S1_EvbT_PKS2_N9rocsparse24const_host_device_scalarIT4_EES4_PKT0_PKT1_PKT2_S8_PT3_21rocsparse_index_base_b.num_vgpr, 19
	.set _ZL33csrmvn_symm_large_adaptive_kernelIll21rocsparse_complex_numIfES1_S1_S1_EvbT_PKS2_N9rocsparse24const_host_device_scalarIT4_EES4_PKT0_PKT1_PKT2_S8_PT3_21rocsparse_index_base_b.num_agpr, 0
	.set _ZL33csrmvn_symm_large_adaptive_kernelIll21rocsparse_complex_numIfES1_S1_S1_EvbT_PKS2_N9rocsparse24const_host_device_scalarIT4_EES4_PKT0_PKT1_PKT2_S8_PT3_21rocsparse_index_base_b.numbered_sgpr, 40
	.set _ZL33csrmvn_symm_large_adaptive_kernelIll21rocsparse_complex_numIfES1_S1_S1_EvbT_PKS2_N9rocsparse24const_host_device_scalarIT4_EES4_PKT0_PKT1_PKT2_S8_PT3_21rocsparse_index_base_b.num_named_barrier, 0
	.set _ZL33csrmvn_symm_large_adaptive_kernelIll21rocsparse_complex_numIfES1_S1_S1_EvbT_PKS2_N9rocsparse24const_host_device_scalarIT4_EES4_PKT0_PKT1_PKT2_S8_PT3_21rocsparse_index_base_b.private_seg_size, 0
	.set _ZL33csrmvn_symm_large_adaptive_kernelIll21rocsparse_complex_numIfES1_S1_S1_EvbT_PKS2_N9rocsparse24const_host_device_scalarIT4_EES4_PKT0_PKT1_PKT2_S8_PT3_21rocsparse_index_base_b.uses_vcc, 1
	.set _ZL33csrmvn_symm_large_adaptive_kernelIll21rocsparse_complex_numIfES1_S1_S1_EvbT_PKS2_N9rocsparse24const_host_device_scalarIT4_EES4_PKT0_PKT1_PKT2_S8_PT3_21rocsparse_index_base_b.uses_flat_scratch, 0
	.set _ZL33csrmvn_symm_large_adaptive_kernelIll21rocsparse_complex_numIfES1_S1_S1_EvbT_PKS2_N9rocsparse24const_host_device_scalarIT4_EES4_PKT0_PKT1_PKT2_S8_PT3_21rocsparse_index_base_b.has_dyn_sized_stack, 0
	.set _ZL33csrmvn_symm_large_adaptive_kernelIll21rocsparse_complex_numIfES1_S1_S1_EvbT_PKS2_N9rocsparse24const_host_device_scalarIT4_EES4_PKT0_PKT1_PKT2_S8_PT3_21rocsparse_index_base_b.has_recursion, 0
	.set _ZL33csrmvn_symm_large_adaptive_kernelIll21rocsparse_complex_numIfES1_S1_S1_EvbT_PKS2_N9rocsparse24const_host_device_scalarIT4_EES4_PKT0_PKT1_PKT2_S8_PT3_21rocsparse_index_base_b.has_indirect_call, 0
	.section	.AMDGPU.csdata,"",@progbits
; Kernel info:
; codeLenInByte = 2500
; TotalNumSgprs: 42
; NumVgprs: 19
; ScratchSize: 0
; MemoryBound: 0
; FloatMode: 240
; IeeeMode: 1
; LDSByteSize: 8192 bytes/workgroup (compile time only)
; SGPRBlocks: 0
; VGPRBlocks: 2
; NumSGPRsForWavesPerEU: 42
; NumVGPRsForWavesPerEU: 19
; Occupancy: 16
; WaveLimiterHint : 1
; COMPUTE_PGM_RSRC2:SCRATCH_EN: 0
; COMPUTE_PGM_RSRC2:USER_SGPR: 2
; COMPUTE_PGM_RSRC2:TRAP_HANDLER: 0
; COMPUTE_PGM_RSRC2:TGID_X_EN: 1
; COMPUTE_PGM_RSRC2:TGID_Y_EN: 0
; COMPUTE_PGM_RSRC2:TGID_Z_EN: 0
; COMPUTE_PGM_RSRC2:TIDIG_COMP_CNT: 0
	.section	.text._ZN9rocsparseL22csrmvn_adaptive_kernelIii21rocsparse_complex_numIdES2_S2_S2_EEvbT_PKS3_PjPKT0_NS_24const_host_device_scalarIT4_EES5_S9_PKT1_PKT2_SC_PT3_21rocsparse_index_base_b,"axG",@progbits,_ZN9rocsparseL22csrmvn_adaptive_kernelIii21rocsparse_complex_numIdES2_S2_S2_EEvbT_PKS3_PjPKT0_NS_24const_host_device_scalarIT4_EES5_S9_PKT1_PKT2_SC_PT3_21rocsparse_index_base_b,comdat
	.globl	_ZN9rocsparseL22csrmvn_adaptive_kernelIii21rocsparse_complex_numIdES2_S2_S2_EEvbT_PKS3_PjPKT0_NS_24const_host_device_scalarIT4_EES5_S9_PKT1_PKT2_SC_PT3_21rocsparse_index_base_b ; -- Begin function _ZN9rocsparseL22csrmvn_adaptive_kernelIii21rocsparse_complex_numIdES2_S2_S2_EEvbT_PKS3_PjPKT0_NS_24const_host_device_scalarIT4_EES5_S9_PKT1_PKT2_SC_PT3_21rocsparse_index_base_b
	.p2align	8
	.type	_ZN9rocsparseL22csrmvn_adaptive_kernelIii21rocsparse_complex_numIdES2_S2_S2_EEvbT_PKS3_PjPKT0_NS_24const_host_device_scalarIT4_EES5_S9_PKT1_PKT2_SC_PT3_21rocsparse_index_base_b,@function
_ZN9rocsparseL22csrmvn_adaptive_kernelIii21rocsparse_complex_numIdES2_S2_S2_EEvbT_PKS3_PjPKT0_NS_24const_host_device_scalarIT4_EES5_S9_PKT1_PKT2_SC_PT3_21rocsparse_index_base_b: ; @_ZN9rocsparseL22csrmvn_adaptive_kernelIii21rocsparse_complex_numIdES2_S2_S2_EEvbT_PKS3_PjPKT0_NS_24const_host_device_scalarIT4_EES5_S9_PKT1_PKT2_SC_PT3_21rocsparse_index_base_b
; %bb.0:
	s_clause 0x1
	s_load_b64 s[28:29], s[0:1], 0x68
	s_load_b64 s[2:3], s[0:1], 0x20
	s_add_nc_u64 s[4:5], s[0:1], 32
	s_load_b64 s[6:7], s[0:1], 0x50
	s_wait_kmcnt 0x0
	s_bitcmp1_b32 s29, 0
	s_cselect_b32 s2, s4, s2
	s_cselect_b32 s3, s5, s3
	s_delay_alu instid0(SALU_CYCLE_1)
	v_dual_mov_b32 v1, s2 :: v_dual_mov_b32 v2, s3
	s_add_nc_u64 s[2:3], s[0:1], 0x50
	s_wait_alu 0xfffe
	s_cselect_b32 s2, s2, s6
	s_cselect_b32 s3, s3, s7
	flat_load_b128 v[5:8], v[1:2]
	s_wait_alu 0xfffe
	v_dual_mov_b32 v1, s2 :: v_dual_mov_b32 v2, s3
	flat_load_b128 v[1:4], v[1:2]
	s_wait_loadcnt_dscnt 0x101
	v_cmp_eq_f64_e32 vcc_lo, 0, v[5:6]
	v_cmp_eq_f64_e64 s2, 0, v[7:8]
	s_and_b32 s4, vcc_lo, s2
	s_mov_b32 s2, -1
	s_and_saveexec_b32 s3, s4
	s_cbranch_execz .LBB33_2
; %bb.1:
	s_wait_loadcnt_dscnt 0x0
	v_cmp_neq_f64_e32 vcc_lo, 1.0, v[1:2]
	v_cmp_neq_f64_e64 s2, 0, v[3:4]
	s_wait_alu 0xfffe
	s_or_b32 s2, vcc_lo, s2
	s_wait_alu 0xfffe
	s_or_not1_b32 s2, s2, exec_lo
.LBB33_2:
	s_wait_alu 0xfffe
	s_or_b32 exec_lo, exec_lo, s3
	s_and_saveexec_b32 s3, s2
	s_cbranch_execz .LBB33_116
; %bb.3:
	s_clause 0x1
	s_load_b128 s[20:23], s[0:1], 0x0
	s_load_b64 s[4:5], s[0:1], 0x18
	s_mov_b32 s34, ttmp9
	s_mov_b32 s3, -1
	s_wait_kmcnt 0x0
	s_bitcmp1_b32 s20, 0
	s_cselect_b32 s2, -1, 0
	s_ashr_i32 s35, ttmp9, 31
	s_delay_alu instid0(SALU_CYCLE_1) | instskip(NEXT) | instid1(SALU_CYCLE_1)
	s_lshl_b64 s[36:37], s[34:35], 2
	s_add_nc_u64 s[6:7], s[22:23], s[36:37]
	s_load_b64 s[24:25], s[6:7], 0x0
	s_load_b256 s[12:19], s[0:1], 0x30
	s_add_nc_u64 s[4:5], s[4:5], s[36:37]
	s_load_b64 s[22:23], s[0:1], 0x60
	s_wait_kmcnt 0x0
	s_ashr_i32 s31, s24, 31
	s_mov_b32 s30, s24
	s_delay_alu instid0(SALU_CYCLE_1) | instskip(NEXT) | instid1(SALU_CYCLE_1)
	s_lshl_b64 s[6:7], s[30:31], 2
	s_add_nc_u64 s[26:27], s[12:13], s[6:7]
	s_load_b32 s20, s[4:5], 0x0
	s_load_b32 s29, s[26:27], 0x0
	s_sub_co_i32 s4, s25, s24
	s_delay_alu instid0(SALU_CYCLE_1)
	s_cmp_lt_i32 s4, 2
	s_cbranch_scc0 .LBB33_72
; %bb.4:
	s_cmp_lg_u32 s4, 1
	v_cmp_gt_u32_e64 s3, 0x80, v0
	s_cselect_b32 s5, -1, 0
	s_wait_kmcnt 0x0
	s_cmp_lg_u32 s20, 0
	v_cmp_gt_u32_e64 s4, 64, v0
	s_cselect_b32 s6, -1, 0
	v_cmp_gt_u32_e64 s7, 8, v0
	s_or_b32 s6, s5, s6
	v_cmp_gt_u32_e64 s5, 32, v0
	s_and_b32 vcc_lo, exec_lo, s6
	v_cmp_gt_u32_e64 s6, 16, v0
	v_cmp_gt_u32_e64 s8, 4, v0
	;; [unrolled: 1-line block ×3, first 2 shown]
	v_cmp_eq_u32_e64 s10, 0, v0
	s_mov_b32 s11, -1
	s_cbranch_vccnz .LBB33_32
; %bb.5:
	s_wait_loadcnt_dscnt 0x0
	v_cmp_neq_f64_e32 vcc_lo, 0, v[1:2]
	v_cmp_neq_f64_e64 s11, 0, v[3:4]
	v_subrev_nc_u32_e32 v18, s28, v0
	v_dual_mov_b32 v20, 0 :: v_dual_lshlrev_b32 v19, 4, v0
	s_add_nc_u64 s[38:39], s[16:17], 8
	s_mov_b32 s40, s24
	s_or_b32 s33, vcc_lo, s11
	s_branch .LBB33_8
.LBB33_6:                               ;   in Loop: Header=BB33_8 Depth=1
	s_or_b32 exec_lo, exec_lo, s35
	s_lshl_b64 s[42:43], s[40:41], 4
	s_wait_alu 0xfffe
	s_add_nc_u64 s[42:43], s[22:23], s[42:43]
	s_wait_dscnt 0x0
	global_store_b128 v20, v[9:12], s[42:43]
.LBB33_7:                               ;   in Loop: Header=BB33_8 Depth=1
	s_wait_alu 0xfffe
	s_or_b32 exec_lo, exec_lo, s11
	s_add_co_i32 s40, s40, 1
	s_delay_alu instid0(SALU_CYCLE_1)
	s_cmp_ge_i32 s40, s25
	s_cbranch_scc1 .LBB33_31
.LBB33_8:                               ; =>This Loop Header: Depth=1
                                        ;     Child Loop BB33_10 Depth 2
	s_ashr_i32 s41, s40, 31
	v_mov_b32_e32 v11, 0
	s_lshl_b64 s[42:43], s[40:41], 2
	v_mov_b32_e32 v9, 0
	s_wait_alu 0xfffe
	s_add_nc_u64 s[42:43], s[12:13], s[42:43]
	v_mov_b32_e32 v10, 0
	s_load_b64 s[42:43], s[42:43], 0x0
	s_mov_b32 s35, exec_lo
	s_wait_kmcnt 0x0
	v_dual_mov_b32 v12, 0 :: v_dual_add_nc_u32 v13, s42, v18
	s_sub_co_i32 s42, s43, s28
	s_wait_alu 0xfffe
	s_delay_alu instid0(VALU_DEP_1)
	v_cmpx_gt_i32_e64 s42, v13
	s_cbranch_execz .LBB33_12
; %bb.9:                                ;   in Loop: Header=BB33_8 Depth=1
	v_ashrrev_i32_e32 v14, 31, v13
	v_mov_b32_e32 v11, 0
	v_mov_b32_e32 v12, 0
	s_mov_b32 s43, 0
	s_delay_alu instid0(VALU_DEP_3) | instskip(SKIP_1) | instid1(VALU_DEP_2)
	v_lshlrev_b64_e32 v[9:10], 4, v[13:14]
	v_lshlrev_b64_e32 v[16:17], 2, v[13:14]
	v_add_co_u32 v14, vcc_lo, s38, v9
	s_wait_alu 0xfffd
	s_delay_alu instid0(VALU_DEP_3) | instskip(NEXT) | instid1(VALU_DEP_3)
	v_add_co_ci_u32_e64 v15, null, s39, v10, vcc_lo
	v_add_co_u32 v16, vcc_lo, s14, v16
	s_wait_alu 0xfffd
	v_add_co_ci_u32_e64 v17, null, s15, v17, vcc_lo
	v_dual_mov_b32 v9, v11 :: v_dual_mov_b32 v10, v12
.LBB33_10:                              ;   Parent Loop BB33_8 Depth=1
                                        ; =>  This Inner Loop Header: Depth=2
	global_load_b32 v25, v[16:17], off
	global_load_b128 v[21:24], v[14:15], off offset:-8
	v_add_nc_u32_e32 v13, 0x100, v13
	v_add_co_u32 v16, s11, 0x400, v16
	s_wait_alu 0xf1ff
	v_add_co_ci_u32_e64 v17, null, 0, v17, s11
	s_wait_loadcnt 0x1
	v_subrev_nc_u32_e32 v25, s28, v25
	s_wait_loadcnt 0x0
	v_xor_b32_e32 v29, 0x80000000, v24
	s_delay_alu instid0(VALU_DEP_2) | instskip(NEXT) | instid1(VALU_DEP_2)
	v_ashrrev_i32_e32 v26, 31, v25
	v_cndmask_b32_e64 v24, v24, v29, s2
	s_delay_alu instid0(VALU_DEP_2) | instskip(NEXT) | instid1(VALU_DEP_2)
	v_lshlrev_b64_e32 v[25:26], 4, v[25:26]
	v_mul_f64_e64 v[29:30], v[23:24], -v[7:8]
	v_mul_f64_e32 v[23:24], v[5:6], v[23:24]
	s_delay_alu instid0(VALU_DEP_3) | instskip(SKIP_1) | instid1(VALU_DEP_4)
	v_add_co_u32 v25, vcc_lo, s18, v25
	s_wait_alu 0xfffd
	v_add_co_ci_u32_e64 v26, null, s19, v26, vcc_lo
	v_add_co_u32 v14, vcc_lo, 0x1000, v14
	s_wait_alu 0xfffd
	v_add_co_ci_u32_e64 v15, null, 0, v15, vcc_lo
	global_load_b128 v[25:28], v[25:26], off
	v_cmp_le_i32_e32 vcc_lo, s42, v13
	s_wait_alu 0xfffe
	s_or_b32 s43, vcc_lo, s43
	v_fma_f64 v[29:30], v[5:6], v[21:22], v[29:30]
	v_fma_f64 v[21:22], v[7:8], v[21:22], v[23:24]
	s_wait_loadcnt 0x0
	s_delay_alu instid0(VALU_DEP_2) | instskip(NEXT) | instid1(VALU_DEP_2)
	v_fma_f64 v[9:10], v[29:30], v[25:26], v[9:10]
	v_fma_f64 v[11:12], v[21:22], v[25:26], v[11:12]
	s_delay_alu instid0(VALU_DEP_2) | instskip(NEXT) | instid1(VALU_DEP_2)
	v_fma_f64 v[9:10], -v[21:22], v[27:28], v[9:10]
	v_fma_f64 v[11:12], v[29:30], v[27:28], v[11:12]
	s_wait_alu 0xfffe
	s_and_not1_b32 exec_lo, exec_lo, s43
	s_cbranch_execnz .LBB33_10
; %bb.11:                               ;   in Loop: Header=BB33_8 Depth=1
	s_or_b32 exec_lo, exec_lo, s43
.LBB33_12:                              ;   in Loop: Header=BB33_8 Depth=1
	s_delay_alu instid0(SALU_CYCLE_1)
	s_or_b32 exec_lo, exec_lo, s35
	ds_store_b128 v19, v[9:12]
	s_wait_dscnt 0x0
	s_barrier_signal -1
	s_barrier_wait -1
	global_inv scope:SCOPE_SE
	s_and_saveexec_b32 s11, s3
	s_cbranch_execz .LBB33_14
; %bb.13:                               ;   in Loop: Header=BB33_8 Depth=1
	ds_load_b128 v[9:12], v19 offset:2048
	ds_load_b128 v[13:16], v19
	s_wait_dscnt 0x0
	v_add_f64_e32 v[9:10], v[9:10], v[13:14]
	v_add_f64_e32 v[11:12], v[11:12], v[15:16]
	ds_store_b128 v19, v[9:12]
.LBB33_14:                              ;   in Loop: Header=BB33_8 Depth=1
	s_wait_alu 0xfffe
	s_or_b32 exec_lo, exec_lo, s11
	s_wait_loadcnt_dscnt 0x0
	s_barrier_signal -1
	s_barrier_wait -1
	global_inv scope:SCOPE_SE
	s_and_saveexec_b32 s11, s4
	s_cbranch_execz .LBB33_16
; %bb.15:                               ;   in Loop: Header=BB33_8 Depth=1
	ds_load_b128 v[9:12], v19 offset:1024
	ds_load_b128 v[13:16], v19
	s_wait_dscnt 0x0
	v_add_f64_e32 v[9:10], v[9:10], v[13:14]
	v_add_f64_e32 v[11:12], v[11:12], v[15:16]
	ds_store_b128 v19, v[9:12]
.LBB33_16:                              ;   in Loop: Header=BB33_8 Depth=1
	s_wait_alu 0xfffe
	s_or_b32 exec_lo, exec_lo, s11
	s_wait_loadcnt_dscnt 0x0
	;; [unrolled: 16-line block ×6, first 2 shown]
	s_barrier_signal -1
	s_barrier_wait -1
	global_inv scope:SCOPE_SE
	s_and_saveexec_b32 s11, s9
	s_cbranch_execz .LBB33_26
; %bb.25:                               ;   in Loop: Header=BB33_8 Depth=1
	ds_load_b128 v[9:12], v19
	ds_load_b128 v[13:16], v19 offset:32
	s_wait_dscnt 0x0
	v_add_f64_e32 v[9:10], v[13:14], v[9:10]
	v_add_f64_e32 v[11:12], v[15:16], v[11:12]
	ds_store_b128 v19, v[9:12]
.LBB33_26:                              ;   in Loop: Header=BB33_8 Depth=1
	s_wait_alu 0xfffe
	s_or_b32 exec_lo, exec_lo, s11
	s_wait_loadcnt_dscnt 0x0
	s_barrier_signal -1
	s_barrier_wait -1
	global_inv scope:SCOPE_SE
	s_and_saveexec_b32 s11, s10
	s_cbranch_execz .LBB33_28
; %bb.27:                               ;   in Loop: Header=BB33_8 Depth=1
	ds_load_b128 v[9:12], v20
	ds_load_b128 v[13:16], v20 offset:16
	s_wait_dscnt 0x0
	v_add_f64_e32 v[9:10], v[13:14], v[9:10]
	v_add_f64_e32 v[11:12], v[15:16], v[11:12]
	ds_store_b128 v20, v[9:12]
.LBB33_28:                              ;   in Loop: Header=BB33_8 Depth=1
	s_wait_alu 0xfffe
	s_or_b32 exec_lo, exec_lo, s11
	s_wait_loadcnt_dscnt 0x0
	s_barrier_signal -1
	s_barrier_wait -1
	global_inv scope:SCOPE_SE
	s_and_saveexec_b32 s11, s10
	s_cbranch_execz .LBB33_7
; %bb.29:                               ;   in Loop: Header=BB33_8 Depth=1
	ds_load_b128 v[9:12], v20
	s_and_saveexec_b32 s35, s33
	s_cbranch_execz .LBB33_6
; %bb.30:                               ;   in Loop: Header=BB33_8 Depth=1
	s_lshl_b64 s[42:43], s[40:41], 4
	s_wait_alu 0xfffe
	s_add_nc_u64 s[42:43], s[22:23], s[42:43]
	global_load_b128 v[13:16], v20, s[42:43]
	s_wait_loadcnt_dscnt 0x0
	v_fma_f64 v[9:10], v[1:2], v[13:14], v[9:10]
	v_fma_f64 v[11:12], v[3:4], v[13:14], v[11:12]
	s_delay_alu instid0(VALU_DEP_2) | instskip(NEXT) | instid1(VALU_DEP_2)
	v_fma_f64 v[9:10], -v[3:4], v[15:16], v[9:10]
	v_fma_f64 v[11:12], v[1:2], v[15:16], v[11:12]
	s_branch .LBB33_6
.LBB33_31:
	s_mov_b32 s11, 0
.LBB33_32:
	s_wait_alu 0xfffe
	s_and_b32 vcc_lo, exec_lo, s11
	s_wait_alu 0xfffe
	s_cbranch_vccz .LBB33_71
; %bb.33:
	s_load_b64 s[6:7], s[0:1], 0x10
	v_mov_b32_e32 v13, 0
	v_mov_b32_e32 v9, 0
	v_dual_mov_b32 v10, 0 :: v_dual_mov_b32 v11, 0
	v_or_b32_e32 v14, s20, v0
	v_mov_b32_e32 v12, 0
	s_sub_co_i32 s8, s34, s20
	s_mov_b32 s0, exec_lo
	s_wait_kmcnt 0x0
	s_add_nc_u64 s[4:5], s[6:7], s[36:37]
	global_load_b32 v18, v13, s[4:5]
	v_cmpx_eq_u32_e32 0, v14
	s_cbranch_execz .LBB33_37
; %bb.34:
	s_lshl_b64 s[10:11], s[30:31], 4
	s_wait_loadcnt_dscnt 0x100
	v_add_f64_e32 v[9:10], -1.0, v[1:2]
	s_wait_alu 0xfffe
	s_add_nc_u64 s[10:11], s[22:23], s[10:11]
	s_mov_b32 s1, exec_lo
	global_load_b128 v[11:14], v13, s[10:11]
	v_mbcnt_lo_u32_b32 v17, s1, 0
	s_mov_b32 s3, exec_lo
	s_wait_loadcnt 0x0
	s_wait_storecnt 0x0
	global_inv scope:SCOPE_DEV
	v_mul_f64_e64 v[15:16], v[13:14], -v[3:4]
	v_mul_f64_e32 v[13:14], v[9:10], v[13:14]
	v_cmpx_eq_u32_e32 0, v17
	s_cbranch_execz .LBB33_36
; %bb.35:
	s_bcnt1_i32_b32 s1, s1
	s_ashr_i32 s9, s8, 31
	s_wait_alu 0xfffe
	s_and_b32 s1, s1, 1
	v_mov_b32_e32 v17, 0
	s_wait_alu 0xfffe
	v_mov_b32_e32 v19, s1
	s_lshl_b64 s[10:11], s[8:9], 2
	s_wait_alu 0xfffe
	s_add_nc_u64 s[10:11], s[6:7], s[10:11]
	global_atomic_xor_b32 v17, v19, s[10:11] scope:SCOPE_DEV
.LBB33_36:
	s_wait_alu 0xfffe
	s_or_b32 exec_lo, exec_lo, s3
	s_delay_alu instid0(VALU_DEP_3) | instskip(NEXT) | instid1(VALU_DEP_3)
	v_fma_f64 v[9:10], v[9:10], v[11:12], v[15:16]
	v_fma_f64 v[11:12], v[3:4], v[11:12], v[13:14]
.LBB33_37:
	s_or_b32 exec_lo, exec_lo, s0
	s_load_b32 s0, s[26:27], 0x4
	s_mul_i32 s1, s20, 0xc00
	s_sub_co_i32 s3, s29, s28
	s_wait_alu 0xfffe
	s_add_co_i32 s3, s3, s1
	s_mov_b32 s1, exec_lo
	s_wait_alu 0xfffe
	v_add_nc_u32_e32 v13, s3, v0
	s_wait_kmcnt 0x0
	s_sub_co_i32 s0, s0, s28
	s_wait_alu 0xfffe
	s_delay_alu instid0(VALU_DEP_1)
	v_cmpx_gt_i32_e64 s0, v13
	s_cbranch_execz .LBB33_41
; %bb.38:
	v_ashrrev_i32_e32 v14, 31, v13
	s_addk_co_i32 s3, 0xc00
	s_mov_b32 s9, 0
	s_wait_alu 0xfffe
	s_min_i32 s3, s3, s0
	v_lshlrev_b64_e32 v[15:16], 4, v[13:14]
	s_delay_alu instid0(VALU_DEP_1) | instskip(SKIP_1) | instid1(VALU_DEP_2)
	v_add_co_u32 v15, vcc_lo, s16, v15
	s_wait_alu 0xfffd
	v_add_co_ci_u32_e64 v19, null, s17, v16, vcc_lo
	v_lshlrev_b64_e32 v[16:17], 2, v[13:14]
	s_delay_alu instid0(VALU_DEP_3) | instskip(SKIP_1) | instid1(VALU_DEP_3)
	v_add_co_u32 v14, vcc_lo, v15, 8
	s_wait_alu 0xfffd
	v_add_co_ci_u32_e64 v15, null, 0, v19, vcc_lo
	s_delay_alu instid0(VALU_DEP_3)
	v_add_co_u32 v16, vcc_lo, s14, v16
	s_wait_alu 0xfffd
	v_add_co_ci_u32_e64 v17, null, s15, v17, vcc_lo
.LBB33_39:                              ; =>This Inner Loop Header: Depth=1
	global_load_b32 v23, v[16:17], off
	global_load_b128 v[19:22], v[14:15], off offset:-8
	v_add_nc_u32_e32 v13, 0x100, v13
	v_add_co_u32 v16, s0, 0x400, v16
	s_wait_alu 0xf1ff
	v_add_co_ci_u32_e64 v17, null, 0, v17, s0
	s_wait_loadcnt 0x1
	v_subrev_nc_u32_e32 v23, s28, v23
	s_wait_loadcnt 0x0
	v_xor_b32_e32 v27, 0x80000000, v22
	s_delay_alu instid0(VALU_DEP_2) | instskip(NEXT) | instid1(VALU_DEP_2)
	v_ashrrev_i32_e32 v24, 31, v23
	v_cndmask_b32_e64 v22, v22, v27, s2
	s_delay_alu instid0(VALU_DEP_2) | instskip(NEXT) | instid1(VALU_DEP_2)
	v_lshlrev_b64_e32 v[23:24], 4, v[23:24]
	v_mul_f64_e64 v[27:28], v[21:22], -v[7:8]
	v_mul_f64_e32 v[21:22], v[5:6], v[21:22]
	s_delay_alu instid0(VALU_DEP_3) | instskip(SKIP_1) | instid1(VALU_DEP_4)
	v_add_co_u32 v23, vcc_lo, s18, v23
	s_wait_alu 0xfffd
	v_add_co_ci_u32_e64 v24, null, s19, v24, vcc_lo
	v_add_co_u32 v14, vcc_lo, 0x1000, v14
	s_wait_alu 0xfffd
	v_add_co_ci_u32_e64 v15, null, 0, v15, vcc_lo
	global_load_b128 v[23:26], v[23:24], off
	s_wait_alu 0xfffe
	v_cmp_le_i32_e32 vcc_lo, s3, v13
	s_or_b32 s9, vcc_lo, s9
	v_fma_f64 v[27:28], v[5:6], v[19:20], v[27:28]
	v_fma_f64 v[19:20], v[7:8], v[19:20], v[21:22]
	s_wait_loadcnt 0x0
	s_delay_alu instid0(VALU_DEP_2) | instskip(NEXT) | instid1(VALU_DEP_2)
	v_fma_f64 v[9:10], v[27:28], v[23:24], v[9:10]
	v_fma_f64 v[11:12], v[19:20], v[23:24], v[11:12]
	s_delay_alu instid0(VALU_DEP_2) | instskip(NEXT) | instid1(VALU_DEP_2)
	v_fma_f64 v[9:10], -v[19:20], v[25:26], v[9:10]
	v_fma_f64 v[11:12], v[27:28], v[25:26], v[11:12]
	s_and_not1_b32 exec_lo, exec_lo, s9
	s_cbranch_execnz .LBB33_39
; %bb.40:
	s_or_b32 exec_lo, exec_lo, s9
.LBB33_41:
	s_delay_alu instid0(SALU_CYCLE_1)
	s_or_b32 exec_lo, exec_lo, s1
	v_lshlrev_b32_e32 v13, 4, v0
	s_mov_b32 s0, exec_lo
	ds_store_b128 v13, v[9:12]
	s_wait_storecnt 0x0
	s_wait_loadcnt_dscnt 0x0
	s_barrier_signal -1
	s_barrier_wait -1
	global_inv scope:SCOPE_SE
	v_cmpx_gt_u32_e32 0x80, v0
	s_cbranch_execz .LBB33_43
; %bb.42:
	ds_load_b128 v[9:12], v13 offset:2048
	ds_load_b128 v[14:17], v13
	s_wait_dscnt 0x0
	v_add_f64_e32 v[9:10], v[9:10], v[14:15]
	v_add_f64_e32 v[11:12], v[11:12], v[16:17]
	ds_store_b128 v13, v[9:12]
.LBB33_43:
	s_wait_alu 0xfffe
	s_or_b32 exec_lo, exec_lo, s0
	s_delay_alu instid0(SALU_CYCLE_1)
	s_mov_b32 s0, exec_lo
	s_wait_loadcnt_dscnt 0x0
	s_barrier_signal -1
	s_barrier_wait -1
	global_inv scope:SCOPE_SE
	v_cmpx_gt_u32_e32 64, v0
	s_cbranch_execz .LBB33_45
; %bb.44:
	ds_load_b128 v[9:12], v13 offset:1024
	ds_load_b128 v[14:17], v13
	s_wait_dscnt 0x0
	v_add_f64_e32 v[9:10], v[9:10], v[14:15]
	v_add_f64_e32 v[11:12], v[11:12], v[16:17]
	ds_store_b128 v13, v[9:12]
.LBB33_45:
	s_wait_alu 0xfffe
	s_or_b32 exec_lo, exec_lo, s0
	s_delay_alu instid0(SALU_CYCLE_1)
	s_mov_b32 s0, exec_lo
	;; [unrolled: 18-line block ×6, first 2 shown]
	s_wait_loadcnt_dscnt 0x0
	s_barrier_signal -1
	s_barrier_wait -1
	global_inv scope:SCOPE_SE
	v_cmpx_gt_u32_e32 2, v0
	s_cbranch_execz .LBB33_55
; %bb.54:
	ds_load_b128 v[9:12], v13
	ds_load_b128 v[14:17], v13 offset:32
	s_wait_dscnt 0x0
	v_add_f64_e32 v[9:10], v[14:15], v[9:10]
	v_add_f64_e32 v[11:12], v[16:17], v[11:12]
	ds_store_b128 v13, v[9:12]
.LBB33_55:
	s_wait_alu 0xfffe
	s_or_b32 exec_lo, exec_lo, s0
	v_cmp_eq_u32_e32 vcc_lo, 0, v0
	s_wait_loadcnt_dscnt 0x0
	s_barrier_signal -1
	s_barrier_wait -1
	global_inv scope:SCOPE_SE
	s_and_saveexec_b32 s0, vcc_lo
	s_cbranch_execz .LBB33_57
; %bb.56:
	v_mov_b32_e32 v17, 0
	ds_load_b128 v[9:12], v17
	ds_load_b128 v[13:16], v17 offset:16
	s_wait_dscnt 0x0
	v_add_f64_e32 v[9:10], v[13:14], v[9:10]
	v_add_f64_e32 v[11:12], v[15:16], v[11:12]
	ds_store_b128 v17, v[9:12]
.LBB33_57:
	s_wait_alu 0xfffe
	s_or_b32 exec_lo, exec_lo, s0
	s_wait_loadcnt_dscnt 0x0
	s_barrier_signal -1
	s_barrier_wait -1
	global_inv scope:SCOPE_SE
	s_and_saveexec_b32 s3, vcc_lo
	s_cbranch_execz .LBB33_70
; %bb.58:
	s_cmp_eq_u32 s20, 0
	s_cbranch_scc1 .LBB33_64
; %bb.59:
	s_ashr_i32 s9, s8, 31
	v_mov_b32_e32 v9, 0
	s_lshl_b64 s[0:1], s[8:9], 2
	s_wait_alu 0xfffe
	s_add_nc_u64 s[0:1], s[6:7], s[0:1]
	s_branch .LBB33_61
.LBB33_60:                              ;   in Loop: Header=BB33_61 Depth=1
	s_wait_alu 0xfffe
	s_or_b32 exec_lo, exec_lo, s6
	s_wait_loadcnt 0x0
	v_readfirstlane_b32 s6, v10
	s_wait_alu 0xf1ff
	s_delay_alu instid0(VALU_DEP_1)
	v_cmp_eq_u32_e32 vcc_lo, s6, v18
	s_cbranch_vccz .LBB33_63
.LBB33_61:                              ; =>This Inner Loop Header: Depth=1
	v_mbcnt_lo_u32_b32 v10, exec_lo, 0
	s_delay_alu instid0(VALU_DEP_1)
	v_cmp_eq_u32_e32 vcc_lo, 0, v10
                                        ; implicit-def: $vgpr10
	s_and_saveexec_b32 s6, vcc_lo
	s_cbranch_execz .LBB33_60
; %bb.62:                               ;   in Loop: Header=BB33_61 Depth=1
	global_load_b32 v10, v9, s[0:1] scope:SCOPE_DEV
	s_branch .LBB33_60
.LBB33_63:
	v_mov_b32_e32 v9, 0
	global_load_u16 v10, v9, s[4:5]
	s_wait_loadcnt 0x0
	v_xor_b32_e32 v10, 1, v10
	global_store_b16 v9, v10, s[4:5]
.LBB33_64:
	v_mov_b32_e32 v17, 0
	s_mov_b32 s5, exec_lo
	s_lshl_b64 s[0:1], s[30:31], 4
	v_mbcnt_lo_u32_b32 v13, s5, 0
	s_wait_alu 0xfffe
	s_add_nc_u64 s[0:1], s[22:23], s[0:1]
	ds_load_b128 v[9:12], v17
	s_mov_b32 s4, exec_lo
	v_cmpx_eq_u32_e32 0, v13
	s_cbranch_execz .LBB33_67
; %bb.65:
	global_load_b64 v[15:16], v17, s[0:1]
	s_bcnt1_i32_b32 s5, s5
	s_wait_alu 0xfffe
	v_cvt_f64_u32_e32 v[13:14], s5
	s_mov_b32 s5, 0
	s_wait_dscnt 0x0
	s_delay_alu instid0(VALU_DEP_1)
	v_mul_f64_e32 v[9:10], v[9:10], v[13:14]
.LBB33_66:                              ; =>This Inner Loop Header: Depth=1
	s_wait_loadcnt 0x0
	s_delay_alu instid0(VALU_DEP_1)
	v_add_f64_e32 v[13:14], v[15:16], v[9:10]
	global_atomic_cmpswap_b64 v[13:14], v17, v[13:16], s[0:1] th:TH_ATOMIC_RETURN scope:SCOPE_DEV
	s_wait_loadcnt 0x0
	v_cmp_eq_u64_e32 vcc_lo, v[13:14], v[15:16]
	v_dual_mov_b32 v16, v14 :: v_dual_mov_b32 v15, v13
	s_wait_alu 0xfffe
	s_or_b32 s5, vcc_lo, s5
	s_wait_alu 0xfffe
	s_and_not1_b32 exec_lo, exec_lo, s5
	s_cbranch_execnz .LBB33_66
.LBB33_67:
	s_wait_alu 0xfffe
	s_or_b32 exec_lo, exec_lo, s4
	s_delay_alu instid0(SALU_CYCLE_1) | instskip(SKIP_4) | instid1(VALU_DEP_1)
	s_mov_b32 s5, exec_lo
	s_mov_b32 s4, 0
	s_wait_dscnt 0x0
	s_wait_alu 0xfffe
	v_mbcnt_lo_u32_b32 v9, s5, 0
	v_cmp_eq_u32_e32 vcc_lo, 0, v9
	s_and_b32 s6, exec_lo, vcc_lo
	s_wait_alu 0xfffe
	s_mov_b32 exec_lo, s6
	s_cbranch_execz .LBB33_70
; %bb.68:
	v_mov_b32_e32 v15, 0
	s_bcnt1_i32_b32 s5, s5
	s_wait_alu 0xfffe
	v_cvt_f64_u32_e32 v[9:10], s5
	global_load_b64 v[13:14], v15, s[0:1] offset:8
	v_mul_f64_e32 v[9:10], v[11:12], v[9:10]
.LBB33_69:                              ; =>This Inner Loop Header: Depth=1
	s_wait_loadcnt 0x0
	s_delay_alu instid0(VALU_DEP_1)
	v_add_f64_e32 v[11:12], v[13:14], v[9:10]
	global_atomic_cmpswap_b64 v[11:12], v15, v[11:14], s[0:1] offset:8 th:TH_ATOMIC_RETURN scope:SCOPE_DEV
	s_wait_loadcnt 0x0
	v_cmp_eq_u64_e32 vcc_lo, v[11:12], v[13:14]
	v_dual_mov_b32 v14, v12 :: v_dual_mov_b32 v13, v11
	s_or_b32 s4, vcc_lo, s4
	s_wait_alu 0xfffe
	s_and_not1_b32 exec_lo, exec_lo, s4
	s_cbranch_execnz .LBB33_69
.LBB33_70:
	s_wait_alu 0xfffe
	s_or_b32 exec_lo, exec_lo, s3
.LBB33_71:
	s_mov_b32 s3, 0
.LBB33_72:
	s_wait_alu 0xfffe
	s_and_not1_b32 vcc_lo, exec_lo, s3
	s_wait_alu 0xfffe
	s_cbranch_vccnz .LBB33_116
; %bb.73:
	v_subrev_nc_u32_e32 v9, s28, v0
	s_mov_b32 s0, exec_lo
	s_wait_kmcnt 0x0
	s_delay_alu instid0(VALU_DEP_1) | instskip(NEXT) | instid1(VALU_DEP_1)
	v_add_nc_u32_e32 v9, s29, v9
	v_add_nc_u32_e32 v10, 0x300, v9
	s_delay_alu instid0(VALU_DEP_1)
	v_cmpx_le_i32_e64 s21, v10
	s_wait_alu 0xfffe
	s_xor_b32 s0, exec_lo, s0
	s_cbranch_execz .LBB33_78
; %bb.74:
	s_ashr_i32 s5, s25, 31
	s_mov_b32 s4, s25
	s_mov_b32 s3, exec_lo
	s_wait_alu 0xfffe
	s_lshl_b64 s[4:5], s[4:5], 2
	s_wait_alu 0xfffe
	s_add_nc_u64 s[4:5], s[12:13], s[4:5]
	s_load_b32 s1, s[4:5], 0x0
	s_wait_kmcnt 0x0
	s_sub_co_i32 s1, s1, s28
	s_wait_alu 0xfffe
	v_cmpx_gt_i32_e64 s1, v9
	s_cbranch_execz .LBB33_77
; %bb.75:
	v_lshlrev_b32_e32 v11, 4, v0
	s_mov_b32 s4, 0
.LBB33_76:                              ; =>This Inner Loop Header: Depth=1
	v_ashrrev_i32_e32 v10, 31, v9
	s_delay_alu instid0(VALU_DEP_1) | instskip(NEXT) | instid1(VALU_DEP_1)
	v_lshlrev_b64_e32 v[12:13], 2, v[9:10]
	v_add_co_u32 v12, vcc_lo, s14, v12
	s_wait_alu 0xfffd
	s_delay_alu instid0(VALU_DEP_2) | instskip(SKIP_3) | instid1(VALU_DEP_2)
	v_add_co_ci_u32_e64 v13, null, s15, v13, vcc_lo
	global_load_b32 v16, v[12:13], off
	v_lshlrev_b64_e32 v[12:13], 4, v[9:10]
	v_add_nc_u32_e32 v9, 0x100, v9
	v_add_co_u32 v12, vcc_lo, s16, v12
	s_wait_alu 0xfffd
	s_delay_alu instid0(VALU_DEP_3) | instskip(SKIP_3) | instid1(VALU_DEP_1)
	v_add_co_ci_u32_e64 v13, null, s17, v13, vcc_lo
	global_load_b128 v[12:15], v[12:13], off
	s_wait_loadcnt 0x1
	v_subrev_nc_u32_e32 v16, s28, v16
	v_ashrrev_i32_e32 v17, 31, v16
	s_delay_alu instid0(VALU_DEP_1) | instskip(SKIP_2) | instid1(VALU_DEP_2)
	v_lshlrev_b64_e32 v[16:17], 4, v[16:17]
	s_wait_loadcnt 0x0
	v_xor_b32_e32 v10, 0x80000000, v15
	v_add_co_u32 v16, vcc_lo, s18, v16
	s_wait_alu 0xfffd
	s_delay_alu instid0(VALU_DEP_3) | instskip(NEXT) | instid1(VALU_DEP_3)
	v_add_co_ci_u32_e64 v17, null, s19, v17, vcc_lo
	v_cndmask_b32_e64 v15, v15, v10, s2
	v_cmp_le_i32_e32 vcc_lo, s1, v9
	global_load_b128 v[16:19], v[16:17], off
	v_mul_f64_e32 v[20:21], v[5:6], v[14:15]
	v_mul_f64_e64 v[14:15], v[14:15], -v[7:8]
	s_wait_alu 0xfffe
	s_or_b32 s4, vcc_lo, s4
	s_delay_alu instid0(VALU_DEP_2) | instskip(NEXT) | instid1(VALU_DEP_2)
	v_fma_f64 v[20:21], v[7:8], v[12:13], v[20:21]
	v_fma_f64 v[12:13], v[5:6], v[12:13], v[14:15]
	s_wait_loadcnt 0x0
	s_delay_alu instid0(VALU_DEP_2) | instskip(NEXT) | instid1(VALU_DEP_2)
	v_mul_f64_e64 v[14:15], v[18:19], -v[20:21]
	v_mul_f64_e32 v[18:19], v[18:19], v[12:13]
	s_delay_alu instid0(VALU_DEP_2) | instskip(NEXT) | instid1(VALU_DEP_2)
	v_fma_f64 v[12:13], v[12:13], v[16:17], v[14:15]
	v_fma_f64 v[14:15], v[20:21], v[16:17], v[18:19]
	ds_store_b128 v11, v[12:15]
	v_add_nc_u32_e32 v11, 0x1000, v11
	s_wait_alu 0xfffe
	s_and_not1_b32 exec_lo, exec_lo, s4
	s_cbranch_execnz .LBB33_76
.LBB33_77:
	s_or_b32 exec_lo, exec_lo, s3
                                        ; implicit-def: $vgpr9
                                        ; implicit-def: $vgpr7_vgpr8
.LBB33_78:
	s_wait_alu 0xfffe
	s_or_saveexec_b32 s0, s0
	v_lshlrev_b32_e32 v13, 4, v0
	s_wait_alu 0xfffe
	s_xor_b32 exec_lo, exec_lo, s0
	s_cbranch_execz .LBB33_80
; %bb.79:
	v_ashrrev_i32_e32 v10, 31, v9
	s_delay_alu instid0(VALU_DEP_1) | instskip(SKIP_1) | instid1(VALU_DEP_2)
	v_lshlrev_b64_e32 v[11:12], 2, v[9:10]
	v_lshlrev_b64_e32 v[9:10], 4, v[9:10]
	v_add_co_u32 v11, vcc_lo, s14, v11
	s_wait_alu 0xfffd
	s_delay_alu instid0(VALU_DEP_3) | instskip(NEXT) | instid1(VALU_DEP_3)
	v_add_co_ci_u32_e64 v12, null, s15, v12, vcc_lo
	v_add_co_u32 v22, vcc_lo, s16, v9
	s_wait_alu 0xfffd
	v_add_co_ci_u32_e64 v23, null, s17, v10, vcc_lo
	s_clause 0x3
	global_load_b32 v26, v[11:12], off
	global_load_b32 v27, v[11:12], off offset:1024
	global_load_b32 v29, v[11:12], off offset:2048
	global_load_b32 v31, v[11:12], off offset:3072
	s_clause 0x3
	global_load_b128 v[9:12], v[22:23], off
	global_load_b128 v[14:17], v[22:23], off offset:4096
	global_load_b128 v[18:21], v[22:23], off offset:8192
	;; [unrolled: 1-line block ×3, first 2 shown]
	s_wait_loadcnt 0x7
	v_subrev_nc_u32_e32 v26, s28, v26
	s_wait_loadcnt 0x6
	v_subrev_nc_u32_e32 v28, s28, v27
	;; [unrolled: 2-line block ×4, first 2 shown]
	s_wait_loadcnt 0x3
	v_xor_b32_e32 v42, 0x80000000, v12
	v_ashrrev_i32_e32 v27, 31, v26
	v_ashrrev_i32_e32 v29, 31, v28
	;; [unrolled: 1-line block ×4, first 2 shown]
	s_wait_loadcnt 0x2
	v_xor_b32_e32 v43, 0x80000000, v17
	v_lshlrev_b64_e32 v[26:27], 4, v[26:27]
	v_lshlrev_b64_e32 v[28:29], 4, v[28:29]
	;; [unrolled: 1-line block ×4, first 2 shown]
	s_wait_loadcnt 0x1
	v_xor_b32_e32 v44, 0x80000000, v21
	s_wait_loadcnt 0x0
	v_xor_b32_e32 v45, 0x80000000, v25
	v_add_co_u32 v26, vcc_lo, s18, v26
	s_wait_alu 0xfffd
	v_add_co_ci_u32_e64 v27, null, s19, v27, vcc_lo
	v_add_co_u32 v34, vcc_lo, s18, v28
	s_wait_alu 0xfffd
	v_add_co_ci_u32_e64 v35, null, s19, v29, vcc_lo
	;; [unrolled: 3-line block ×3, first 2 shown]
	v_add_co_u32 v38, vcc_lo, s18, v32
	global_load_b128 v[26:29], v[26:27], off
	s_wait_alu 0xfffd
	v_add_co_ci_u32_e64 v39, null, s19, v33, vcc_lo
	s_clause 0x2
	global_load_b128 v[30:33], v[34:35], off
	global_load_b128 v[34:37], v[36:37], off
	;; [unrolled: 1-line block ×3, first 2 shown]
	v_cndmask_b32_e64 v12, v12, v42, s2
	v_cndmask_b32_e64 v17, v17, v43, s2
	;; [unrolled: 1-line block ×4, first 2 shown]
	s_delay_alu instid0(VALU_DEP_4)
	v_mul_f64_e32 v[42:43], v[5:6], v[11:12]
	v_mul_f64_e64 v[11:12], v[11:12], -v[7:8]
	v_mul_f64_e32 v[44:45], v[5:6], v[16:17]
	v_mul_f64_e64 v[16:17], v[16:17], -v[7:8]
	;; [unrolled: 2-line block ×4, first 2 shown]
	v_fma_f64 v[42:43], v[7:8], v[9:10], v[42:43]
	v_fma_f64 v[9:10], v[5:6], v[9:10], v[11:12]
	;; [unrolled: 1-line block ×8, first 2 shown]
	s_wait_loadcnt 0x3
	v_mul_f64_e64 v[5:6], v[28:29], -v[42:43]
	v_mul_f64_e32 v[7:8], v[28:29], v[9:10]
	s_wait_loadcnt 0x2
	v_mul_f64_e64 v[24:25], v[32:33], -v[11:12]
	v_mul_f64_e32 v[28:29], v[32:33], v[14:15]
	;; [unrolled: 3-line block ×4, first 2 shown]
	v_fma_f64 v[5:6], v[9:10], v[26:27], v[5:6]
	v_fma_f64 v[7:8], v[42:43], v[26:27], v[7:8]
	;; [unrolled: 1-line block ×8, first 2 shown]
	ds_store_b128 v13, v[5:8]
	ds_store_b128 v13, v[9:12] offset:4096
	ds_store_b128 v13, v[14:17] offset:8192
	;; [unrolled: 1-line block ×3, first 2 shown]
.LBB33_80:
	s_or_b32 exec_lo, exec_lo, s0
	s_cmp_lt_i32 s20, 2
	s_mov_b32 s0, -1
	s_wait_storecnt 0x0
	s_wait_loadcnt_dscnt 0x0
	s_barrier_signal -1
	s_barrier_wait -1
	global_inv scope:SCOPE_SE
	s_cbranch_scc0 .LBB33_91
; %bb.81:
	v_add_nc_u32_e32 v9, s24, v0
	s_mov_b32 s1, exec_lo
	s_delay_alu instid0(VALU_DEP_1)
	v_cmpx_gt_i32_e64 s25, v9
	s_cbranch_execz .LBB33_90
; %bb.82:
	v_cmp_neq_f64_e32 vcc_lo, 0, v[1:2]
	v_cmp_neq_f64_e64 s0, 0, v[3:4]
	s_lshl_b32 s4, s29, 4
	s_mov_b32 s2, 0
	s_wait_alu 0xfffe
	s_sub_co_i32 s4, 0, s4
	s_or_b32 s3, vcc_lo, s0
	s_branch .LBB33_84
.LBB33_83:                              ;   in Loop: Header=BB33_84 Depth=1
	s_wait_alu 0xfffe
	s_or_b32 exec_lo, exec_lo, s0
	v_add_nc_u32_e32 v9, 0x100, v9
	v_add_co_u32 v10, s0, s22, v10
	s_wait_alu 0xf1ff
	v_add_co_ci_u32_e64 v11, null, s23, v11, s0
	s_delay_alu instid0(VALU_DEP_3)
	v_cmp_le_i32_e32 vcc_lo, s25, v9
	global_store_b128 v[10:11], v[5:8], off
	s_or_b32 s2, vcc_lo, s2
	s_wait_alu 0xfffe
	s_and_not1_b32 exec_lo, exec_lo, s2
	s_cbranch_execz .LBB33_90
.LBB33_84:                              ; =>This Loop Header: Depth=1
                                        ;     Child Loop BB33_86 Depth 2
	v_ashrrev_i32_e32 v10, 31, v9
	v_mov_b32_e32 v7, 0
	v_mov_b32_e32 v8, 0
	s_mov_b32 s0, exec_lo
	s_delay_alu instid0(VALU_DEP_3) | instskip(NEXT) | instid1(VALU_DEP_1)
	v_lshlrev_b64_e32 v[5:6], 2, v[9:10]
	v_add_co_u32 v5, vcc_lo, s12, v5
	s_wait_alu 0xfffd
	s_delay_alu instid0(VALU_DEP_2)
	v_add_co_ci_u32_e64 v6, null, s13, v6, vcc_lo
	global_load_b64 v[11:12], v[5:6], off
	v_mov_b32_e32 v5, 0
	v_mov_b32_e32 v6, 0
	s_wait_loadcnt 0x0
	v_cmpx_lt_i32_e64 v11, v12
	s_cbranch_execz .LBB33_88
; %bb.85:                               ;   in Loop: Header=BB33_84 Depth=1
	v_mov_b32_e32 v7, 0
	v_mov_b32_e32 v8, 0
	v_subrev_nc_u32_e32 v12, s29, v12
	v_subrev_nc_u32_e32 v14, s29, v11
	s_wait_alu 0xfffe
	v_lshl_add_u32 v11, v11, 4, s4
	v_dual_mov_b32 v5, v7 :: v_dual_mov_b32 v6, v8
	s_mov_b32 s5, 0
.LBB33_86:                              ;   Parent Loop BB33_84 Depth=1
                                        ; =>  This Inner Loop Header: Depth=2
	ds_load_b128 v[15:18], v11
	v_add_nc_u32_e32 v14, 1, v14
	v_add_nc_u32_e32 v11, 16, v11
	s_delay_alu instid0(VALU_DEP_2)
	v_cmp_ge_i32_e32 vcc_lo, v14, v12
	s_wait_alu 0xfffe
	s_or_b32 s5, vcc_lo, s5
	s_wait_dscnt 0x0
	v_add_f64_e32 v[5:6], v[5:6], v[15:16]
	v_add_f64_e32 v[7:8], v[7:8], v[17:18]
	s_wait_alu 0xfffe
	s_and_not1_b32 exec_lo, exec_lo, s5
	s_cbranch_execnz .LBB33_86
; %bb.87:                               ;   in Loop: Header=BB33_84 Depth=1
	s_or_b32 exec_lo, exec_lo, s5
.LBB33_88:                              ;   in Loop: Header=BB33_84 Depth=1
	s_wait_alu 0xfffe
	s_or_b32 exec_lo, exec_lo, s0
	v_lshlrev_b64_e32 v[10:11], 4, v[9:10]
	s_and_saveexec_b32 s0, s3
	s_cbranch_execz .LBB33_83
; %bb.89:                               ;   in Loop: Header=BB33_84 Depth=1
	s_delay_alu instid0(VALU_DEP_1) | instskip(SKIP_1) | instid1(VALU_DEP_2)
	v_add_co_u32 v14, vcc_lo, s22, v10
	s_wait_alu 0xfffd
	v_add_co_ci_u32_e64 v15, null, s23, v11, vcc_lo
	global_load_b128 v[14:17], v[14:15], off
	s_wait_loadcnt 0x0
	v_fma_f64 v[5:6], v[1:2], v[14:15], v[5:6]
	v_fma_f64 v[7:8], v[3:4], v[14:15], v[7:8]
	s_delay_alu instid0(VALU_DEP_2) | instskip(NEXT) | instid1(VALU_DEP_2)
	v_fma_f64 v[5:6], -v[3:4], v[16:17], v[5:6]
	v_fma_f64 v[7:8], v[1:2], v[16:17], v[7:8]
	s_branch .LBB33_83
.LBB33_90:
	s_wait_alu 0xfffe
	s_or_b32 exec_lo, exec_lo, s1
	s_mov_b32 s0, 0
.LBB33_91:
	s_wait_alu 0xfffe
	s_and_not1_b32 vcc_lo, exec_lo, s0
	s_wait_alu 0xfffe
	s_cbranch_vccnz .LBB33_116
; %bb.92:
	s_clz_i32_u32 s0, s20
	s_mov_b32 s1, exec_lo
	s_wait_alu 0xfffe
	s_xor_b32 s0, s0, 31
	s_wait_alu 0xfffe
	v_lshrrev_b32_e32 v10, s0, v0
	s_add_co_i32 s0, s20, -1
	s_wait_alu 0xfffe
	v_dual_mov_b32 v5, 0 :: v_dual_and_b32 v0, s0, v0
	s_delay_alu instid0(VALU_DEP_2) | instskip(NEXT) | instid1(VALU_DEP_1)
	v_dual_mov_b32 v6, 0 :: v_dual_add_nc_u32 v9, s24, v10
	v_dual_mov_b32 v8, v6 :: v_dual_mov_b32 v7, v5
	s_delay_alu instid0(VALU_DEP_2)
	v_cmp_le_i32_e32 vcc_lo, s25, v9
	v_cmpx_gt_i32_e64 s25, v9
	s_cbranch_execz .LBB33_98
; %bb.93:
	v_lshlrev_b32_e32 v5, 2, v10
	v_subrev_nc_u32_e32 v7, s29, v0
	s_mov_b32 s2, exec_lo
	global_load_b64 v[5:6], v5, s[26:27]
	s_wait_loadcnt 0x0
	v_subrev_nc_u32_e32 v10, s29, v6
	v_add_nc_u32_e32 v11, v5, v7
	v_mov_b32_e32 v7, 0
	v_dual_mov_b32 v5, 0 :: v_dual_mov_b32 v8, 0
	v_mov_b32_e32 v6, 0
	s_delay_alu instid0(VALU_DEP_4)
	v_cmpx_lt_i32_e64 v11, v10
	s_cbranch_execz .LBB33_97
; %bb.94:
	v_dual_mov_b32 v7, 0 :: v_dual_lshlrev_b32 v12, 4, v11
	v_mov_b32_e32 v8, 0
	s_delay_alu instid0(VALU_DEP_2) | instskip(SKIP_2) | instid1(VALU_DEP_2)
	v_mov_b32_e32 v5, v7
	s_lshl_b32 s4, s20, 4
	s_mov_b32 s3, 0
	v_mov_b32_e32 v6, v8
.LBB33_95:                              ; =>This Inner Loop Header: Depth=1
	ds_load_b128 v[14:17], v12
	v_add_nc_u32_e32 v11, s20, v11
	s_wait_alu 0xfffe
	v_add_nc_u32_e32 v12, s4, v12
	s_delay_alu instid0(VALU_DEP_2)
	v_cmp_ge_i32_e64 s0, v11, v10
	s_or_b32 s3, s0, s3
	s_wait_dscnt 0x0
	v_add_f64_e32 v[5:6], v[5:6], v[14:15]
	v_add_f64_e32 v[7:8], v[7:8], v[16:17]
	s_wait_alu 0xfffe
	s_and_not1_b32 exec_lo, exec_lo, s3
	s_cbranch_execnz .LBB33_95
; %bb.96:
	s_or_b32 exec_lo, exec_lo, s3
.LBB33_97:
	s_wait_alu 0xfffe
	s_or_b32 exec_lo, exec_lo, s2
.LBB33_98:
	s_delay_alu instid0(SALU_CYCLE_1)
	s_or_b32 exec_lo, exec_lo, s1
	s_cmp_lt_u32 s20, 0x81
	s_wait_loadcnt 0x0
	s_wait_storecnt 0x0
	s_barrier_signal -1
	s_barrier_wait -1
	global_inv scope:SCOPE_SE
	ds_store_b128 v13, v[5:8]
	s_wait_loadcnt_dscnt 0x0
	s_barrier_signal -1
	s_barrier_wait -1
	global_inv scope:SCOPE_SE
	s_cbranch_scc1 .LBB33_100
; %bb.99:
	ds_load_b128 v[14:17], v13 offset:2048
	s_wait_loadcnt_dscnt 0x0
	s_barrier_signal -1
	s_barrier_wait -1
	global_inv scope:SCOPE_SE
	v_add_f64_e32 v[5:6], v[5:6], v[14:15]
	v_add_f64_e32 v[7:8], v[7:8], v[16:17]
	ds_store_b128 v13, v[5:8]
.LBB33_100:
	s_cmp_lt_u32 s20, 0x41
	s_wait_loadcnt_dscnt 0x0
	s_barrier_signal -1
	s_barrier_wait -1
	global_inv scope:SCOPE_SE
	s_cbranch_scc1 .LBB33_102
; %bb.101:
	ds_load_b128 v[14:17], v13 offset:1024
	s_wait_loadcnt_dscnt 0x0
	s_barrier_signal -1
	s_barrier_wait -1
	global_inv scope:SCOPE_SE
	v_add_f64_e32 v[5:6], v[5:6], v[14:15]
	v_add_f64_e32 v[7:8], v[7:8], v[16:17]
	ds_store_b128 v13, v[5:8]
.LBB33_102:
	s_cmp_lt_u32 s20, 33
	s_wait_loadcnt_dscnt 0x0
	s_barrier_signal -1
	s_barrier_wait -1
	global_inv scope:SCOPE_SE
	s_cbranch_scc1 .LBB33_104
; %bb.103:
	ds_load_b128 v[14:17], v13 offset:512
	s_wait_loadcnt_dscnt 0x0
	s_barrier_signal -1
	s_barrier_wait -1
	global_inv scope:SCOPE_SE
	v_add_f64_e32 v[5:6], v[5:6], v[14:15]
	v_add_f64_e32 v[7:8], v[7:8], v[16:17]
	ds_store_b128 v13, v[5:8]
.LBB33_104:
	s_cmp_lt_u32 s20, 17
	s_wait_loadcnt_dscnt 0x0
	s_barrier_signal -1
	s_barrier_wait -1
	global_inv scope:SCOPE_SE
	s_cbranch_scc1 .LBB33_106
; %bb.105:
	ds_load_b128 v[14:17], v13 offset:256
	s_wait_loadcnt_dscnt 0x0
	s_barrier_signal -1
	s_barrier_wait -1
	global_inv scope:SCOPE_SE
	v_add_f64_e32 v[5:6], v[5:6], v[14:15]
	v_add_f64_e32 v[7:8], v[7:8], v[16:17]
	ds_store_b128 v13, v[5:8]
.LBB33_106:
	s_cmp_lt_u32 s20, 9
	s_wait_loadcnt_dscnt 0x0
	s_barrier_signal -1
	s_barrier_wait -1
	global_inv scope:SCOPE_SE
	s_cbranch_scc1 .LBB33_108
; %bb.107:
	ds_load_b128 v[14:17], v13 offset:128
	s_wait_loadcnt_dscnt 0x0
	s_barrier_signal -1
	s_barrier_wait -1
	global_inv scope:SCOPE_SE
	v_add_f64_e32 v[5:6], v[5:6], v[14:15]
	v_add_f64_e32 v[7:8], v[7:8], v[16:17]
	ds_store_b128 v13, v[5:8]
.LBB33_108:
	s_cmp_lt_u32 s20, 5
	s_wait_loadcnt_dscnt 0x0
	s_barrier_signal -1
	s_barrier_wait -1
	global_inv scope:SCOPE_SE
	s_cbranch_scc1 .LBB33_110
; %bb.109:
	ds_load_b128 v[14:17], v13 offset:64
	s_wait_loadcnt_dscnt 0x0
	s_barrier_signal -1
	s_barrier_wait -1
	global_inv scope:SCOPE_SE
	v_add_f64_e32 v[5:6], v[5:6], v[14:15]
	v_add_f64_e32 v[7:8], v[7:8], v[16:17]
	ds_store_b128 v13, v[5:8]
.LBB33_110:
	s_cmp_eq_u32 s20, 2
	s_wait_loadcnt_dscnt 0x0
	s_barrier_signal -1
	s_barrier_wait -1
	global_inv scope:SCOPE_SE
	s_cbranch_scc1 .LBB33_112
; %bb.111:
	ds_load_b128 v[14:17], v13 offset:32
	s_wait_loadcnt_dscnt 0x0
	s_barrier_signal -1
	s_barrier_wait -1
	global_inv scope:SCOPE_SE
	v_add_f64_e32 v[5:6], v[5:6], v[14:15]
	v_add_f64_e32 v[7:8], v[7:8], v[16:17]
	ds_store_b128 v13, v[5:8]
.LBB33_112:
	s_wait_loadcnt_dscnt 0x0
	s_barrier_signal -1
	s_barrier_wait -1
	global_inv scope:SCOPE_SE
	ds_load_b128 v[14:17], v13 offset:16
	v_cmp_eq_u32_e64 s0, 0, v0
	s_xor_b32 s1, vcc_lo, -1
	s_wait_loadcnt_dscnt 0x0
	s_barrier_signal -1
	s_barrier_wait -1
	s_wait_alu 0xfffe
	s_and_b32 s0, s0, s1
	global_inv scope:SCOPE_SE
	v_add_f64_e32 v[5:6], v[5:6], v[14:15]
	v_add_f64_e32 v[7:8], v[7:8], v[16:17]
	ds_store_b128 v13, v[5:8]
	s_wait_alu 0xfffe
	s_and_b32 exec_lo, exec_lo, s0
	s_cbranch_execz .LBB33_116
; %bb.113:
	v_cmp_neq_f64_e32 vcc_lo, 0, v[1:2]
	v_cmp_neq_f64_e64 s0, 0, v[3:4]
	v_ashrrev_i32_e32 v10, 31, v9
	s_delay_alu instid0(VALU_DEP_1)
	v_lshlrev_b64_e32 v[9:10], 4, v[9:10]
	s_or_b32 s1, vcc_lo, s0
	s_wait_alu 0xfffe
	s_and_saveexec_b32 s0, s1
	s_cbranch_execz .LBB33_115
; %bb.114:
	s_delay_alu instid0(VALU_DEP_1)
	v_add_co_u32 v11, vcc_lo, s22, v9
	s_wait_alu 0xfffd
	v_add_co_ci_u32_e64 v12, null, s23, v10, vcc_lo
	global_load_b128 v[11:14], v[11:12], off
	s_wait_loadcnt 0x0
	v_fma_f64 v[5:6], v[1:2], v[11:12], v[5:6]
	v_fma_f64 v[7:8], v[3:4], v[11:12], v[7:8]
	s_delay_alu instid0(VALU_DEP_2) | instskip(NEXT) | instid1(VALU_DEP_2)
	v_fma_f64 v[5:6], -v[3:4], v[13:14], v[5:6]
	v_fma_f64 v[7:8], v[1:2], v[13:14], v[7:8]
.LBB33_115:
	s_wait_alu 0xfffe
	s_or_b32 exec_lo, exec_lo, s0
	v_add_co_u32 v0, vcc_lo, s22, v9
	s_wait_alu 0xfffd
	v_add_co_ci_u32_e64 v1, null, s23, v10, vcc_lo
	global_store_b128 v[0:1], v[5:8], off
.LBB33_116:
	s_endpgm
	.section	.rodata,"a",@progbits
	.p2align	6, 0x0
	.amdhsa_kernel _ZN9rocsparseL22csrmvn_adaptive_kernelIii21rocsparse_complex_numIdES2_S2_S2_EEvbT_PKS3_PjPKT0_NS_24const_host_device_scalarIT4_EES5_S9_PKT1_PKT2_SC_PT3_21rocsparse_index_base_b
		.amdhsa_group_segment_fixed_size 16384
		.amdhsa_private_segment_fixed_size 0
		.amdhsa_kernarg_size 112
		.amdhsa_user_sgpr_count 2
		.amdhsa_user_sgpr_dispatch_ptr 0
		.amdhsa_user_sgpr_queue_ptr 0
		.amdhsa_user_sgpr_kernarg_segment_ptr 1
		.amdhsa_user_sgpr_dispatch_id 0
		.amdhsa_user_sgpr_private_segment_size 0
		.amdhsa_wavefront_size32 1
		.amdhsa_uses_dynamic_stack 0
		.amdhsa_enable_private_segment 0
		.amdhsa_system_sgpr_workgroup_id_x 1
		.amdhsa_system_sgpr_workgroup_id_y 0
		.amdhsa_system_sgpr_workgroup_id_z 0
		.amdhsa_system_sgpr_workgroup_info 0
		.amdhsa_system_vgpr_workitem_id 0
		.amdhsa_next_free_vgpr 50
		.amdhsa_next_free_sgpr 44
		.amdhsa_reserve_vcc 1
		.amdhsa_float_round_mode_32 0
		.amdhsa_float_round_mode_16_64 0
		.amdhsa_float_denorm_mode_32 3
		.amdhsa_float_denorm_mode_16_64 3
		.amdhsa_fp16_overflow 0
		.amdhsa_workgroup_processor_mode 1
		.amdhsa_memory_ordered 1
		.amdhsa_forward_progress 1
		.amdhsa_inst_pref_size 50
		.amdhsa_round_robin_scheduling 0
		.amdhsa_exception_fp_ieee_invalid_op 0
		.amdhsa_exception_fp_denorm_src 0
		.amdhsa_exception_fp_ieee_div_zero 0
		.amdhsa_exception_fp_ieee_overflow 0
		.amdhsa_exception_fp_ieee_underflow 0
		.amdhsa_exception_fp_ieee_inexact 0
		.amdhsa_exception_int_div_zero 0
	.end_amdhsa_kernel
	.section	.text._ZN9rocsparseL22csrmvn_adaptive_kernelIii21rocsparse_complex_numIdES2_S2_S2_EEvbT_PKS3_PjPKT0_NS_24const_host_device_scalarIT4_EES5_S9_PKT1_PKT2_SC_PT3_21rocsparse_index_base_b,"axG",@progbits,_ZN9rocsparseL22csrmvn_adaptive_kernelIii21rocsparse_complex_numIdES2_S2_S2_EEvbT_PKS3_PjPKT0_NS_24const_host_device_scalarIT4_EES5_S9_PKT1_PKT2_SC_PT3_21rocsparse_index_base_b,comdat
.Lfunc_end33:
	.size	_ZN9rocsparseL22csrmvn_adaptive_kernelIii21rocsparse_complex_numIdES2_S2_S2_EEvbT_PKS3_PjPKT0_NS_24const_host_device_scalarIT4_EES5_S9_PKT1_PKT2_SC_PT3_21rocsparse_index_base_b, .Lfunc_end33-_ZN9rocsparseL22csrmvn_adaptive_kernelIii21rocsparse_complex_numIdES2_S2_S2_EEvbT_PKS3_PjPKT0_NS_24const_host_device_scalarIT4_EES5_S9_PKT1_PKT2_SC_PT3_21rocsparse_index_base_b
                                        ; -- End function
	.set _ZN9rocsparseL22csrmvn_adaptive_kernelIii21rocsparse_complex_numIdES2_S2_S2_EEvbT_PKS3_PjPKT0_NS_24const_host_device_scalarIT4_EES5_S9_PKT1_PKT2_SC_PT3_21rocsparse_index_base_b.num_vgpr, 50
	.set _ZN9rocsparseL22csrmvn_adaptive_kernelIii21rocsparse_complex_numIdES2_S2_S2_EEvbT_PKS3_PjPKT0_NS_24const_host_device_scalarIT4_EES5_S9_PKT1_PKT2_SC_PT3_21rocsparse_index_base_b.num_agpr, 0
	.set _ZN9rocsparseL22csrmvn_adaptive_kernelIii21rocsparse_complex_numIdES2_S2_S2_EEvbT_PKS3_PjPKT0_NS_24const_host_device_scalarIT4_EES5_S9_PKT1_PKT2_SC_PT3_21rocsparse_index_base_b.numbered_sgpr, 44
	.set _ZN9rocsparseL22csrmvn_adaptive_kernelIii21rocsparse_complex_numIdES2_S2_S2_EEvbT_PKS3_PjPKT0_NS_24const_host_device_scalarIT4_EES5_S9_PKT1_PKT2_SC_PT3_21rocsparse_index_base_b.num_named_barrier, 0
	.set _ZN9rocsparseL22csrmvn_adaptive_kernelIii21rocsparse_complex_numIdES2_S2_S2_EEvbT_PKS3_PjPKT0_NS_24const_host_device_scalarIT4_EES5_S9_PKT1_PKT2_SC_PT3_21rocsparse_index_base_b.private_seg_size, 0
	.set _ZN9rocsparseL22csrmvn_adaptive_kernelIii21rocsparse_complex_numIdES2_S2_S2_EEvbT_PKS3_PjPKT0_NS_24const_host_device_scalarIT4_EES5_S9_PKT1_PKT2_SC_PT3_21rocsparse_index_base_b.uses_vcc, 1
	.set _ZN9rocsparseL22csrmvn_adaptive_kernelIii21rocsparse_complex_numIdES2_S2_S2_EEvbT_PKS3_PjPKT0_NS_24const_host_device_scalarIT4_EES5_S9_PKT1_PKT2_SC_PT3_21rocsparse_index_base_b.uses_flat_scratch, 0
	.set _ZN9rocsparseL22csrmvn_adaptive_kernelIii21rocsparse_complex_numIdES2_S2_S2_EEvbT_PKS3_PjPKT0_NS_24const_host_device_scalarIT4_EES5_S9_PKT1_PKT2_SC_PT3_21rocsparse_index_base_b.has_dyn_sized_stack, 0
	.set _ZN9rocsparseL22csrmvn_adaptive_kernelIii21rocsparse_complex_numIdES2_S2_S2_EEvbT_PKS3_PjPKT0_NS_24const_host_device_scalarIT4_EES5_S9_PKT1_PKT2_SC_PT3_21rocsparse_index_base_b.has_recursion, 0
	.set _ZN9rocsparseL22csrmvn_adaptive_kernelIii21rocsparse_complex_numIdES2_S2_S2_EEvbT_PKS3_PjPKT0_NS_24const_host_device_scalarIT4_EES5_S9_PKT1_PKT2_SC_PT3_21rocsparse_index_base_b.has_indirect_call, 0
	.section	.AMDGPU.csdata,"",@progbits
; Kernel info:
; codeLenInByte = 6332
; TotalNumSgprs: 46
; NumVgprs: 50
; ScratchSize: 0
; MemoryBound: 0
; FloatMode: 240
; IeeeMode: 1
; LDSByteSize: 16384 bytes/workgroup (compile time only)
; SGPRBlocks: 0
; VGPRBlocks: 6
; NumSGPRsForWavesPerEU: 46
; NumVGPRsForWavesPerEU: 50
; Occupancy: 16
; WaveLimiterHint : 1
; COMPUTE_PGM_RSRC2:SCRATCH_EN: 0
; COMPUTE_PGM_RSRC2:USER_SGPR: 2
; COMPUTE_PGM_RSRC2:TRAP_HANDLER: 0
; COMPUTE_PGM_RSRC2:TGID_X_EN: 1
; COMPUTE_PGM_RSRC2:TGID_Y_EN: 0
; COMPUTE_PGM_RSRC2:TGID_Z_EN: 0
; COMPUTE_PGM_RSRC2:TIDIG_COMP_CNT: 0
	.section	.text._ZN9rocsparseL22partial_scale_y_kernelIi21rocsparse_complex_numIdES2_EEvT_S3_S3_NS_24const_host_device_scalarIT1_EEPT0_b,"axG",@progbits,_ZN9rocsparseL22partial_scale_y_kernelIi21rocsparse_complex_numIdES2_EEvT_S3_S3_NS_24const_host_device_scalarIT1_EEPT0_b,comdat
	.globl	_ZN9rocsparseL22partial_scale_y_kernelIi21rocsparse_complex_numIdES2_EEvT_S3_S3_NS_24const_host_device_scalarIT1_EEPT0_b ; -- Begin function _ZN9rocsparseL22partial_scale_y_kernelIi21rocsparse_complex_numIdES2_EEvT_S3_S3_NS_24const_host_device_scalarIT1_EEPT0_b
	.p2align	8
	.type	_ZN9rocsparseL22partial_scale_y_kernelIi21rocsparse_complex_numIdES2_EEvT_S3_S3_NS_24const_host_device_scalarIT1_EEPT0_b,@function
_ZN9rocsparseL22partial_scale_y_kernelIi21rocsparse_complex_numIdES2_EEvT_S3_S3_NS_24const_host_device_scalarIT1_EEPT0_b: ; @_ZN9rocsparseL22partial_scale_y_kernelIi21rocsparse_complex_numIdES2_EEvT_S3_S3_NS_24const_host_device_scalarIT1_EEPT0_b
; %bb.0:
	s_clause 0x1
	s_load_b32 s6, s[0:1], 0x28
	s_load_b64 s[2:3], s[0:1], 0x10
	s_add_nc_u64 s[4:5], s[0:1], 16
	s_wait_kmcnt 0x0
	s_bitcmp1_b32 s6, 0
	s_cselect_b32 s2, s4, s2
	s_cselect_b32 s3, s5, s3
	s_delay_alu instid0(SALU_CYCLE_1)
	v_dual_mov_b32 v1, s2 :: v_dual_mov_b32 v2, s3
	flat_load_b128 v[1:4], v[1:2]
	s_wait_loadcnt_dscnt 0x0
	v_cmp_neq_f64_e32 vcc_lo, 1.0, v[1:2]
	v_cmp_neq_f64_e64 s2, 0, v[3:4]
	s_or_b32 s2, vcc_lo, s2
	s_wait_alu 0xfffe
	s_and_saveexec_b32 s3, s2
	s_cbranch_execz .LBB34_13
; %bb.1:
	s_load_b96 s[4:6], s[0:1], 0x0
	v_lshl_or_b32 v5, ttmp9, 8, v0
	s_wait_kmcnt 0x0
	s_add_co_i32 s2, s5, s4
	s_wait_alu 0xfffe
	s_sub_co_i32 s2, s2, s6
	s_wait_alu 0xfffe
	v_cmp_gt_i32_e32 vcc_lo, s2, v5
	s_and_b32 exec_lo, exec_lo, vcc_lo
	s_cbranch_execz .LBB34_13
; %bb.2:
	v_cmp_neq_f64_e32 vcc_lo, 0, v[1:2]
	v_cmp_neq_f64_e64 s2, 0, v[3:4]
	s_load_b64 s[8:9], s[0:1], 0x20
	v_cmp_le_i32_e64 s0, s5, v5
	s_or_b32 s1, vcc_lo, s2
	s_and_saveexec_b32 s2, s0
	s_wait_alu 0xfffe
	s_xor_b32 s0, exec_lo, s2
	s_cbranch_execz .LBB34_8
; %bb.3:
	v_subrev_nc_u32_e32 v0, s5, v5
	s_delay_alu instid0(VALU_DEP_1) | instskip(NEXT) | instid1(VALU_DEP_1)
	v_add_nc_u32_e32 v5, s6, v0
	v_ashrrev_i32_e32 v6, 31, v5
	s_delay_alu instid0(VALU_DEP_1) | instskip(SKIP_1) | instid1(VALU_DEP_1)
	v_lshlrev_b64_e32 v[5:6], 4, v[5:6]
	s_wait_kmcnt 0x0
	v_add_co_u32 v5, vcc_lo, s8, v5
	s_delay_alu instid0(VALU_DEP_1)
	v_add_co_ci_u32_e64 v6, null, s9, v6, vcc_lo
	s_and_saveexec_b32 s2, s1
	s_wait_alu 0xfffe
	s_xor_b32 s2, exec_lo, s2
	s_cbranch_execz .LBB34_5
; %bb.4:
	global_load_b128 v[7:10], v[5:6], off
	s_wait_loadcnt 0x0
	v_mul_f64_e64 v[11:12], v[3:4], -v[9:10]
	v_mul_f64_e32 v[3:4], v[3:4], v[7:8]
	s_delay_alu instid0(VALU_DEP_2) | instskip(NEXT) | instid1(VALU_DEP_2)
	v_fma_f64 v[7:8], v[7:8], v[1:2], v[11:12]
	v_fma_f64 v[9:10], v[9:10], v[1:2], v[3:4]
	global_store_b128 v[5:6], v[7:10], off
                                        ; implicit-def: $vgpr5_vgpr6
.LBB34_5:
	s_wait_alu 0xfffe
	s_and_not1_saveexec_b32 s2, s2
	s_cbranch_execz .LBB34_7
; %bb.6:
	v_mov_b32_e32 v0, 0
	s_delay_alu instid0(VALU_DEP_1)
	v_dual_mov_b32 v1, v0 :: v_dual_mov_b32 v2, v0
	v_mov_b32_e32 v3, v0
	global_store_b128 v[5:6], v[0:3], off
.LBB34_7:
	s_wait_alu 0xfffe
	s_or_b32 exec_lo, exec_lo, s2
                                        ; implicit-def: $vgpr5
                                        ; implicit-def: $vgpr3_vgpr4
.LBB34_8:
	s_wait_alu 0xfffe
	s_and_not1_saveexec_b32 s0, s0
	s_cbranch_execz .LBB34_13
; %bb.9:
	v_ashrrev_i32_e32 v6, 31, v5
	s_delay_alu instid0(VALU_DEP_1) | instskip(SKIP_1) | instid1(VALU_DEP_1)
	v_lshlrev_b64_e32 v[5:6], 4, v[5:6]
	s_wait_kmcnt 0x0
	v_add_co_u32 v5, vcc_lo, s8, v5
	s_wait_alu 0xfffd
	s_delay_alu instid0(VALU_DEP_2)
	v_add_co_ci_u32_e64 v6, null, s9, v6, vcc_lo
	s_and_saveexec_b32 s0, s1
	s_wait_alu 0xfffe
	s_xor_b32 s0, exec_lo, s0
	s_cbranch_execz .LBB34_11
; %bb.10:
	global_load_b128 v[7:10], v[5:6], off
	s_wait_loadcnt 0x0
	v_mul_f64_e64 v[11:12], v[3:4], -v[9:10]
	v_mul_f64_e32 v[3:4], v[3:4], v[7:8]
	s_delay_alu instid0(VALU_DEP_2) | instskip(NEXT) | instid1(VALU_DEP_2)
	v_fma_f64 v[7:8], v[7:8], v[1:2], v[11:12]
	v_fma_f64 v[9:10], v[9:10], v[1:2], v[3:4]
	global_store_b128 v[5:6], v[7:10], off
                                        ; implicit-def: $vgpr5_vgpr6
.LBB34_11:
	s_wait_alu 0xfffe
	s_and_not1_saveexec_b32 s0, s0
	s_cbranch_execz .LBB34_13
; %bb.12:
	v_mov_b32_e32 v0, 0
	s_delay_alu instid0(VALU_DEP_1)
	v_dual_mov_b32 v1, v0 :: v_dual_mov_b32 v2, v0
	v_mov_b32_e32 v3, v0
	global_store_b128 v[5:6], v[0:3], off
.LBB34_13:
	s_endpgm
	.section	.rodata,"a",@progbits
	.p2align	6, 0x0
	.amdhsa_kernel _ZN9rocsparseL22partial_scale_y_kernelIi21rocsparse_complex_numIdES2_EEvT_S3_S3_NS_24const_host_device_scalarIT1_EEPT0_b
		.amdhsa_group_segment_fixed_size 0
		.amdhsa_private_segment_fixed_size 0
		.amdhsa_kernarg_size 44
		.amdhsa_user_sgpr_count 2
		.amdhsa_user_sgpr_dispatch_ptr 0
		.amdhsa_user_sgpr_queue_ptr 0
		.amdhsa_user_sgpr_kernarg_segment_ptr 1
		.amdhsa_user_sgpr_dispatch_id 0
		.amdhsa_user_sgpr_private_segment_size 0
		.amdhsa_wavefront_size32 1
		.amdhsa_uses_dynamic_stack 0
		.amdhsa_enable_private_segment 0
		.amdhsa_system_sgpr_workgroup_id_x 1
		.amdhsa_system_sgpr_workgroup_id_y 0
		.amdhsa_system_sgpr_workgroup_id_z 0
		.amdhsa_system_sgpr_workgroup_info 0
		.amdhsa_system_vgpr_workitem_id 0
		.amdhsa_next_free_vgpr 13
		.amdhsa_next_free_sgpr 10
		.amdhsa_reserve_vcc 1
		.amdhsa_float_round_mode_32 0
		.amdhsa_float_round_mode_16_64 0
		.amdhsa_float_denorm_mode_32 3
		.amdhsa_float_denorm_mode_16_64 3
		.amdhsa_fp16_overflow 0
		.amdhsa_workgroup_processor_mode 1
		.amdhsa_memory_ordered 1
		.amdhsa_forward_progress 1
		.amdhsa_inst_pref_size 5
		.amdhsa_round_robin_scheduling 0
		.amdhsa_exception_fp_ieee_invalid_op 0
		.amdhsa_exception_fp_denorm_src 0
		.amdhsa_exception_fp_ieee_div_zero 0
		.amdhsa_exception_fp_ieee_overflow 0
		.amdhsa_exception_fp_ieee_underflow 0
		.amdhsa_exception_fp_ieee_inexact 0
		.amdhsa_exception_int_div_zero 0
	.end_amdhsa_kernel
	.section	.text._ZN9rocsparseL22partial_scale_y_kernelIi21rocsparse_complex_numIdES2_EEvT_S3_S3_NS_24const_host_device_scalarIT1_EEPT0_b,"axG",@progbits,_ZN9rocsparseL22partial_scale_y_kernelIi21rocsparse_complex_numIdES2_EEvT_S3_S3_NS_24const_host_device_scalarIT1_EEPT0_b,comdat
.Lfunc_end34:
	.size	_ZN9rocsparseL22partial_scale_y_kernelIi21rocsparse_complex_numIdES2_EEvT_S3_S3_NS_24const_host_device_scalarIT1_EEPT0_b, .Lfunc_end34-_ZN9rocsparseL22partial_scale_y_kernelIi21rocsparse_complex_numIdES2_EEvT_S3_S3_NS_24const_host_device_scalarIT1_EEPT0_b
                                        ; -- End function
	.set _ZN9rocsparseL22partial_scale_y_kernelIi21rocsparse_complex_numIdES2_EEvT_S3_S3_NS_24const_host_device_scalarIT1_EEPT0_b.num_vgpr, 13
	.set _ZN9rocsparseL22partial_scale_y_kernelIi21rocsparse_complex_numIdES2_EEvT_S3_S3_NS_24const_host_device_scalarIT1_EEPT0_b.num_agpr, 0
	.set _ZN9rocsparseL22partial_scale_y_kernelIi21rocsparse_complex_numIdES2_EEvT_S3_S3_NS_24const_host_device_scalarIT1_EEPT0_b.numbered_sgpr, 10
	.set _ZN9rocsparseL22partial_scale_y_kernelIi21rocsparse_complex_numIdES2_EEvT_S3_S3_NS_24const_host_device_scalarIT1_EEPT0_b.num_named_barrier, 0
	.set _ZN9rocsparseL22partial_scale_y_kernelIi21rocsparse_complex_numIdES2_EEvT_S3_S3_NS_24const_host_device_scalarIT1_EEPT0_b.private_seg_size, 0
	.set _ZN9rocsparseL22partial_scale_y_kernelIi21rocsparse_complex_numIdES2_EEvT_S3_S3_NS_24const_host_device_scalarIT1_EEPT0_b.uses_vcc, 1
	.set _ZN9rocsparseL22partial_scale_y_kernelIi21rocsparse_complex_numIdES2_EEvT_S3_S3_NS_24const_host_device_scalarIT1_EEPT0_b.uses_flat_scratch, 0
	.set _ZN9rocsparseL22partial_scale_y_kernelIi21rocsparse_complex_numIdES2_EEvT_S3_S3_NS_24const_host_device_scalarIT1_EEPT0_b.has_dyn_sized_stack, 0
	.set _ZN9rocsparseL22partial_scale_y_kernelIi21rocsparse_complex_numIdES2_EEvT_S3_S3_NS_24const_host_device_scalarIT1_EEPT0_b.has_recursion, 0
	.set _ZN9rocsparseL22partial_scale_y_kernelIi21rocsparse_complex_numIdES2_EEvT_S3_S3_NS_24const_host_device_scalarIT1_EEPT0_b.has_indirect_call, 0
	.section	.AMDGPU.csdata,"",@progbits
; Kernel info:
; codeLenInByte = 544
; TotalNumSgprs: 12
; NumVgprs: 13
; ScratchSize: 0
; MemoryBound: 0
; FloatMode: 240
; IeeeMode: 1
; LDSByteSize: 0 bytes/workgroup (compile time only)
; SGPRBlocks: 0
; VGPRBlocks: 1
; NumSGPRsForWavesPerEU: 12
; NumVGPRsForWavesPerEU: 13
; Occupancy: 16
; WaveLimiterHint : 0
; COMPUTE_PGM_RSRC2:SCRATCH_EN: 0
; COMPUTE_PGM_RSRC2:USER_SGPR: 2
; COMPUTE_PGM_RSRC2:TRAP_HANDLER: 0
; COMPUTE_PGM_RSRC2:TGID_X_EN: 1
; COMPUTE_PGM_RSRC2:TGID_Y_EN: 0
; COMPUTE_PGM_RSRC2:TGID_Z_EN: 0
; COMPUTE_PGM_RSRC2:TIDIG_COMP_CNT: 0
	.section	.text._ZN9rocsparseL27csrmvn_symm_adaptive_kernelIii21rocsparse_complex_numIdES2_S2_S2_EEvbT_S3_PKS3_NS_24const_host_device_scalarIT4_EES5_PKT0_PKT1_PKT2_S8_PT3_21rocsparse_index_base_b,"axG",@progbits,_ZN9rocsparseL27csrmvn_symm_adaptive_kernelIii21rocsparse_complex_numIdES2_S2_S2_EEvbT_S3_PKS3_NS_24const_host_device_scalarIT4_EES5_PKT0_PKT1_PKT2_S8_PT3_21rocsparse_index_base_b,comdat
	.globl	_ZN9rocsparseL27csrmvn_symm_adaptive_kernelIii21rocsparse_complex_numIdES2_S2_S2_EEvbT_S3_PKS3_NS_24const_host_device_scalarIT4_EES5_PKT0_PKT1_PKT2_S8_PT3_21rocsparse_index_base_b ; -- Begin function _ZN9rocsparseL27csrmvn_symm_adaptive_kernelIii21rocsparse_complex_numIdES2_S2_S2_EEvbT_S3_PKS3_NS_24const_host_device_scalarIT4_EES5_PKT0_PKT1_PKT2_S8_PT3_21rocsparse_index_base_b
	.p2align	8
	.type	_ZN9rocsparseL27csrmvn_symm_adaptive_kernelIii21rocsparse_complex_numIdES2_S2_S2_EEvbT_S3_PKS3_NS_24const_host_device_scalarIT4_EES5_PKT0_PKT1_PKT2_S8_PT3_21rocsparse_index_base_b,@function
_ZN9rocsparseL27csrmvn_symm_adaptive_kernelIii21rocsparse_complex_numIdES2_S2_S2_EEvbT_S3_PKS3_NS_24const_host_device_scalarIT4_EES5_PKT0_PKT1_PKT2_S8_PT3_21rocsparse_index_base_b: ; @_ZN9rocsparseL27csrmvn_symm_adaptive_kernelIii21rocsparse_complex_numIdES2_S2_S2_EEvbT_S3_PKS3_NS_24const_host_device_scalarIT4_EES5_PKT0_PKT1_PKT2_S8_PT3_21rocsparse_index_base_b
; %bb.0:
	s_clause 0x1
	s_load_b64 s[24:25], s[0:1], 0x60
	s_load_b64 s[4:5], s[0:1], 0x18
	s_add_nc_u64 s[6:7], s[0:1], 24
	s_wait_kmcnt 0x0
	s_bitcmp1_b32 s25, 0
	s_cselect_b32 s3, -1, 0
	s_delay_alu instid0(SALU_CYCLE_1) | instskip(SKIP_2) | instid1(SALU_CYCLE_1)
	s_and_b32 s2, s3, exec_lo
	s_cselect_b32 s2, s6, s4
	s_cselect_b32 s4, s7, s5
	v_dual_mov_b32 v1, s2 :: v_dual_mov_b32 v2, s4
	flat_load_b128 v[1:4], v[1:2]
	s_wait_loadcnt_dscnt 0x0
	v_cmp_eq_f64_e32 vcc_lo, 0, v[1:2]
	v_cmp_eq_f64_e64 s2, 0, v[3:4]
	s_and_b32 s5, vcc_lo, s2
	s_mov_b32 s2, -1
	s_wait_alu 0xfffe
	s_and_saveexec_b32 s4, s5
	s_cbranch_execz .LBB35_2
; %bb.1:
	s_load_b64 s[6:7], s[0:1], 0x48
	s_add_nc_u64 s[8:9], s[0:1], 0x48
	s_and_b32 s2, s3, exec_lo
	s_wait_kmcnt 0x0
	s_cselect_b32 s2, s8, s6
	s_cselect_b32 s3, s9, s7
	s_wait_alu 0xfffe
	v_dual_mov_b32 v5, s2 :: v_dual_mov_b32 v6, s3
	flat_load_b128 v[5:8], v[5:6]
	s_wait_loadcnt_dscnt 0x0
	v_cmp_neq_f64_e32 vcc_lo, 1.0, v[5:6]
	v_cmp_neq_f64_e64 s2, 0, v[7:8]
	s_or_b32 s2, vcc_lo, s2
	s_wait_alu 0xfffe
	s_or_not1_b32 s2, s2, exec_lo
.LBB35_2:
	s_wait_alu 0xfffe
	s_or_b32 exec_lo, exec_lo, s4
	s_and_saveexec_b32 s3, s2
	s_cbranch_execz .LBB35_203
; %bb.3:
	s_clause 0x1
	s_load_b96 s[16:18], s[0:1], 0x0
	s_load_b64 s[10:11], s[0:1], 0x10
	s_mov_b32 s4, 0
	s_mov_b32 s8, ttmp9
	s_wait_alu 0xfffe
	s_mov_b32 s7, s4
	s_mov_b32 s5, s4
	;; [unrolled: 1-line block ×3, first 2 shown]
	v_dual_mov_b32 v8, s7 :: v_dual_mov_b32 v5, s4
	v_dual_mov_b32 v7, s6 :: v_dual_lshlrev_b32 v22, 4, v0
	s_wait_alu 0xfffe
	v_mov_b32_e32 v6, s5
	ds_store_b128 v22, v[5:8]
	ds_store_b128 v22, v[5:8] offset:4096
	ds_store_b128 v22, v[5:8] offset:8192
	;; [unrolled: 1-line block ×3, first 2 shown]
	s_wait_dscnt 0x0
	s_barrier_signal -1
	s_barrier_wait -1
	s_wait_kmcnt 0x0
	s_bitcmp1_b32 s16, 0
	global_inv scope:SCOPE_SE
	s_cselect_b32 s2, -1, 0
	s_ashr_i32 s9, ttmp9, 31
	v_subrev_nc_u32_e32 v23, s24, v0
	s_lshl_b64 s[4:5], s[8:9], 2
	s_mov_b32 s3, -1
	s_wait_alu 0xfffe
	s_add_nc_u64 s[4:5], s[10:11], s[4:5]
	s_load_b64 s[22:23], s[4:5], 0x0
	s_clause 0x1
	s_load_b64 s[20:21], s[0:1], 0x58
	s_load_b256 s[8:15], s[0:1], 0x28
	s_wait_kmcnt 0x0
	s_sub_co_i32 s19, s23, s22
	s_delay_alu instid0(SALU_CYCLE_1)
	s_cmp_gt_i32 s19, 2
	s_cbranch_scc1 .LBB35_45
; %bb.4:
	s_cmp_le_i32 s23, s22
	s_cbranch_scc1 .LBB35_32
; %bb.5:
	v_cmp_gt_u32_e64 s3, 16, v0
	v_cmp_gt_u32_e64 s4, 4, v0
	v_cmp_eq_u32_e64 s5, 0, v0
	v_mov_b32_e32 v15, 0
	s_add_nc_u64 s[26:27], s[12:13], 8
	s_mov_b32 s28, s22
	v_cmp_gt_u32_e32 vcc_lo, 64, v0
	s_branch .LBB35_7
.LBB35_6:                               ;   in Loop: Header=BB35_7 Depth=1
	s_wait_alu 0xfffe
	s_or_b32 exec_lo, exec_lo, s7
	s_add_co_i32 s28, s28, 1
	s_delay_alu instid0(SALU_CYCLE_1)
	s_cmp_ge_i32 s28, s23
	s_cbranch_scc1 .LBB35_32
.LBB35_7:                               ; =>This Loop Header: Depth=1
                                        ;     Child Loop BB35_9 Depth 2
                                        ;     Child Loop BB35_21 Depth 2
	;; [unrolled: 1-line block ×5, first 2 shown]
	s_ashr_i32 s29, s28, 31
	v_mov_b32_e32 v7, 0
	s_lshl_b64 s[6:7], s[28:29], 2
	v_mov_b32_e32 v5, 0
	s_wait_alu 0xfffe
	s_add_nc_u64 s[6:7], s[8:9], s[6:7]
	v_mov_b32_e32 v6, 0
	s_load_b64 s[6:7], s[6:7], 0x0
	s_mov_b32 s16, exec_lo
	s_wait_kmcnt 0x0
	v_dual_mov_b32 v8, 0 :: v_dual_add_nc_u32 v9, s6, v23
	s_sub_co_i32 s25, s7, s24
	s_wait_alu 0xfffe
	s_delay_alu instid0(VALU_DEP_1)
	v_cmpx_gt_i32_e64 s25, v9
	s_cbranch_execz .LBB35_11
; %bb.8:                                ;   in Loop: Header=BB35_7 Depth=1
	v_ashrrev_i32_e32 v10, 31, v9
	v_mov_b32_e32 v7, 0
	v_mov_b32_e32 v8, 0
	s_mov_b32 s30, 0
	s_delay_alu instid0(VALU_DEP_3) | instskip(SKIP_1) | instid1(VALU_DEP_2)
	v_lshlrev_b64_e32 v[5:6], 2, v[9:10]
	v_lshlrev_b64_e32 v[12:13], 4, v[9:10]
	v_add_co_u32 v10, s6, s10, v5
	s_wait_alu 0xf1ff
	s_delay_alu instid0(VALU_DEP_3) | instskip(NEXT) | instid1(VALU_DEP_3)
	v_add_co_ci_u32_e64 v11, null, s11, v6, s6
	v_add_co_u32 v12, s6, s26, v12
	s_wait_alu 0xf1ff
	v_add_co_ci_u32_e64 v13, null, s27, v13, s6
	v_dual_mov_b32 v5, v7 :: v_dual_mov_b32 v6, v8
.LBB35_9:                               ;   Parent Loop BB35_7 Depth=1
                                        ; =>  This Inner Loop Header: Depth=2
	global_load_b32 v14, v[10:11], off
	v_add_nc_u32_e32 v9, 0x100, v9
	s_wait_loadcnt 0x0
	v_subrev_nc_u32_e32 v16, s24, v14
	s_delay_alu instid0(VALU_DEP_1) | instskip(NEXT) | instid1(VALU_DEP_1)
	v_ashrrev_i32_e32 v17, 31, v16
	v_lshlrev_b64_e32 v[20:21], 4, v[16:17]
	global_load_b128 v[16:19], v[12:13], off offset:-8
	v_add_co_u32 v12, s7, 0x1000, v12
	s_wait_alu 0xf1ff
	v_add_co_ci_u32_e64 v13, null, 0, v13, s7
	v_add_co_u32 v20, s6, s14, v20
	s_wait_alu 0xf1ff
	v_add_co_ci_u32_e64 v21, null, s15, v21, s6
	;; [unrolled: 3-line block ×3, first 2 shown]
	global_load_b128 v[24:27], v[20:21], off
	v_cmp_le_i32_e64 s6, s25, v9
	s_wait_alu 0xfffe
	s_or_b32 s30, s6, s30
	s_wait_loadcnt 0x1
	v_xor_b32_e32 v14, 0x80000000, v19
	s_delay_alu instid0(VALU_DEP_1) | instskip(SKIP_2) | instid1(VALU_DEP_2)
	v_cndmask_b32_e64 v19, v19, v14, s2
	s_wait_loadcnt 0x0
	v_fma_f64 v[5:6], v[16:17], v[24:25], v[5:6]
	v_fma_f64 v[7:8], v[18:19], v[24:25], v[7:8]
	s_delay_alu instid0(VALU_DEP_2) | instskip(NEXT) | instid1(VALU_DEP_2)
	v_fma_f64 v[5:6], -v[18:19], v[26:27], v[5:6]
	v_fma_f64 v[7:8], v[16:17], v[26:27], v[7:8]
	s_wait_alu 0xfffe
	s_and_not1_b32 exec_lo, exec_lo, s30
	s_cbranch_execnz .LBB35_9
; %bb.10:                               ;   in Loop: Header=BB35_7 Depth=1
	s_or_b32 exec_lo, exec_lo, s30
.LBB35_11:                              ;   in Loop: Header=BB35_7 Depth=1
	s_delay_alu instid0(SALU_CYCLE_1)
	s_or_b32 exec_lo, exec_lo, s16
	ds_store_b128 v22, v[5:8]
	s_wait_loadcnt_dscnt 0x0
	s_barrier_signal -1
	s_barrier_wait -1
	global_inv scope:SCOPE_SE
	ds_load_b128 v[5:8], v22 offset:4096
	ds_load_b128 v[9:12], v22 offset:8192
	;; [unrolled: 1-line block ×3, first 2 shown]
	ds_load_b128 v[24:27], v22
	s_wait_dscnt 0x2
	v_add_f64_e32 v[5:6], v[9:10], v[5:6]
	v_add_f64_e32 v[7:8], v[11:12], v[7:8]
	s_wait_dscnt 0x1
	s_delay_alu instid0(VALU_DEP_2) | instskip(NEXT) | instid1(VALU_DEP_2)
	v_add_f64_e32 v[5:6], v[5:6], v[16:17]
	v_add_f64_e32 v[7:8], v[7:8], v[18:19]
	s_wait_dscnt 0x0
	s_delay_alu instid0(VALU_DEP_2) | instskip(NEXT) | instid1(VALU_DEP_2)
	v_add_f64_e32 v[5:6], v[5:6], v[24:25]
	v_add_f64_e32 v[7:8], v[7:8], v[26:27]
	ds_store_b128 v22, v[5:8]
	s_wait_loadcnt_dscnt 0x0
	s_barrier_signal -1
	s_barrier_wait -1
	global_inv scope:SCOPE_SE
	s_and_saveexec_b32 s6, vcc_lo
	s_cbranch_execz .LBB35_13
; %bb.12:                               ;   in Loop: Header=BB35_7 Depth=1
	ds_load_b128 v[5:8], v22 offset:1024
	ds_load_b128 v[9:12], v22 offset:2048
	ds_load_b128 v[16:19], v22 offset:3072
	ds_load_b128 v[24:27], v22
	s_wait_dscnt 0x2
	v_add_f64_e32 v[5:6], v[9:10], v[5:6]
	v_add_f64_e32 v[7:8], v[11:12], v[7:8]
	s_wait_dscnt 0x1
	s_delay_alu instid0(VALU_DEP_2) | instskip(NEXT) | instid1(VALU_DEP_2)
	v_add_f64_e32 v[5:6], v[5:6], v[16:17]
	v_add_f64_e32 v[7:8], v[7:8], v[18:19]
	s_wait_dscnt 0x0
	s_delay_alu instid0(VALU_DEP_2) | instskip(NEXT) | instid1(VALU_DEP_2)
	v_add_f64_e32 v[5:6], v[5:6], v[24:25]
	v_add_f64_e32 v[7:8], v[7:8], v[26:27]
	ds_store_b128 v22, v[5:8]
.LBB35_13:                              ;   in Loop: Header=BB35_7 Depth=1
	s_wait_alu 0xfffe
	s_or_b32 exec_lo, exec_lo, s6
	s_wait_loadcnt_dscnt 0x0
	s_barrier_signal -1
	s_barrier_wait -1
	global_inv scope:SCOPE_SE
	s_and_saveexec_b32 s6, s3
	s_cbranch_execz .LBB35_15
; %bb.14:                               ;   in Loop: Header=BB35_7 Depth=1
	ds_load_b128 v[5:8], v22 offset:256
	ds_load_b128 v[9:12], v22 offset:512
	ds_load_b128 v[16:19], v22 offset:768
	ds_load_b128 v[24:27], v22
	s_wait_dscnt 0x2
	v_add_f64_e32 v[5:6], v[9:10], v[5:6]
	v_add_f64_e32 v[7:8], v[11:12], v[7:8]
	s_wait_dscnt 0x1
	s_delay_alu instid0(VALU_DEP_2) | instskip(NEXT) | instid1(VALU_DEP_2)
	v_add_f64_e32 v[5:6], v[5:6], v[16:17]
	v_add_f64_e32 v[7:8], v[7:8], v[18:19]
	s_wait_dscnt 0x0
	s_delay_alu instid0(VALU_DEP_2) | instskip(NEXT) | instid1(VALU_DEP_2)
	v_add_f64_e32 v[5:6], v[5:6], v[24:25]
	v_add_f64_e32 v[7:8], v[7:8], v[26:27]
	ds_store_b128 v22, v[5:8]
.LBB35_15:                              ;   in Loop: Header=BB35_7 Depth=1
	s_wait_alu 0xfffe
	s_or_b32 exec_lo, exec_lo, s6
	s_wait_loadcnt_dscnt 0x0
	s_barrier_signal -1
	s_barrier_wait -1
	global_inv scope:SCOPE_SE
	s_and_saveexec_b32 s6, s4
	;; [unrolled: 26-line block ×4, first 2 shown]
	s_cbranch_execz .LBB35_6
; %bb.20:                               ;   in Loop: Header=BB35_7 Depth=1
	ds_load_b128 v[5:8], v15
	v_mov_b32_e32 v13, 0
	v_bfrev_b32_e32 v14, 1
	s_mov_b32 s6, exec_lo
	s_wait_dscnt 0x0
	v_mul_f64_e64 v[9:10], v[7:8], -v[3:4]
	s_delay_alu instid0(VALU_DEP_1)
	v_fma_f64 v[9:10], v[1:2], v[5:6], v[9:10]
.LBB35_21:                              ;   Parent Loop BB35_7 Depth=1
                                        ; =>  This Inner Loop Header: Depth=2
	s_wait_alu 0xfffe
	s_ctz_i32_b32 s16, s6
	s_wait_alu 0xfffe
	s_delay_alu instid0(VALU_DEP_1) | instskip(NEXT) | instid1(VALU_DEP_2)
	v_readlane_b32 s31, v10, s16
	v_readlane_b32 s30, v9, s16
	s_lshl_b32 s16, 1, s16
	s_wait_alu 0xfffe
	s_and_not1_b32 s6, s6, s16
	v_add_f64_e32 v[13:14], s[30:31], v[13:14]
	s_wait_alu 0xfffe
	s_cmp_lg_u32 s6, 0
	s_cbranch_scc1 .LBB35_21
; %bb.22:                               ;   in Loop: Header=BB35_7 Depth=1
	v_mbcnt_lo_u32_b32 v9, exec_lo, 0
	s_lshl_b64 s[30:31], s[28:29], 4
	s_mov_b32 s16, exec_lo
	s_wait_alu 0xfffe
	s_add_nc_u64 s[30:31], s[20:21], s[30:31]
	v_cmpx_eq_u32_e32 0, v9
	s_xor_b32 s16, exec_lo, s16
	s_cbranch_execz .LBB35_26
; %bb.23:                               ;   in Loop: Header=BB35_7 Depth=1
	global_load_b64 v[11:12], v15, s[30:31]
	s_mov_b32 s25, 0
.LBB35_24:                              ;   Parent Loop BB35_7 Depth=1
                                        ; =>  This Inner Loop Header: Depth=2
	s_wait_loadcnt 0x0
	v_add_f64_e32 v[9:10], v[11:12], v[13:14]
	global_atomic_cmpswap_b64 v[9:10], v15, v[9:12], s[30:31] th:TH_ATOMIC_RETURN scope:SCOPE_DEV
	s_wait_loadcnt 0x0
	v_cmp_eq_u64_e64 s6, v[9:10], v[11:12]
	v_dual_mov_b32 v12, v10 :: v_dual_mov_b32 v11, v9
	s_wait_alu 0xfffe
	s_or_b32 s25, s6, s25
	s_wait_alu 0xfffe
	s_and_not1_b32 exec_lo, exec_lo, s25
	s_cbranch_execnz .LBB35_24
; %bb.25:                               ;   in Loop: Header=BB35_7 Depth=1
	s_or_b32 exec_lo, exec_lo, s25
.LBB35_26:                              ;   in Loop: Header=BB35_7 Depth=1
	s_wait_alu 0xfffe
	s_or_b32 exec_lo, exec_lo, s16
	v_mul_f64_e32 v[7:8], v[1:2], v[7:8]
	v_mov_b32_e32 v9, 0
	v_bfrev_b32_e32 v10, 1
	s_mov_b32 s6, exec_lo
	s_delay_alu instid0(VALU_DEP_3)
	v_fma_f64 v[5:6], v[3:4], v[5:6], v[7:8]
.LBB35_27:                              ;   Parent Loop BB35_7 Depth=1
                                        ; =>  This Inner Loop Header: Depth=2
	s_wait_alu 0xfffe
	s_ctz_i32_b32 s16, s6
	s_wait_alu 0xfffe
	s_delay_alu instid0(VALU_DEP_1) | instskip(NEXT) | instid1(VALU_DEP_2)
	v_readlane_b32 s35, v6, s16
	v_readlane_b32 s34, v5, s16
	s_lshl_b32 s16, 1, s16
	s_wait_alu 0xfffe
	s_and_not1_b32 s6, s6, s16
	v_add_f64_e32 v[9:10], s[34:35], v[9:10]
	s_wait_alu 0xfffe
	s_cmp_lg_u32 s6, 0
	s_cbranch_scc1 .LBB35_27
; %bb.28:                               ;   in Loop: Header=BB35_7 Depth=1
	v_mbcnt_lo_u32_b32 v5, exec_lo, 0
	s_mov_b32 s16, exec_lo
	s_delay_alu instid0(VALU_DEP_1)
	v_cmpx_eq_u32_e32 0, v5
	s_wait_alu 0xfffe
	s_xor_b32 s16, exec_lo, s16
	s_cbranch_execz .LBB35_6
; %bb.29:                               ;   in Loop: Header=BB35_7 Depth=1
	global_load_b64 v[7:8], v15, s[30:31] offset:8
	s_mov_b32 s16, 0
.LBB35_30:                              ;   Parent Loop BB35_7 Depth=1
                                        ; =>  This Inner Loop Header: Depth=2
	s_wait_loadcnt 0x0
	v_add_f64_e32 v[5:6], v[7:8], v[9:10]
	global_atomic_cmpswap_b64 v[5:6], v15, v[5:8], s[30:31] offset:8 th:TH_ATOMIC_RETURN scope:SCOPE_DEV
	s_wait_loadcnt 0x0
	v_cmp_eq_u64_e64 s6, v[5:6], v[7:8]
	v_dual_mov_b32 v8, v6 :: v_dual_mov_b32 v7, v5
	s_wait_alu 0xfffe
	s_or_b32 s16, s6, s16
	s_wait_alu 0xfffe
	s_and_not1_b32 exec_lo, exec_lo, s16
	s_cbranch_execnz .LBB35_30
; %bb.31:                               ;   in Loop: Header=BB35_7 Depth=1
	s_or_b32 exec_lo, exec_lo, s16
	s_branch .LBB35_6
.LBB35_32:
	s_ashr_i32 s5, s22, 31
	s_mov_b32 s4, s22
	s_ashr_i32 s7, s23, 31
	s_wait_alu 0xfffe
	s_lshl_b64 s[4:5], s[4:5], 2
	s_mov_b32 s6, s23
	s_wait_alu 0xfffe
	s_add_nc_u64 s[4:5], s[8:9], s[4:5]
	s_lshl_b64 s[6:7], s[6:7], 2
	s_load_b32 s3, s[4:5], 0x0
	s_add_nc_u64 s[4:5], s[8:9], s[6:7]
	s_load_b32 s4, s[4:5], 0x0
	s_mov_b32 s5, exec_lo
	s_wait_kmcnt 0x0
	v_add_nc_u32_e32 v13, s3, v23
	s_sub_co_i32 s4, s4, s24
	s_wait_alu 0xfffe
	s_delay_alu instid0(VALU_DEP_1)
	v_cmpx_gt_i32_e64 s4, v13
	s_cbranch_execz .LBB35_44
; %bb.33:
	s_add_co_i32 s6, s23, -1
	s_mov_b32 s16, 0
	s_wait_alu 0xfffe
	s_cmp_lt_i32 s22, s6
	s_cselect_b32 s3, -1, 0
	s_add_co_i32 s7, s23, -2
	s_wait_alu 0xfffe
	s_cmp_lg_u32 s22, s7
	s_cselect_b32 s7, -1, 0
	s_wait_alu 0xfffe
	s_and_b32 s7, s3, s7
	s_branch .LBB35_35
.LBB35_34:                              ;   in Loop: Header=BB35_35 Depth=1
	s_wait_alu 0xfffe
	s_or_b32 exec_lo, exec_lo, s3
	v_add_nc_u32_e32 v13, 0x100, v13
	s_delay_alu instid0(VALU_DEP_1)
	v_cmp_le_i32_e32 vcc_lo, s4, v13
	s_or_b32 s16, vcc_lo, s16
	s_wait_alu 0xfffe
	s_and_not1_b32 exec_lo, exec_lo, s16
	s_cbranch_execz .LBB35_44
.LBB35_35:                              ; =>This Loop Header: Depth=1
                                        ;     Child Loop BB35_37 Depth 2
                                        ;     Child Loop BB35_41 Depth 2
	;; [unrolled: 1-line block ×3, first 2 shown]
	v_mov_b32_e32 v7, s22
	v_mov_b32_e32 v5, s6
	s_wait_alu 0xfffe
	s_and_not1_b32 vcc_lo, exec_lo, s7
	s_wait_alu 0xfffe
	s_cbranch_vccnz .LBB35_39
; %bb.36:                               ;   in Loop: Header=BB35_35 Depth=1
	v_mov_b32_e32 v7, s22
	v_mov_b32_e32 v5, s6
	s_mov_b32 s25, 0
.LBB35_37:                              ;   Parent Loop BB35_35 Depth=1
                                        ; =>  This Inner Loop Header: Depth=2
	s_delay_alu instid0(VALU_DEP_1) | instskip(NEXT) | instid1(VALU_DEP_1)
	v_add_nc_u32_e32 v6, v5, v7
	v_lshrrev_b32_e32 v8, 31, v6
	s_delay_alu instid0(VALU_DEP_1) | instskip(NEXT) | instid1(VALU_DEP_1)
	v_add_nc_u32_e32 v6, v6, v8
	v_ashrrev_i32_e32 v8, 1, v6
	s_delay_alu instid0(VALU_DEP_1) | instskip(NEXT) | instid1(VALU_DEP_1)
	v_ashrrev_i32_e32 v9, 31, v8
	v_lshlrev_b64_e32 v[9:10], 2, v[8:9]
	s_delay_alu instid0(VALU_DEP_1) | instskip(SKIP_1) | instid1(VALU_DEP_2)
	v_add_co_u32 v9, vcc_lo, s8, v9
	s_wait_alu 0xfffd
	v_add_co_ci_u32_e64 v10, null, s9, v10, vcc_lo
	global_load_b32 v6, v[9:10], off
	s_wait_loadcnt 0x0
	v_subrev_nc_u32_e32 v6, s24, v6
	s_delay_alu instid0(VALU_DEP_1) | instskip(SKIP_2) | instid1(VALU_DEP_1)
	v_cmp_lt_i32_e32 vcc_lo, v13, v6
	s_wait_alu 0xfffd
	v_cndmask_b32_e32 v5, v5, v8, vcc_lo
	v_dual_cndmask_b32 v7, v8, v7 :: v_dual_add_nc_u32 v6, -1, v5
	s_delay_alu instid0(VALU_DEP_1) | instskip(NEXT) | instid1(VALU_DEP_2)
	v_cmp_ge_i32_e32 vcc_lo, v7, v5
	v_cmp_eq_u32_e64 s3, v7, v6
	s_or_b32 s3, vcc_lo, s3
	s_wait_alu 0xfffe
	s_and_b32 s3, exec_lo, s3
	s_wait_alu 0xfffe
	s_or_b32 s25, s3, s25
	s_wait_alu 0xfffe
	s_and_not1_b32 exec_lo, exec_lo, s25
	s_cbranch_execnz .LBB35_37
; %bb.38:                               ;   in Loop: Header=BB35_35 Depth=1
	s_or_b32 exec_lo, exec_lo, s25
.LBB35_39:                              ;   in Loop: Header=BB35_35 Depth=1
	v_ashrrev_i32_e32 v6, 31, v5
	v_ashrrev_i32_e32 v14, 31, v13
	s_mov_b32 s3, exec_lo
	s_delay_alu instid0(VALU_DEP_2) | instskip(NEXT) | instid1(VALU_DEP_2)
	v_lshlrev_b64_e32 v[8:9], 2, v[5:6]
	v_lshlrev_b64_e32 v[10:11], 2, v[13:14]
	s_delay_alu instid0(VALU_DEP_2) | instskip(SKIP_1) | instid1(VALU_DEP_3)
	v_add_co_u32 v8, vcc_lo, s8, v8
	s_wait_alu 0xfffd
	v_add_co_ci_u32_e64 v9, null, s9, v9, vcc_lo
	global_load_b32 v6, v[8:9], off
	v_add_co_u32 v8, vcc_lo, s10, v10
	s_wait_alu 0xfffd
	v_add_co_ci_u32_e64 v9, null, s11, v11, vcc_lo
	global_load_b32 v8, v[8:9], off
	s_wait_loadcnt 0x1
	v_subrev_nc_u32_e32 v6, s24, v6
	s_delay_alu instid0(VALU_DEP_1) | instskip(SKIP_4) | instid1(VALU_DEP_1)
	v_cmp_lt_i32_e32 vcc_lo, v13, v6
	s_wait_loadcnt 0x0
	v_subrev_nc_u32_e32 v9, s24, v8
	s_wait_alu 0xfffd
	v_cndmask_b32_e32 v5, v5, v7, vcc_lo
	v_cmpx_ne_u32_e64 v9, v5
	s_cbranch_execz .LBB35_34
; %bb.40:                               ;   in Loop: Header=BB35_35 Depth=1
	v_lshlrev_b64_e32 v[6:7], 4, v[13:14]
	v_ashrrev_i32_e32 v10, 31, v9
	s_mov_b32 s25, 0
	s_delay_alu instid0(VALU_DEP_1) | instskip(NEXT) | instid1(VALU_DEP_3)
	v_lshlrev_b64_e32 v[9:10], 4, v[9:10]
	v_add_co_u32 v6, vcc_lo, s12, v6
	s_wait_alu 0xfffd
	v_add_co_ci_u32_e64 v7, null, s13, v7, vcc_lo
	global_load_b128 v[18:21], v[6:7], off
	v_ashrrev_i32_e32 v6, 31, v5
	s_delay_alu instid0(VALU_DEP_1) | instskip(NEXT) | instid1(VALU_DEP_1)
	v_lshlrev_b64_e32 v[5:6], 4, v[5:6]
	v_add_co_u32 v5, vcc_lo, s14, v5
	s_wait_alu 0xfffd
	s_delay_alu instid0(VALU_DEP_2)
	v_add_co_ci_u32_e64 v6, null, s15, v6, vcc_lo
	v_add_co_u32 v14, vcc_lo, s20, v9
	s_wait_alu 0xfffd
	v_add_co_ci_u32_e64 v15, null, s21, v10, vcc_lo
	global_load_b128 v[5:8], v[5:6], off
	global_load_b64 v[11:12], v[14:15], off
	s_wait_loadcnt 0x2
	v_xor_b32_e32 v9, 0x80000000, v21
	s_delay_alu instid0(VALU_DEP_1) | instskip(NEXT) | instid1(VALU_DEP_1)
	v_cndmask_b32_e64 v21, v21, v9, s2
	v_mul_f64_e32 v[9:10], v[1:2], v[20:21]
	v_mul_f64_e64 v[20:21], v[20:21], -v[3:4]
	s_delay_alu instid0(VALU_DEP_2) | instskip(NEXT) | instid1(VALU_DEP_2)
	v_fma_f64 v[16:17], v[3:4], v[18:19], v[9:10]
	v_fma_f64 v[18:19], v[1:2], v[18:19], v[20:21]
	s_wait_loadcnt 0x1
	s_delay_alu instid0(VALU_DEP_2) | instskip(NEXT) | instid1(VALU_DEP_1)
	v_mul_f64_e64 v[9:10], v[7:8], -v[16:17]
	v_fma_f64 v[20:21], v[18:19], v[5:6], v[9:10]
.LBB35_41:                              ;   Parent Loop BB35_35 Depth=1
                                        ; =>  This Inner Loop Header: Depth=2
	s_wait_loadcnt 0x0
	s_delay_alu instid0(VALU_DEP_1)
	v_add_f64_e32 v[9:10], v[11:12], v[20:21]
	global_atomic_cmpswap_b64 v[9:10], v[14:15], v[9:12], off th:TH_ATOMIC_RETURN scope:SCOPE_DEV
	s_wait_loadcnt 0x0
	v_cmp_eq_u64_e32 vcc_lo, v[9:10], v[11:12]
	v_dual_mov_b32 v12, v10 :: v_dual_mov_b32 v11, v9
	s_wait_alu 0xfffe
	s_or_b32 s25, vcc_lo, s25
	s_wait_alu 0xfffe
	s_and_not1_b32 exec_lo, exec_lo, s25
	s_cbranch_execnz .LBB35_41
; %bb.42:                               ;   in Loop: Header=BB35_35 Depth=1
	s_or_b32 exec_lo, exec_lo, s25
	global_load_b64 v[9:10], v[14:15], off offset:8
	v_mul_f64_e32 v[7:8], v[7:8], v[18:19]
	s_mov_b32 s25, 0
	s_delay_alu instid0(VALU_DEP_1)
	v_fma_f64 v[5:6], v[16:17], v[5:6], v[7:8]
.LBB35_43:                              ;   Parent Loop BB35_35 Depth=1
                                        ; =>  This Inner Loop Header: Depth=2
	s_wait_loadcnt 0x0
	s_delay_alu instid0(VALU_DEP_1)
	v_add_f64_e32 v[7:8], v[9:10], v[5:6]
	global_atomic_cmpswap_b64 v[7:8], v[14:15], v[7:10], off offset:8 th:TH_ATOMIC_RETURN scope:SCOPE_DEV
	s_wait_loadcnt 0x0
	v_cmp_eq_u64_e32 vcc_lo, v[7:8], v[9:10]
	v_dual_mov_b32 v10, v8 :: v_dual_mov_b32 v9, v7
	s_wait_alu 0xfffe
	s_or_b32 s25, vcc_lo, s25
	s_wait_alu 0xfffe
	s_and_not1_b32 exec_lo, exec_lo, s25
	s_cbranch_execnz .LBB35_43
	s_branch .LBB35_34
.LBB35_44:
	s_or_b32 exec_lo, exec_lo, s5
	s_mov_b32 s3, 0
.LBB35_45:
	s_wait_alu 0xfffe
	s_and_b32 vcc_lo, exec_lo, s3
	s_wait_alu 0xfffe
	s_cbranch_vccz .LBB35_203
; %bb.46:
	s_ashr_i32 s5, s22, 31
	s_mov_b32 s4, s22
	s_cvt_f32_u32 s3, s19
	s_wait_alu 0xfffe
	s_lshl_b64 s[4:5], s[4:5], 2
	s_mov_b32 s7, 0
	s_wait_alu 0xfffe
	s_add_nc_u64 s[4:5], s[8:9], s[4:5]
	v_rcp_iflag_f32_e32 v5, s3
	s_load_b32 s25, s[4:5], 0x0
	s_load_b32 s3, s[0:1], 0x74
	s_delay_alu instid0(TRANS32_DEP_1) | instskip(SKIP_1) | instid1(SALU_CYCLE_3)
	v_readfirstlane_b32 s0, v5
	s_mul_f32 s0, s0, 0x4f7ffffe
	s_cvt_u32_f32 s16, s0
	s_sub_co_i32 s0, 0, s19
	s_wait_kmcnt 0x0
	v_add_nc_u32_e32 v9, s25, v23
	s_wait_alu 0xfffe
	s_mul_i32 s0, s0, s16
	s_delay_alu instid0(VALU_DEP_1) | instskip(NEXT) | instid1(VALU_DEP_1)
	v_add_nc_u32_e32 v20, 0x300, v9
	v_cmp_le_i32_e32 vcc_lo, s17, v20
	s_mul_hi_u32 s17, s16, s0
	s_and_saveexec_b32 s0, vcc_lo
	s_delay_alu instid0(SALU_CYCLE_1)
	s_xor_b32 s1, exec_lo, s0
	s_cbranch_execz .LBB35_51
; %bb.47:
	s_ashr_i32 s27, s23, 31
	s_mov_b32 s26, s23
	s_wait_alu 0xfffe
	s_lshl_b64 s[26:27], s[26:27], 2
	s_wait_alu 0xfffe
	s_add_nc_u64 s[26:27], s[8:9], s[26:27]
	s_load_b32 s0, s[26:27], 0x0
	s_mov_b32 s26, exec_lo
	s_wait_kmcnt 0x0
	s_sub_co_i32 s6, s0, s25
	s_wait_alu 0xfffe
	v_cmpx_gt_i32_e64 s6, v0
	s_cbranch_execz .LBB35_50
; %bb.48:
	v_dual_mov_b32 v5, v22 :: v_dual_mov_b32 v6, v0
	s_sub_co_i32 s27, s25, s24
	s_mov_b32 s28, 0
.LBB35_49:                              ; =>This Inner Loop Header: Depth=1
	s_wait_alu 0xfffe
	s_delay_alu instid0(VALU_DEP_1) | instskip(SKIP_1) | instid1(VALU_DEP_2)
	v_add_nc_u32_e32 v7, s27, v6
	v_add_nc_u32_e32 v6, 0x100, v6
	v_ashrrev_i32_e32 v8, 31, v7
	s_delay_alu instid0(VALU_DEP_1) | instskip(NEXT) | instid1(VALU_DEP_1)
	v_lshlrev_b64_e32 v[7:8], 4, v[7:8]
	v_add_co_u32 v7, s0, s12, v7
	s_wait_alu 0xf1ff
	s_delay_alu instid0(VALU_DEP_2)
	v_add_co_ci_u32_e64 v8, null, s13, v8, s0
	v_cmp_le_i32_e64 s0, s6, v6
	global_load_b128 v[10:13], v[7:8], off
	s_or_b32 s28, s0, s28
	s_wait_loadcnt 0x0
	v_xor_b32_e32 v7, 0x80000000, v13
	s_delay_alu instid0(VALU_DEP_1) | instskip(NEXT) | instid1(VALU_DEP_1)
	v_cndmask_b32_e64 v13, v13, v7, s2
	v_mul_f64_e64 v[7:8], v[12:13], -v[3:4]
	v_mul_f64_e32 v[14:15], v[1:2], v[12:13]
	s_delay_alu instid0(VALU_DEP_2) | instskip(NEXT) | instid1(VALU_DEP_2)
	v_fma_f64 v[12:13], v[1:2], v[10:11], v[7:8]
	v_fma_f64 v[14:15], v[3:4], v[10:11], v[14:15]
	ds_store_b128 v5, v[12:15]
	v_add_nc_u32_e32 v5, 0x1000, v5
	s_and_not1_b32 exec_lo, exec_lo, s28
	s_cbranch_execnz .LBB35_49
.LBB35_50:
	s_or_b32 exec_lo, exec_lo, s26
                                        ; implicit-def: $vgpr3_vgpr4
.LBB35_51:
	s_or_saveexec_b32 s1, s1
	v_ashrrev_i32_e32 v10, 31, v9
	s_and_b32 s6, s3, 0xffff
	s_wait_alu 0xfffe
	s_add_co_i32 s16, s16, s17
	s_xor_b32 exec_lo, exec_lo, s1
	s_cbranch_execz .LBB35_53
; %bb.52:
	v_lshlrev_b64_e32 v[5:6], 4, v[9:10]
	s_delay_alu instid0(VALU_DEP_1) | instskip(SKIP_1) | instid1(VALU_DEP_2)
	v_add_co_u32 v23, s0, s12, v5
	s_wait_alu 0xf1ff
	v_add_co_ci_u32_e64 v24, null, s13, v6, s0
	s_clause 0x3
	global_load_b128 v[5:8], v[23:24], off
	global_load_b128 v[11:14], v[23:24], off offset:4096
	global_load_b128 v[15:18], v[23:24], off offset:8192
	;; [unrolled: 1-line block ×3, first 2 shown]
	s_wait_loadcnt 0x3
	v_xor_b32_e32 v19, 0x80000000, v8
	s_wait_loadcnt 0x2
	v_xor_b32_e32 v21, 0x80000000, v14
	;; [unrolled: 2-line block ×4, first 2 shown]
	v_cndmask_b32_e64 v8, v8, v19, s2
	v_cndmask_b32_e64 v14, v14, v21, s2
	;; [unrolled: 1-line block ×3, first 2 shown]
	s_delay_alu instid0(VALU_DEP_4) | instskip(NEXT) | instid1(VALU_DEP_4)
	v_cndmask_b32_e64 v26, v26, v28, s2
	v_mul_f64_e64 v[27:28], v[7:8], -v[3:4]
	v_mul_f64_e32 v[7:8], v[1:2], v[7:8]
	v_mul_f64_e64 v[29:30], v[13:14], -v[3:4]
	v_mul_f64_e32 v[13:14], v[1:2], v[13:14]
	v_mul_f64_e64 v[31:32], v[17:18], -v[3:4]
	v_mul_f64_e32 v[17:18], v[1:2], v[17:18]
	v_mul_f64_e64 v[33:34], v[25:26], -v[3:4]
	v_mul_f64_e32 v[35:36], v[1:2], v[25:26]
	v_fma_f64 v[25:26], v[1:2], v[5:6], v[27:28]
	v_fma_f64 v[27:28], v[3:4], v[5:6], v[7:8]
	v_fma_f64 v[5:6], v[1:2], v[11:12], v[29:30]
	v_fma_f64 v[7:8], v[3:4], v[11:12], v[13:14]
	v_fma_f64 v[11:12], v[1:2], v[15:16], v[31:32]
	v_fma_f64 v[13:14], v[3:4], v[15:16], v[17:18]
	v_fma_f64 v[1:2], v[1:2], v[23:24], v[33:34]
	v_fma_f64 v[3:4], v[3:4], v[23:24], v[35:36]
	ds_store_b128 v22, v[25:28]
	ds_store_b128 v22, v[5:8] offset:4096
	ds_store_b128 v22, v[11:14] offset:8192
	;; [unrolled: 1-line block ×3, first 2 shown]
.LBB35_53:
	s_or_b32 exec_lo, exec_lo, s1
	s_mov_b32 s17, s7
	s_mov_b32 s1, exec_lo
	v_cmpx_gt_i32_e64 s18, v0
	s_cbranch_execz .LBB35_56
; %bb.54:
	s_mov_b32 s2, 0
	v_lshl_add_u32 v5, v0, 4, 0x4000
	s_wait_alu 0xfffe
	s_mov_b32 s3, s2
	s_mov_b32 s12, s2
	;; [unrolled: 1-line block ×3, first 2 shown]
	s_wait_alu 0xfffe
	v_dual_mov_b32 v1, s2 :: v_dual_mov_b32 v2, s3
	v_dual_mov_b32 v3, s12 :: v_dual_mov_b32 v4, s13
	v_mov_b32_e32 v6, v0
.LBB35_55:                              ; =>This Inner Loop Header: Depth=1
	s_delay_alu instid0(VALU_DEP_1)
	v_add_nc_u32_e32 v6, 0x100, v6
	ds_store_2addr_b64 v5, v[1:2], v[3:4] offset1:1
	v_add_nc_u32_e32 v5, 0x1000, v5
	v_cmp_le_i32_e64 s0, s18, v6
	s_or_b32 s2, s0, s2
	s_wait_alu 0xfffe
	s_and_not1_b32 exec_lo, exec_lo, s2
	s_cbranch_execnz .LBB35_55
.LBB35_56:
	s_wait_alu 0xfffe
	s_or_b32 exec_lo, exec_lo, s1
	s_mul_u64 s[0:1], s[6:7], s[16:17]
	s_sub_co_i32 s0, s23, s18
	s_cmp_ge_i32 s23, s18
	s_wait_loadcnt_dscnt 0x0
	s_wait_alu 0xfffe
	s_cselect_b32 s7, s0, 0
	s_barrier_signal -1
	s_barrier_wait -1
	global_inv scope:SCOPE_SE
	s_and_saveexec_b32 s0, vcc_lo
	s_wait_alu 0xfffe
	s_xor_b32 s2, exec_lo, s0
	s_cbranch_execz .LBB35_81
; %bb.57:
	s_ashr_i32 s13, s23, 31
	s_mov_b32 s12, s23
	s_wait_alu 0xfffe
	s_lshl_b64 s[12:13], s[12:13], 2
	s_wait_alu 0xfffe
	s_add_nc_u64 s[12:13], s[8:9], s[12:13]
	s_load_b32 s0, s[12:13], 0x0
	s_mov_b32 s12, exec_lo
	s_wait_kmcnt 0x0
	s_sub_co_i32 s3, s0, s25
	s_wait_alu 0xfffe
	v_cmpx_gt_i32_e64 s3, v0
	s_cbranch_execz .LBB35_80
; %bb.58:
	s_add_co_i32 s16, s23, -2
	s_add_co_i32 s13, s23, -1
	s_wait_alu 0xfffe
	s_cmp_lg_u32 s22, s16
	s_mov_b32 s26, 0
	s_cselect_b32 s16, -1, 0
	s_sub_co_i32 s17, s0, s24
	s_mov_b32 s27, 0
	s_branch .LBB35_61
.LBB35_59:                              ;   in Loop: Header=BB35_61 Depth=1
	s_wait_alu 0xfffe
	s_or_b32 exec_lo, exec_lo, s0
	v_xor_b32_e32 v6, 0x80000000, v4
	v_mov_b32_e32 v5, v3
.LBB35_60:                              ;   in Loop: Header=BB35_61 Depth=1
	s_or_b32 exec_lo, exec_lo, s28
	v_ashrrev_i32_e32 v11, 31, v10
	s_addk_co_i32 s27, 0x100
	s_delay_alu instid0(VALU_DEP_1) | instskip(NEXT) | instid1(VALU_DEP_1)
	v_lshlrev_b64_e32 v[7:8], 4, v[10:11]
	v_add_co_u32 v7, vcc_lo, s14, v7
	s_wait_alu 0xfffd
	s_delay_alu instid0(VALU_DEP_2) | instskip(SKIP_4) | instid1(VALU_DEP_2)
	v_add_co_ci_u32_e64 v8, null, s15, v8, vcc_lo
	global_load_b128 v[10:13], v[7:8], off
	s_wait_loadcnt 0x0
	v_mul_f64_e32 v[5:6], v[12:13], v[5:6]
	v_mul_f64_e32 v[7:8], v[12:13], v[1:2]
	v_fma_f64 v[1:2], v[1:2], v[10:11], v[5:6]
	s_delay_alu instid0(VALU_DEP_2) | instskip(SKIP_2) | instid1(VALU_DEP_1)
	v_fma_f64 v[3:4], v[3:4], v[10:11], v[7:8]
	s_wait_alu 0xfffe
	v_add_nc_u32_e32 v5, s27, v0
	v_cmp_le_i32_e32 vcc_lo, s3, v5
	s_or_b32 s26, vcc_lo, s26
	ds_store_b128 v18, v[1:4]
	s_wait_alu 0xfffe
	s_and_not1_b32 exec_lo, exec_lo, s26
	s_cbranch_execz .LBB35_80
.LBB35_61:                              ; =>This Loop Header: Depth=1
                                        ;     Child Loop BB35_63 Depth 2
                                        ;     Child Loop BB35_70 Depth 2
	;; [unrolled: 1-line block ×5, first 2 shown]
	s_wait_alu 0xfffe
	v_add_nc_u32_e32 v1, s27, v9
	v_mov_b32_e32 v5, s22
	v_mov_b32_e32 v3, s13
	s_and_not1_b32 vcc_lo, exec_lo, s16
	s_wait_alu 0xfffe
	s_cbranch_vccnz .LBB35_65
; %bb.62:                               ;   in Loop: Header=BB35_61 Depth=1
	v_mov_b32_e32 v5, s22
	v_mov_b32_e32 v3, s13
	s_mov_b32 s28, 0
.LBB35_63:                              ;   Parent Loop BB35_61 Depth=1
                                        ; =>  This Inner Loop Header: Depth=2
	s_delay_alu instid0(VALU_DEP_1) | instskip(NEXT) | instid1(VALU_DEP_1)
	v_add_nc_u32_e32 v2, v3, v5
	v_lshrrev_b32_e32 v4, 31, v2
	s_delay_alu instid0(VALU_DEP_1) | instskip(NEXT) | instid1(VALU_DEP_1)
	v_add_nc_u32_e32 v2, v2, v4
	v_ashrrev_i32_e32 v6, 1, v2
	s_delay_alu instid0(VALU_DEP_1) | instskip(NEXT) | instid1(VALU_DEP_1)
	v_ashrrev_i32_e32 v7, 31, v6
	v_lshlrev_b64_e32 v[7:8], 2, v[6:7]
	s_delay_alu instid0(VALU_DEP_1) | instskip(SKIP_1) | instid1(VALU_DEP_2)
	v_add_co_u32 v7, vcc_lo, s8, v7
	s_wait_alu 0xfffd
	v_add_co_ci_u32_e64 v8, null, s9, v8, vcc_lo
	global_load_b32 v2, v[7:8], off
	s_wait_loadcnt 0x0
	v_subrev_nc_u32_e32 v2, s24, v2
	s_delay_alu instid0(VALU_DEP_1) | instskip(SKIP_2) | instid1(VALU_DEP_1)
	v_cmp_lt_i32_e32 vcc_lo, v1, v2
	s_wait_alu 0xfffd
	v_cndmask_b32_e32 v3, v3, v6, vcc_lo
	v_dual_cndmask_b32 v5, v6, v5 :: v_dual_add_nc_u32 v2, -1, v3
	s_delay_alu instid0(VALU_DEP_1) | instskip(NEXT) | instid1(VALU_DEP_2)
	v_cmp_ge_i32_e32 vcc_lo, v5, v3
	v_cmp_eq_u32_e64 s0, v5, v2
	s_or_b32 s0, vcc_lo, s0
	s_wait_alu 0xfffe
	s_and_b32 s0, exec_lo, s0
	s_wait_alu 0xfffe
	s_or_b32 s28, s0, s28
	s_delay_alu instid0(SALU_CYCLE_1)
	s_and_not1_b32 exec_lo, exec_lo, s28
	s_cbranch_execnz .LBB35_63
; %bb.64:                               ;   in Loop: Header=BB35_61 Depth=1
	s_or_b32 exec_lo, exec_lo, s28
.LBB35_65:                              ;   in Loop: Header=BB35_61 Depth=1
	s_delay_alu instid0(VALU_DEP_1) | instskip(SKIP_3) | instid1(VALU_DEP_4)
	v_ashrrev_i32_e32 v4, 31, v3
	v_ashrrev_i32_e32 v2, 31, v1
	v_cmp_le_i32_e64 s0, s17, v1
	v_lshl_add_u32 v18, s27, 4, v22
	v_lshlrev_b64_e32 v[6:7], 2, v[3:4]
	s_delay_alu instid0(VALU_DEP_4) | instskip(NEXT) | instid1(VALU_DEP_2)
	v_lshlrev_b64_e32 v[10:11], 2, v[1:2]
	v_add_co_u32 v6, vcc_lo, s8, v6
	s_wait_alu 0xfffd
	s_delay_alu instid0(VALU_DEP_3) | instskip(NEXT) | instid1(VALU_DEP_3)
	v_add_co_ci_u32_e64 v7, null, s9, v7, vcc_lo
	v_add_co_u32 v10, vcc_lo, s10, v10
	s_wait_alu 0xfffd
	v_add_co_ci_u32_e64 v11, null, s11, v11, vcc_lo
	global_load_b32 v2, v[6:7], off
	global_load_b32 v4, v[10:11], off
	s_wait_loadcnt 0x1
	v_subrev_nc_u32_e32 v2, s24, v2
	s_wait_loadcnt 0x0
	v_subrev_nc_u32_e32 v10, s24, v4
	s_delay_alu instid0(VALU_DEP_2) | instskip(SKIP_2) | instid1(VALU_DEP_1)
	v_cmp_lt_i32_e32 vcc_lo, v1, v2
	s_wait_alu 0xfffd
	v_cndmask_b32_e32 v7, v3, v5, vcc_lo
                                        ; implicit-def: $vgpr1_vgpr2
                                        ; implicit-def: $vgpr5_vgpr6
	v_cmp_eq_u32_e32 vcc_lo, v10, v7
	s_or_b32 s0, vcc_lo, s0
	s_wait_alu 0xfffe
	s_and_saveexec_b32 s28, s0
	s_delay_alu instid0(SALU_CYCLE_1)
	s_xor_b32 s0, exec_lo, s28
	s_cbranch_execz .LBB35_67
; %bb.66:                               ;   in Loop: Header=BB35_61 Depth=1
	ds_load_b128 v[1:4], v18
                                        ; implicit-def: $vgpr7
	s_wait_dscnt 0x0
	v_xor_b32_e32 v6, 0x80000000, v4
	v_mov_b32_e32 v5, v3
.LBB35_67:                              ;   in Loop: Header=BB35_61 Depth=1
	s_wait_alu 0xfffe
	s_and_not1_saveexec_b32 s28, s0
	s_cbranch_execz .LBB35_60
; %bb.68:                               ;   in Loop: Header=BB35_61 Depth=1
	v_ashrrev_i32_e32 v8, 31, v7
	v_cmp_le_i32_e64 s0, s23, v10
	s_delay_alu instid0(VALU_DEP_2) | instskip(NEXT) | instid1(VALU_DEP_1)
	v_lshlrev_b64_e32 v[1:2], 4, v[7:8]
	v_add_co_u32 v1, vcc_lo, s14, v1
	s_wait_alu 0xfffd
	s_delay_alu instid0(VALU_DEP_2)
	v_add_co_ci_u32_e64 v2, null, s15, v2, vcc_lo
	v_cmp_gt_i32_e32 vcc_lo, s7, v10
	global_load_b128 v[5:8], v[1:2], off
	ds_load_b128 v[1:4], v18
	s_or_b32 s0, vcc_lo, s0
	s_wait_loadcnt_dscnt 0x0
	v_mul_f64_e64 v[11:12], v[7:8], -v[3:4]
	v_mul_f64_e32 v[7:8], v[7:8], v[1:2]
	s_delay_alu instid0(VALU_DEP_2) | instskip(NEXT) | instid1(VALU_DEP_2)
	v_fma_f64 v[14:15], v[1:2], v[5:6], v[11:12]
	v_fma_f64 v[12:13], v[3:4], v[5:6], v[7:8]
	s_wait_alu 0xfffe
	s_and_saveexec_b32 s29, s0
	s_delay_alu instid0(SALU_CYCLE_1)
	s_xor_b32 s0, exec_lo, s29
	s_cbranch_execz .LBB35_74
; %bb.69:                               ;   in Loop: Header=BB35_61 Depth=1
	v_ashrrev_i32_e32 v11, 31, v10
	s_mov_b32 s29, 0
	s_delay_alu instid0(VALU_DEP_1) | instskip(NEXT) | instid1(VALU_DEP_1)
	v_lshlrev_b64_e32 v[5:6], 4, v[10:11]
	v_add_co_u32 v16, vcc_lo, s20, v5
	s_wait_alu 0xfffd
	s_delay_alu instid0(VALU_DEP_2)
	v_add_co_ci_u32_e64 v17, null, s21, v6, vcc_lo
	global_load_b64 v[7:8], v[16:17], off
.LBB35_70:                              ;   Parent Loop BB35_61 Depth=1
                                        ; =>  This Inner Loop Header: Depth=2
	s_wait_loadcnt 0x0
	v_add_f64_e32 v[5:6], v[7:8], v[14:15]
	global_atomic_cmpswap_b64 v[5:6], v[16:17], v[5:8], off th:TH_ATOMIC_RETURN scope:SCOPE_DEV
	s_wait_loadcnt 0x0
	v_cmp_eq_u64_e32 vcc_lo, v[5:6], v[7:8]
	v_dual_mov_b32 v8, v6 :: v_dual_mov_b32 v7, v5
	s_or_b32 s29, vcc_lo, s29
	s_delay_alu instid0(SALU_CYCLE_1)
	s_and_not1_b32 exec_lo, exec_lo, s29
	s_cbranch_execnz .LBB35_70
; %bb.71:                               ;   in Loop: Header=BB35_61 Depth=1
	s_or_b32 exec_lo, exec_lo, s29
	global_load_b64 v[7:8], v[16:17], off offset:8
	s_mov_b32 s29, 0
.LBB35_72:                              ;   Parent Loop BB35_61 Depth=1
                                        ; =>  This Inner Loop Header: Depth=2
	s_wait_loadcnt 0x0
	v_add_f64_e32 v[5:6], v[7:8], v[12:13]
	global_atomic_cmpswap_b64 v[5:6], v[16:17], v[5:8], off offset:8 th:TH_ATOMIC_RETURN scope:SCOPE_DEV
	s_wait_loadcnt 0x0
	v_cmp_eq_u64_e32 vcc_lo, v[5:6], v[7:8]
	v_dual_mov_b32 v8, v6 :: v_dual_mov_b32 v7, v5
	s_or_b32 s29, vcc_lo, s29
	s_delay_alu instid0(SALU_CYCLE_1)
	s_and_not1_b32 exec_lo, exec_lo, s29
	s_cbranch_execnz .LBB35_72
; %bb.73:                               ;   in Loop: Header=BB35_61 Depth=1
	s_or_b32 exec_lo, exec_lo, s29
                                        ; implicit-def: $vgpr12_vgpr13
                                        ; implicit-def: $vgpr14_vgpr15
.LBB35_74:                              ;   in Loop: Header=BB35_61 Depth=1
	s_wait_alu 0xfffe
	s_and_not1_saveexec_b32 s0, s0
	s_cbranch_execz .LBB35_59
; %bb.75:                               ;   in Loop: Header=BB35_61 Depth=1
	v_subrev_nc_u32_e32 v5, s7, v10
	s_mov_b32 s29, 0
	s_delay_alu instid0(VALU_DEP_1)
	v_lshl_add_u32 v7, v5, 4, 0x4000
	ds_load_b64 v[5:6], v7
.LBB35_76:                              ;   Parent Loop BB35_61 Depth=1
                                        ; =>  This Inner Loop Header: Depth=2
	s_wait_dscnt 0x0
	v_add_f64_e32 v[16:17], v[5:6], v[14:15]
	ds_cmpstore_rtn_b64 v[16:17], v7, v[16:17], v[5:6]
	s_wait_dscnt 0x0
	v_cmp_eq_u64_e32 vcc_lo, v[16:17], v[5:6]
	v_dual_mov_b32 v5, v16 :: v_dual_mov_b32 v6, v17
	s_or_b32 s29, vcc_lo, s29
	s_delay_alu instid0(SALU_CYCLE_1)
	s_and_not1_b32 exec_lo, exec_lo, s29
	s_cbranch_execnz .LBB35_76
; %bb.77:                               ;   in Loop: Header=BB35_61 Depth=1
	s_or_b32 exec_lo, exec_lo, s29
	ds_load_b64 v[5:6], v7 offset:8
	s_mov_b32 s29, 0
.LBB35_78:                              ;   Parent Loop BB35_61 Depth=1
                                        ; =>  This Inner Loop Header: Depth=2
	s_wait_dscnt 0x0
	v_add_f64_e32 v[14:15], v[5:6], v[12:13]
	ds_cmpstore_rtn_b64 v[14:15], v7, v[14:15], v[5:6] offset:8
	s_wait_dscnt 0x0
	v_cmp_eq_u64_e32 vcc_lo, v[14:15], v[5:6]
	v_dual_mov_b32 v5, v14 :: v_dual_mov_b32 v6, v15
	s_or_b32 s29, vcc_lo, s29
	s_delay_alu instid0(SALU_CYCLE_1)
	s_and_not1_b32 exec_lo, exec_lo, s29
	s_cbranch_execnz .LBB35_78
; %bb.79:                               ;   in Loop: Header=BB35_61 Depth=1
	s_or_b32 exec_lo, exec_lo, s29
	s_branch .LBB35_59
.LBB35_80:
	s_or_b32 exec_lo, exec_lo, s12
                                        ; implicit-def: $vgpr20
                                        ; implicit-def: $vgpr9
.LBB35_81:
	s_wait_alu 0xfffe
	s_and_not1_saveexec_b32 s12, s2
	s_cbranch_execz .LBB35_167
; %bb.82:
	s_add_co_i32 s13, s23, -1
	s_add_co_i32 s0, s23, -2
	v_mov_b32_e32 v3, s22
	s_wait_alu 0xfffe
	v_mov_b32_e32 v1, s13
	s_cmp_lg_u32 s22, s0
	s_cselect_b32 s16, -1, 0
	s_cmp_eq_u32 s22, s0
	s_cbranch_scc1 .LBB35_86
; %bb.83:
	v_mov_b32_e32 v3, s22
	v_mov_b32_e32 v1, s13
	s_mov_b32 s2, 0
.LBB35_84:                              ; =>This Inner Loop Header: Depth=1
	s_delay_alu instid0(VALU_DEP_1) | instskip(NEXT) | instid1(VALU_DEP_1)
	v_add_nc_u32_e32 v2, v1, v3
	v_lshrrev_b32_e32 v4, 31, v2
	s_delay_alu instid0(VALU_DEP_1) | instskip(NEXT) | instid1(VALU_DEP_1)
	v_add_nc_u32_e32 v2, v2, v4
	v_ashrrev_i32_e32 v4, 1, v2
	s_delay_alu instid0(VALU_DEP_1) | instskip(NEXT) | instid1(VALU_DEP_1)
	v_ashrrev_i32_e32 v5, 31, v4
	v_lshlrev_b64_e32 v[5:6], 2, v[4:5]
	s_delay_alu instid0(VALU_DEP_1) | instskip(SKIP_1) | instid1(VALU_DEP_2)
	v_add_co_u32 v5, vcc_lo, s8, v5
	s_wait_alu 0xfffd
	v_add_co_ci_u32_e64 v6, null, s9, v6, vcc_lo
	global_load_b32 v2, v[5:6], off
	s_wait_loadcnt 0x0
	v_subrev_nc_u32_e32 v2, s24, v2
	s_delay_alu instid0(VALU_DEP_1) | instskip(SKIP_2) | instid1(VALU_DEP_1)
	v_cmp_lt_i32_e32 vcc_lo, v9, v2
	s_wait_alu 0xfffd
	v_cndmask_b32_e32 v1, v1, v4, vcc_lo
	v_dual_cndmask_b32 v3, v4, v3 :: v_dual_add_nc_u32 v2, -1, v1
	s_delay_alu instid0(VALU_DEP_1) | instskip(NEXT) | instid1(VALU_DEP_2)
	v_cmp_ge_i32_e32 vcc_lo, v3, v1
	v_cmp_eq_u32_e64 s0, v3, v2
	s_or_b32 s0, vcc_lo, s0
	s_wait_alu 0xfffe
	s_and_b32 s0, exec_lo, s0
	s_wait_alu 0xfffe
	s_or_b32 s2, s0, s2
	s_wait_alu 0xfffe
	s_and_not1_b32 exec_lo, exec_lo, s2
	s_cbranch_execnz .LBB35_84
; %bb.85:
	s_or_b32 exec_lo, exec_lo, s2
.LBB35_86:
	v_ashrrev_i32_e32 v2, 31, v1
	v_lshlrev_b64_e32 v[6:7], 2, v[9:10]
	s_ashr_i32 s3, s23, 31
	s_mov_b32 s2, s23
	s_mov_b32 s0, exec_lo
	v_lshlrev_b64_e32 v[4:5], 2, v[1:2]
	s_wait_alu 0xfffe
	s_lshl_b64 s[2:3], s[2:3], 2
	s_wait_alu 0xfffe
	s_add_nc_u64 s[2:3], s[8:9], s[2:3]
	s_delay_alu instid0(VALU_DEP_1)
	v_add_co_u32 v4, vcc_lo, s8, v4
	s_wait_alu 0xfffd
	v_add_co_ci_u32_e64 v5, null, s9, v5, vcc_lo
	v_add_co_u32 v10, vcc_lo, s10, v6
	s_wait_alu 0xfffd
	v_add_co_ci_u32_e64 v11, null, s11, v7, vcc_lo
	global_load_b32 v2, v[4:5], off
	global_load_b32 v4, v[10:11], off
	s_wait_loadcnt 0x1
	v_subrev_nc_u32_e32 v2, s24, v2
	s_wait_loadcnt 0x0
	v_subrev_nc_u32_e32 v12, s24, v4
	s_delay_alu instid0(VALU_DEP_2) | instskip(SKIP_2) | instid1(VALU_DEP_1)
	v_cmp_lt_i32_e32 vcc_lo, v9, v2
	s_wait_alu 0xfffd
	v_cndmask_b32_e32 v5, v1, v3, vcc_lo
                                        ; implicit-def: $vgpr1_vgpr2
	v_cmpx_ne_u32_e64 v12, v5
	s_xor_b32 s10, exec_lo, s0
	s_cbranch_execz .LBB35_101
; %bb.87:
	s_load_b32 s0, s[2:3], 0x0
	ds_load_b128 v[1:4], v22
	s_mov_b32 s11, exec_lo
	s_wait_kmcnt 0x0
	s_sub_co_i32 s0, s0, s24
	s_wait_alu 0xfffe
	v_cmpx_gt_i32_e64 s0, v9
	s_cbranch_execz .LBB35_100
; %bb.88:
	v_ashrrev_i32_e32 v6, 31, v5
	v_cmp_le_i32_e64 s0, s23, v12
	s_delay_alu instid0(VALU_DEP_2) | instskip(NEXT) | instid1(VALU_DEP_1)
	v_lshlrev_b64_e32 v[5:6], 4, v[5:6]
	v_add_co_u32 v5, vcc_lo, s14, v5
	s_wait_alu 0xfffd
	s_delay_alu instid0(VALU_DEP_2)
	v_add_co_ci_u32_e64 v6, null, s15, v6, vcc_lo
	v_cmp_gt_i32_e32 vcc_lo, s7, v12
	global_load_b128 v[5:8], v[5:6], off
	s_or_b32 s0, vcc_lo, s0
	s_wait_loadcnt_dscnt 0x0
	v_mul_f64_e64 v[13:14], v[7:8], -v[3:4]
	v_mul_f64_e32 v[7:8], v[7:8], v[1:2]
	s_delay_alu instid0(VALU_DEP_2) | instskip(NEXT) | instid1(VALU_DEP_2)
	v_fma_f64 v[16:17], v[1:2], v[5:6], v[13:14]
	v_fma_f64 v[14:15], v[3:4], v[5:6], v[7:8]
	s_wait_alu 0xfffe
	s_and_saveexec_b32 s17, s0
	s_wait_alu 0xfffe
	s_xor_b32 s0, exec_lo, s17
	s_cbranch_execz .LBB35_94
; %bb.89:
	v_ashrrev_i32_e32 v13, 31, v12
	s_mov_b32 s17, 0
	s_delay_alu instid0(VALU_DEP_1) | instskip(NEXT) | instid1(VALU_DEP_1)
	v_lshlrev_b64_e32 v[5:6], 4, v[12:13]
	v_add_co_u32 v18, vcc_lo, s20, v5
	s_wait_alu 0xfffd
	s_delay_alu instid0(VALU_DEP_2)
	v_add_co_ci_u32_e64 v19, null, s21, v6, vcc_lo
	global_load_b64 v[7:8], v[18:19], off
.LBB35_90:                              ; =>This Inner Loop Header: Depth=1
	s_wait_loadcnt 0x0
	v_add_f64_e32 v[5:6], v[7:8], v[16:17]
	global_atomic_cmpswap_b64 v[5:6], v[18:19], v[5:8], off th:TH_ATOMIC_RETURN scope:SCOPE_DEV
	s_wait_loadcnt 0x0
	v_cmp_eq_u64_e32 vcc_lo, v[5:6], v[7:8]
	v_dual_mov_b32 v8, v6 :: v_dual_mov_b32 v7, v5
	s_wait_alu 0xfffe
	s_or_b32 s17, vcc_lo, s17
	s_wait_alu 0xfffe
	s_and_not1_b32 exec_lo, exec_lo, s17
	s_cbranch_execnz .LBB35_90
; %bb.91:
	s_or_b32 exec_lo, exec_lo, s17
	global_load_b64 v[7:8], v[18:19], off offset:8
	s_mov_b32 s17, 0
.LBB35_92:                              ; =>This Inner Loop Header: Depth=1
	s_wait_loadcnt 0x0
	v_add_f64_e32 v[5:6], v[7:8], v[14:15]
	global_atomic_cmpswap_b64 v[5:6], v[18:19], v[5:8], off offset:8 th:TH_ATOMIC_RETURN scope:SCOPE_DEV
	s_wait_loadcnt 0x0
	v_cmp_eq_u64_e32 vcc_lo, v[5:6], v[7:8]
	v_dual_mov_b32 v8, v6 :: v_dual_mov_b32 v7, v5
	s_wait_alu 0xfffe
	s_or_b32 s17, vcc_lo, s17
	s_wait_alu 0xfffe
	s_and_not1_b32 exec_lo, exec_lo, s17
	s_cbranch_execnz .LBB35_92
; %bb.93:
	s_or_b32 exec_lo, exec_lo, s17
                                        ; implicit-def: $vgpr14_vgpr15
                                        ; implicit-def: $vgpr16_vgpr17
.LBB35_94:
	s_wait_alu 0xfffe
	s_and_not1_saveexec_b32 s0, s0
	s_cbranch_execz .LBB35_100
; %bb.95:
	v_subrev_nc_u32_e32 v5, s7, v12
	s_mov_b32 s0, 0
	s_delay_alu instid0(VALU_DEP_1)
	v_lshl_add_u32 v7, v5, 4, 0x4000
	ds_load_b64 v[5:6], v7
.LBB35_96:                              ; =>This Inner Loop Header: Depth=1
	s_wait_dscnt 0x0
	v_add_f64_e32 v[18:19], v[5:6], v[16:17]
	ds_cmpstore_rtn_b64 v[18:19], v7, v[18:19], v[5:6]
	s_wait_dscnt 0x0
	v_cmp_eq_u64_e32 vcc_lo, v[18:19], v[5:6]
	v_dual_mov_b32 v5, v18 :: v_dual_mov_b32 v6, v19
	s_wait_alu 0xfffe
	s_or_b32 s0, vcc_lo, s0
	s_wait_alu 0xfffe
	s_and_not1_b32 exec_lo, exec_lo, s0
	s_cbranch_execnz .LBB35_96
; %bb.97:
	s_or_b32 exec_lo, exec_lo, s0
	ds_load_b64 v[5:6], v7 offset:8
	s_mov_b32 s0, 0
.LBB35_98:                              ; =>This Inner Loop Header: Depth=1
	s_wait_dscnt 0x0
	v_add_f64_e32 v[16:17], v[5:6], v[14:15]
	ds_cmpstore_rtn_b64 v[16:17], v7, v[16:17], v[5:6] offset:8
	s_wait_dscnt 0x0
	v_cmp_eq_u64_e32 vcc_lo, v[16:17], v[5:6]
	v_dual_mov_b32 v5, v16 :: v_dual_mov_b32 v6, v17
	s_wait_alu 0xfffe
	s_or_b32 s0, vcc_lo, s0
	s_wait_alu 0xfffe
	s_and_not1_b32 exec_lo, exec_lo, s0
	s_cbranch_execnz .LBB35_98
; %bb.99:
	s_or_b32 exec_lo, exec_lo, s0
.LBB35_100:
	s_delay_alu instid0(SALU_CYCLE_1)
	s_or_b32 exec_lo, exec_lo, s11
.LBB35_101:
	s_wait_alu 0xfffe
	s_and_not1_saveexec_b32 s0, s10
	s_cbranch_execz .LBB35_103
; %bb.102:
	s_wait_dscnt 0x0
	ds_load_b128 v[1:4], v22
.LBB35_103:
	s_wait_alu 0xfffe
	s_or_b32 exec_lo, exec_lo, s0
	v_ashrrev_i32_e32 v13, 31, v12
	v_cndmask_b32_e64 v21, 0, 1, s16
	s_delay_alu instid0(VALU_DEP_2) | instskip(NEXT) | instid1(VALU_DEP_1)
	v_lshlrev_b64_e32 v[5:6], 4, v[12:13]
	v_add_co_u32 v5, vcc_lo, s14, v5
	s_wait_alu 0xfffd
	s_delay_alu instid0(VALU_DEP_2)
	v_add_co_ci_u32_e64 v6, null, s15, v6, vcc_lo
	s_and_not1_b32 vcc_lo, exec_lo, s16
	global_load_b128 v[5:8], v[5:6], off
	s_wait_loadcnt_dscnt 0x0
	v_mul_f64_e64 v[12:13], v[7:8], -v[3:4]
	v_mul_f64_e32 v[7:8], v[7:8], v[1:2]
	s_delay_alu instid0(VALU_DEP_2) | instskip(NEXT) | instid1(VALU_DEP_2)
	v_fma_f64 v[12:13], v[1:2], v[5:6], v[12:13]
	v_fma_f64 v[14:15], v[3:4], v[5:6], v[7:8]
	v_dual_mov_b32 v3, s22 :: v_dual_add_nc_u32 v6, 0x100, v9
	v_mov_b32_e32 v1, s13
	ds_store_b128 v22, v[12:15]
	s_wait_alu 0xfffe
	s_cbranch_vccnz .LBB35_107
; %bb.104:
	v_mov_b32_e32 v3, s22
	v_mov_b32_e32 v1, s13
	s_mov_b32 s10, 0
.LBB35_105:                             ; =>This Inner Loop Header: Depth=1
	s_delay_alu instid0(VALU_DEP_1) | instskip(NEXT) | instid1(VALU_DEP_1)
	v_add_nc_u32_e32 v2, v1, v3
	v_lshrrev_b32_e32 v4, 31, v2
	s_delay_alu instid0(VALU_DEP_1) | instskip(NEXT) | instid1(VALU_DEP_1)
	v_add_nc_u32_e32 v2, v2, v4
	v_ashrrev_i32_e32 v4, 1, v2
	s_delay_alu instid0(VALU_DEP_1) | instskip(NEXT) | instid1(VALU_DEP_1)
	v_ashrrev_i32_e32 v5, 31, v4
	v_lshlrev_b64_e32 v[7:8], 2, v[4:5]
	s_delay_alu instid0(VALU_DEP_1) | instskip(SKIP_1) | instid1(VALU_DEP_2)
	v_add_co_u32 v7, vcc_lo, s8, v7
	s_wait_alu 0xfffd
	v_add_co_ci_u32_e64 v8, null, s9, v8, vcc_lo
	global_load_b32 v2, v[7:8], off
	s_wait_loadcnt 0x0
	v_subrev_nc_u32_e32 v2, s24, v2
	s_delay_alu instid0(VALU_DEP_1) | instskip(SKIP_2) | instid1(VALU_DEP_1)
	v_cmp_lt_i32_e32 vcc_lo, v6, v2
	s_wait_alu 0xfffd
	v_cndmask_b32_e32 v1, v1, v4, vcc_lo
	v_dual_cndmask_b32 v3, v4, v3 :: v_dual_add_nc_u32 v2, -1, v1
	s_delay_alu instid0(VALU_DEP_1) | instskip(NEXT) | instid1(VALU_DEP_2)
	v_cmp_ge_i32_e32 vcc_lo, v3, v1
	v_cmp_eq_u32_e64 s0, v3, v2
	s_or_b32 s0, vcc_lo, s0
	s_wait_alu 0xfffe
	s_and_b32 s0, exec_lo, s0
	s_wait_alu 0xfffe
	s_or_b32 s10, s0, s10
	s_wait_alu 0xfffe
	s_and_not1_b32 exec_lo, exec_lo, s10
	s_cbranch_execnz .LBB35_105
; %bb.106:
	s_or_b32 exec_lo, exec_lo, s10
.LBB35_107:
	v_ashrrev_i32_e32 v2, 31, v1
	s_mov_b32 s0, exec_lo
	s_delay_alu instid0(VALU_DEP_1) | instskip(NEXT) | instid1(VALU_DEP_1)
	v_lshlrev_b64_e32 v[4:5], 2, v[1:2]
	v_add_co_u32 v4, vcc_lo, s8, v4
	s_wait_alu 0xfffd
	s_delay_alu instid0(VALU_DEP_2)
	v_add_co_ci_u32_e64 v5, null, s9, v5, vcc_lo
	global_load_b32 v2, v[4:5], off
	global_load_b32 v4, v[10:11], off offset:1024
	s_wait_loadcnt 0x1
	v_subrev_nc_u32_e32 v2, s24, v2
	s_wait_loadcnt 0x0
	v_subrev_nc_u32_e32 v12, s24, v4
	s_delay_alu instid0(VALU_DEP_2) | instskip(SKIP_2) | instid1(VALU_DEP_1)
	v_cmp_lt_i32_e32 vcc_lo, v6, v2
	s_wait_alu 0xfffd
	v_cndmask_b32_e32 v5, v1, v3, vcc_lo
                                        ; implicit-def: $vgpr1_vgpr2
	v_cmpx_ne_u32_e64 v12, v5
	s_wait_alu 0xfffe
	s_xor_b32 s10, exec_lo, s0
	s_cbranch_execz .LBB35_122
; %bb.108:
	s_load_b32 s0, s[2:3], 0x0
	ds_load_b128 v[1:4], v22 offset:4096
	s_mov_b32 s11, exec_lo
	s_wait_kmcnt 0x0
	s_sub_co_i32 s0, s0, s24
	s_wait_alu 0xfffe
	v_cmpx_gt_i32_e64 s0, v6
	s_cbranch_execz .LBB35_121
; %bb.109:
	v_ashrrev_i32_e32 v6, 31, v5
	v_cmp_le_i32_e64 s0, s23, v12
	s_delay_alu instid0(VALU_DEP_2) | instskip(NEXT) | instid1(VALU_DEP_1)
	v_lshlrev_b64_e32 v[5:6], 4, v[5:6]
	v_add_co_u32 v5, vcc_lo, s14, v5
	s_wait_alu 0xfffd
	s_delay_alu instid0(VALU_DEP_2)
	v_add_co_ci_u32_e64 v6, null, s15, v6, vcc_lo
	v_cmp_gt_i32_e32 vcc_lo, s7, v12
	global_load_b128 v[5:8], v[5:6], off
	s_or_b32 s0, vcc_lo, s0
	s_wait_loadcnt_dscnt 0x0
	v_mul_f64_e64 v[13:14], v[7:8], -v[3:4]
	v_mul_f64_e32 v[7:8], v[7:8], v[1:2]
	s_delay_alu instid0(VALU_DEP_2) | instskip(NEXT) | instid1(VALU_DEP_2)
	v_fma_f64 v[16:17], v[1:2], v[5:6], v[13:14]
	v_fma_f64 v[14:15], v[3:4], v[5:6], v[7:8]
	s_wait_alu 0xfffe
	s_and_saveexec_b32 s16, s0
	s_wait_alu 0xfffe
	s_xor_b32 s0, exec_lo, s16
	s_cbranch_execz .LBB35_115
; %bb.110:
	v_ashrrev_i32_e32 v13, 31, v12
	s_mov_b32 s16, 0
	s_delay_alu instid0(VALU_DEP_1) | instskip(NEXT) | instid1(VALU_DEP_1)
	v_lshlrev_b64_e32 v[5:6], 4, v[12:13]
	v_add_co_u32 v18, vcc_lo, s20, v5
	s_wait_alu 0xfffd
	s_delay_alu instid0(VALU_DEP_2)
	v_add_co_ci_u32_e64 v19, null, s21, v6, vcc_lo
	global_load_b64 v[7:8], v[18:19], off
.LBB35_111:                             ; =>This Inner Loop Header: Depth=1
	s_wait_loadcnt 0x0
	v_add_f64_e32 v[5:6], v[7:8], v[16:17]
	global_atomic_cmpswap_b64 v[5:6], v[18:19], v[5:8], off th:TH_ATOMIC_RETURN scope:SCOPE_DEV
	s_wait_loadcnt 0x0
	v_cmp_eq_u64_e32 vcc_lo, v[5:6], v[7:8]
	v_dual_mov_b32 v8, v6 :: v_dual_mov_b32 v7, v5
	s_wait_alu 0xfffe
	s_or_b32 s16, vcc_lo, s16
	s_wait_alu 0xfffe
	s_and_not1_b32 exec_lo, exec_lo, s16
	s_cbranch_execnz .LBB35_111
; %bb.112:
	s_or_b32 exec_lo, exec_lo, s16
	global_load_b64 v[7:8], v[18:19], off offset:8
	s_mov_b32 s16, 0
.LBB35_113:                             ; =>This Inner Loop Header: Depth=1
	s_wait_loadcnt 0x0
	v_add_f64_e32 v[5:6], v[7:8], v[14:15]
	global_atomic_cmpswap_b64 v[5:6], v[18:19], v[5:8], off offset:8 th:TH_ATOMIC_RETURN scope:SCOPE_DEV
	s_wait_loadcnt 0x0
	v_cmp_eq_u64_e32 vcc_lo, v[5:6], v[7:8]
	v_dual_mov_b32 v8, v6 :: v_dual_mov_b32 v7, v5
	s_wait_alu 0xfffe
	s_or_b32 s16, vcc_lo, s16
	s_wait_alu 0xfffe
	s_and_not1_b32 exec_lo, exec_lo, s16
	s_cbranch_execnz .LBB35_113
; %bb.114:
	s_or_b32 exec_lo, exec_lo, s16
                                        ; implicit-def: $vgpr14_vgpr15
                                        ; implicit-def: $vgpr16_vgpr17
.LBB35_115:
	s_wait_alu 0xfffe
	s_and_not1_saveexec_b32 s0, s0
	s_cbranch_execz .LBB35_121
; %bb.116:
	v_subrev_nc_u32_e32 v5, s7, v12
	s_mov_b32 s0, 0
	s_delay_alu instid0(VALU_DEP_1)
	v_lshl_add_u32 v7, v5, 4, 0x4000
	ds_load_b64 v[5:6], v7
.LBB35_117:                             ; =>This Inner Loop Header: Depth=1
	s_wait_dscnt 0x0
	v_add_f64_e32 v[18:19], v[5:6], v[16:17]
	ds_cmpstore_rtn_b64 v[18:19], v7, v[18:19], v[5:6]
	s_wait_dscnt 0x0
	v_cmp_eq_u64_e32 vcc_lo, v[18:19], v[5:6]
	v_dual_mov_b32 v5, v18 :: v_dual_mov_b32 v6, v19
	s_wait_alu 0xfffe
	s_or_b32 s0, vcc_lo, s0
	s_wait_alu 0xfffe
	s_and_not1_b32 exec_lo, exec_lo, s0
	s_cbranch_execnz .LBB35_117
; %bb.118:
	s_or_b32 exec_lo, exec_lo, s0
	ds_load_b64 v[5:6], v7 offset:8
	s_mov_b32 s0, 0
.LBB35_119:                             ; =>This Inner Loop Header: Depth=1
	s_wait_dscnt 0x0
	v_add_f64_e32 v[16:17], v[5:6], v[14:15]
	ds_cmpstore_rtn_b64 v[16:17], v7, v[16:17], v[5:6] offset:8
	s_wait_dscnt 0x0
	v_cmp_eq_u64_e32 vcc_lo, v[16:17], v[5:6]
	v_dual_mov_b32 v5, v16 :: v_dual_mov_b32 v6, v17
	s_wait_alu 0xfffe
	s_or_b32 s0, vcc_lo, s0
	s_wait_alu 0xfffe
	s_and_not1_b32 exec_lo, exec_lo, s0
	s_cbranch_execnz .LBB35_119
; %bb.120:
	s_or_b32 exec_lo, exec_lo, s0
.LBB35_121:
	s_delay_alu instid0(SALU_CYCLE_1)
	s_or_b32 exec_lo, exec_lo, s11
.LBB35_122:
	s_wait_alu 0xfffe
	s_and_not1_saveexec_b32 s0, s10
	s_cbranch_execz .LBB35_124
; %bb.123:
	s_wait_dscnt 0x0
	ds_load_b128 v[1:4], v22 offset:4096
.LBB35_124:
	s_wait_alu 0xfffe
	s_or_b32 exec_lo, exec_lo, s0
	v_ashrrev_i32_e32 v13, 31, v12
	s_delay_alu instid0(VALU_DEP_1) | instskip(NEXT) | instid1(VALU_DEP_1)
	v_lshlrev_b64_e32 v[5:6], 4, v[12:13]
	v_add_co_u32 v5, vcc_lo, s14, v5
	s_wait_alu 0xfffd
	s_delay_alu instid0(VALU_DEP_2)
	v_add_co_ci_u32_e64 v6, null, s15, v6, vcc_lo
	v_cmp_ne_u32_e32 vcc_lo, 1, v21
	global_load_b128 v[5:8], v[5:6], off
	s_and_b32 vcc_lo, exec_lo, vcc_lo
	s_wait_loadcnt_dscnt 0x0
	v_mul_f64_e64 v[12:13], v[7:8], -v[3:4]
	v_mul_f64_e32 v[7:8], v[7:8], v[1:2]
	s_delay_alu instid0(VALU_DEP_2) | instskip(NEXT) | instid1(VALU_DEP_2)
	v_fma_f64 v[12:13], v[1:2], v[5:6], v[12:13]
	v_fma_f64 v[14:15], v[3:4], v[5:6], v[7:8]
	v_dual_mov_b32 v3, s22 :: v_dual_add_nc_u32 v6, 0x200, v9
	v_mov_b32_e32 v1, s13
	ds_store_b128 v22, v[12:15] offset:4096
	s_wait_alu 0xfffe
	s_cbranch_vccnz .LBB35_128
; %bb.125:
	v_mov_b32_e32 v3, s22
	v_mov_b32_e32 v1, s13
	s_mov_b32 s10, 0
.LBB35_126:                             ; =>This Inner Loop Header: Depth=1
	s_delay_alu instid0(VALU_DEP_1) | instskip(NEXT) | instid1(VALU_DEP_1)
	v_add_nc_u32_e32 v2, v1, v3
	v_lshrrev_b32_e32 v4, 31, v2
	s_delay_alu instid0(VALU_DEP_1) | instskip(NEXT) | instid1(VALU_DEP_1)
	v_add_nc_u32_e32 v2, v2, v4
	v_ashrrev_i32_e32 v4, 1, v2
	s_delay_alu instid0(VALU_DEP_1) | instskip(NEXT) | instid1(VALU_DEP_1)
	v_ashrrev_i32_e32 v5, 31, v4
	v_lshlrev_b64_e32 v[7:8], 2, v[4:5]
	s_delay_alu instid0(VALU_DEP_1) | instskip(SKIP_1) | instid1(VALU_DEP_2)
	v_add_co_u32 v7, vcc_lo, s8, v7
	s_wait_alu 0xfffd
	v_add_co_ci_u32_e64 v8, null, s9, v8, vcc_lo
	global_load_b32 v2, v[7:8], off
	s_wait_loadcnt 0x0
	v_subrev_nc_u32_e32 v2, s24, v2
	s_delay_alu instid0(VALU_DEP_1) | instskip(SKIP_2) | instid1(VALU_DEP_1)
	v_cmp_lt_i32_e32 vcc_lo, v6, v2
	s_wait_alu 0xfffd
	v_cndmask_b32_e32 v1, v1, v4, vcc_lo
	v_dual_cndmask_b32 v3, v4, v3 :: v_dual_add_nc_u32 v2, -1, v1
	s_delay_alu instid0(VALU_DEP_1) | instskip(NEXT) | instid1(VALU_DEP_2)
	v_cmp_ge_i32_e32 vcc_lo, v3, v1
	v_cmp_eq_u32_e64 s0, v3, v2
	s_or_b32 s0, vcc_lo, s0
	s_wait_alu 0xfffe
	s_and_b32 s0, exec_lo, s0
	s_wait_alu 0xfffe
	s_or_b32 s10, s0, s10
	s_wait_alu 0xfffe
	s_and_not1_b32 exec_lo, exec_lo, s10
	s_cbranch_execnz .LBB35_126
; %bb.127:
	s_or_b32 exec_lo, exec_lo, s10
.LBB35_128:
	v_ashrrev_i32_e32 v2, 31, v1
	s_mov_b32 s0, exec_lo
	s_delay_alu instid0(VALU_DEP_1) | instskip(NEXT) | instid1(VALU_DEP_1)
	v_lshlrev_b64_e32 v[4:5], 2, v[1:2]
	v_add_co_u32 v4, vcc_lo, s8, v4
	s_wait_alu 0xfffd
	s_delay_alu instid0(VALU_DEP_2)
	v_add_co_ci_u32_e64 v5, null, s9, v5, vcc_lo
	global_load_b32 v2, v[4:5], off
	global_load_b32 v4, v[10:11], off offset:2048
	s_wait_loadcnt 0x1
	v_subrev_nc_u32_e32 v2, s24, v2
	s_wait_loadcnt 0x0
	v_subrev_nc_u32_e32 v12, s24, v4
	s_delay_alu instid0(VALU_DEP_2) | instskip(SKIP_2) | instid1(VALU_DEP_1)
	v_cmp_lt_i32_e32 vcc_lo, v6, v2
	s_wait_alu 0xfffd
	v_cndmask_b32_e32 v5, v1, v3, vcc_lo
                                        ; implicit-def: $vgpr1_vgpr2
	v_cmpx_ne_u32_e64 v12, v5
	s_wait_alu 0xfffe
	s_xor_b32 s10, exec_lo, s0
	s_cbranch_execz .LBB35_143
; %bb.129:
	s_load_b32 s0, s[2:3], 0x0
	ds_load_b128 v[1:4], v22 offset:8192
	s_mov_b32 s11, exec_lo
	s_wait_kmcnt 0x0
	s_sub_co_i32 s0, s0, s24
	s_wait_alu 0xfffe
	v_cmpx_gt_i32_e64 s0, v6
	s_cbranch_execz .LBB35_142
; %bb.130:
	v_ashrrev_i32_e32 v6, 31, v5
	v_cmp_le_i32_e64 s0, s23, v12
	s_delay_alu instid0(VALU_DEP_2) | instskip(NEXT) | instid1(VALU_DEP_1)
	v_lshlrev_b64_e32 v[5:6], 4, v[5:6]
	v_add_co_u32 v5, vcc_lo, s14, v5
	s_wait_alu 0xfffd
	s_delay_alu instid0(VALU_DEP_2)
	v_add_co_ci_u32_e64 v6, null, s15, v6, vcc_lo
	v_cmp_gt_i32_e32 vcc_lo, s7, v12
	global_load_b128 v[5:8], v[5:6], off
	s_or_b32 s0, vcc_lo, s0
	s_wait_loadcnt_dscnt 0x0
	v_mul_f64_e64 v[13:14], v[7:8], -v[3:4]
	v_mul_f64_e32 v[7:8], v[7:8], v[1:2]
	s_delay_alu instid0(VALU_DEP_2) | instskip(NEXT) | instid1(VALU_DEP_2)
	v_fma_f64 v[16:17], v[1:2], v[5:6], v[13:14]
	v_fma_f64 v[14:15], v[3:4], v[5:6], v[7:8]
	s_wait_alu 0xfffe
	s_and_saveexec_b32 s16, s0
	s_wait_alu 0xfffe
	s_xor_b32 s0, exec_lo, s16
	s_cbranch_execz .LBB35_136
; %bb.131:
	v_ashrrev_i32_e32 v13, 31, v12
	s_mov_b32 s16, 0
	s_delay_alu instid0(VALU_DEP_1) | instskip(NEXT) | instid1(VALU_DEP_1)
	v_lshlrev_b64_e32 v[5:6], 4, v[12:13]
	v_add_co_u32 v18, vcc_lo, s20, v5
	s_wait_alu 0xfffd
	s_delay_alu instid0(VALU_DEP_2)
	v_add_co_ci_u32_e64 v19, null, s21, v6, vcc_lo
	global_load_b64 v[7:8], v[18:19], off
.LBB35_132:                             ; =>This Inner Loop Header: Depth=1
	s_wait_loadcnt 0x0
	v_add_f64_e32 v[5:6], v[7:8], v[16:17]
	global_atomic_cmpswap_b64 v[5:6], v[18:19], v[5:8], off th:TH_ATOMIC_RETURN scope:SCOPE_DEV
	s_wait_loadcnt 0x0
	v_cmp_eq_u64_e32 vcc_lo, v[5:6], v[7:8]
	v_dual_mov_b32 v8, v6 :: v_dual_mov_b32 v7, v5
	s_wait_alu 0xfffe
	s_or_b32 s16, vcc_lo, s16
	s_wait_alu 0xfffe
	s_and_not1_b32 exec_lo, exec_lo, s16
	s_cbranch_execnz .LBB35_132
; %bb.133:
	s_or_b32 exec_lo, exec_lo, s16
	global_load_b64 v[7:8], v[18:19], off offset:8
	s_mov_b32 s16, 0
.LBB35_134:                             ; =>This Inner Loop Header: Depth=1
	s_wait_loadcnt 0x0
	v_add_f64_e32 v[5:6], v[7:8], v[14:15]
	global_atomic_cmpswap_b64 v[5:6], v[18:19], v[5:8], off offset:8 th:TH_ATOMIC_RETURN scope:SCOPE_DEV
	s_wait_loadcnt 0x0
	v_cmp_eq_u64_e32 vcc_lo, v[5:6], v[7:8]
	v_dual_mov_b32 v8, v6 :: v_dual_mov_b32 v7, v5
	s_wait_alu 0xfffe
	s_or_b32 s16, vcc_lo, s16
	s_wait_alu 0xfffe
	s_and_not1_b32 exec_lo, exec_lo, s16
	s_cbranch_execnz .LBB35_134
; %bb.135:
	s_or_b32 exec_lo, exec_lo, s16
                                        ; implicit-def: $vgpr14_vgpr15
                                        ; implicit-def: $vgpr16_vgpr17
.LBB35_136:
	s_wait_alu 0xfffe
	s_and_not1_saveexec_b32 s0, s0
	s_cbranch_execz .LBB35_142
; %bb.137:
	v_subrev_nc_u32_e32 v5, s7, v12
	s_mov_b32 s0, 0
	s_delay_alu instid0(VALU_DEP_1)
	v_lshl_add_u32 v7, v5, 4, 0x4000
	ds_load_b64 v[5:6], v7
.LBB35_138:                             ; =>This Inner Loop Header: Depth=1
	s_wait_dscnt 0x0
	v_add_f64_e32 v[8:9], v[5:6], v[16:17]
	ds_cmpstore_rtn_b64 v[8:9], v7, v[8:9], v[5:6]
	s_wait_dscnt 0x0
	v_cmp_eq_u64_e32 vcc_lo, v[8:9], v[5:6]
	v_dual_mov_b32 v5, v8 :: v_dual_mov_b32 v6, v9
	s_wait_alu 0xfffe
	s_or_b32 s0, vcc_lo, s0
	s_wait_alu 0xfffe
	s_and_not1_b32 exec_lo, exec_lo, s0
	s_cbranch_execnz .LBB35_138
; %bb.139:
	s_or_b32 exec_lo, exec_lo, s0
	ds_load_b64 v[5:6], v7 offset:8
	s_mov_b32 s0, 0
.LBB35_140:                             ; =>This Inner Loop Header: Depth=1
	s_wait_dscnt 0x0
	v_add_f64_e32 v[8:9], v[5:6], v[14:15]
	ds_cmpstore_rtn_b64 v[8:9], v7, v[8:9], v[5:6] offset:8
	s_wait_dscnt 0x0
	v_cmp_eq_u64_e32 vcc_lo, v[8:9], v[5:6]
	v_dual_mov_b32 v5, v8 :: v_dual_mov_b32 v6, v9
	s_wait_alu 0xfffe
	s_or_b32 s0, vcc_lo, s0
	s_wait_alu 0xfffe
	s_and_not1_b32 exec_lo, exec_lo, s0
	s_cbranch_execnz .LBB35_140
; %bb.141:
	s_or_b32 exec_lo, exec_lo, s0
.LBB35_142:
	s_delay_alu instid0(SALU_CYCLE_1)
	s_or_b32 exec_lo, exec_lo, s11
.LBB35_143:
	s_wait_alu 0xfffe
	s_and_not1_saveexec_b32 s0, s10
	s_cbranch_execz .LBB35_145
; %bb.144:
	s_wait_dscnt 0x0
	ds_load_b128 v[1:4], v22 offset:8192
.LBB35_145:
	s_wait_alu 0xfffe
	s_or_b32 exec_lo, exec_lo, s0
	v_ashrrev_i32_e32 v13, 31, v12
	s_delay_alu instid0(VALU_DEP_1) | instskip(NEXT) | instid1(VALU_DEP_1)
	v_lshlrev_b64_e32 v[5:6], 4, v[12:13]
	v_add_co_u32 v5, vcc_lo, s14, v5
	s_wait_alu 0xfffd
	s_delay_alu instid0(VALU_DEP_2)
	v_add_co_ci_u32_e64 v6, null, s15, v6, vcc_lo
	v_cmp_ne_u32_e32 vcc_lo, 1, v21
	global_load_b128 v[5:8], v[5:6], off
	s_and_b32 vcc_lo, exec_lo, vcc_lo
	s_wait_loadcnt_dscnt 0x0
	v_mul_f64_e64 v[12:13], v[7:8], -v[3:4]
	v_mul_f64_e32 v[7:8], v[7:8], v[1:2]
	s_delay_alu instid0(VALU_DEP_2) | instskip(NEXT) | instid1(VALU_DEP_2)
	v_fma_f64 v[12:13], v[1:2], v[5:6], v[12:13]
	v_fma_f64 v[14:15], v[3:4], v[5:6], v[7:8]
	v_mov_b32_e32 v3, s22
	v_mov_b32_e32 v1, s13
	ds_store_b128 v22, v[12:15] offset:8192
	s_wait_alu 0xfffe
	s_cbranch_vccnz .LBB35_149
; %bb.146:
	v_mov_b32_e32 v3, s22
	v_mov_b32_e32 v1, s13
	s_mov_b32 s10, 0
.LBB35_147:                             ; =>This Inner Loop Header: Depth=1
	s_delay_alu instid0(VALU_DEP_1) | instskip(NEXT) | instid1(VALU_DEP_1)
	v_add_nc_u32_e32 v2, v1, v3
	v_lshrrev_b32_e32 v4, 31, v2
	s_delay_alu instid0(VALU_DEP_1) | instskip(NEXT) | instid1(VALU_DEP_1)
	v_add_nc_u32_e32 v2, v2, v4
	v_ashrrev_i32_e32 v4, 1, v2
	s_delay_alu instid0(VALU_DEP_1) | instskip(NEXT) | instid1(VALU_DEP_1)
	v_ashrrev_i32_e32 v5, 31, v4
	v_lshlrev_b64_e32 v[5:6], 2, v[4:5]
	s_delay_alu instid0(VALU_DEP_1) | instskip(SKIP_1) | instid1(VALU_DEP_2)
	v_add_co_u32 v5, vcc_lo, s8, v5
	s_wait_alu 0xfffd
	v_add_co_ci_u32_e64 v6, null, s9, v6, vcc_lo
	global_load_b32 v2, v[5:6], off
	s_wait_loadcnt 0x0
	v_subrev_nc_u32_e32 v2, s24, v2
	s_delay_alu instid0(VALU_DEP_1) | instskip(SKIP_2) | instid1(VALU_DEP_1)
	v_cmp_lt_i32_e32 vcc_lo, v20, v2
	s_wait_alu 0xfffd
	v_cndmask_b32_e32 v1, v1, v4, vcc_lo
	v_dual_cndmask_b32 v3, v4, v3 :: v_dual_add_nc_u32 v2, -1, v1
	s_delay_alu instid0(VALU_DEP_1) | instskip(NEXT) | instid1(VALU_DEP_2)
	v_cmp_ge_i32_e32 vcc_lo, v3, v1
	v_cmp_eq_u32_e64 s0, v3, v2
	s_or_b32 s0, vcc_lo, s0
	s_wait_alu 0xfffe
	s_and_b32 s0, exec_lo, s0
	s_wait_alu 0xfffe
	s_or_b32 s10, s0, s10
	s_wait_alu 0xfffe
	s_and_not1_b32 exec_lo, exec_lo, s10
	s_cbranch_execnz .LBB35_147
; %bb.148:
	s_or_b32 exec_lo, exec_lo, s10
.LBB35_149:
	v_ashrrev_i32_e32 v2, 31, v1
	s_mov_b32 s0, exec_lo
	s_delay_alu instid0(VALU_DEP_1) | instskip(NEXT) | instid1(VALU_DEP_1)
	v_lshlrev_b64_e32 v[4:5], 2, v[1:2]
	v_add_co_u32 v4, vcc_lo, s8, v4
	s_wait_alu 0xfffd
	s_delay_alu instid0(VALU_DEP_2)
	v_add_co_ci_u32_e64 v5, null, s9, v5, vcc_lo
	global_load_b32 v2, v[4:5], off
	global_load_b32 v4, v[10:11], off offset:3072
	s_wait_loadcnt 0x1
	v_subrev_nc_u32_e32 v2, s24, v2
	s_wait_loadcnt 0x0
	v_subrev_nc_u32_e32 v9, s24, v4
	s_delay_alu instid0(VALU_DEP_2) | instskip(SKIP_2) | instid1(VALU_DEP_1)
	v_cmp_lt_i32_e32 vcc_lo, v20, v2
	s_wait_alu 0xfffd
	v_cndmask_b32_e32 v5, v1, v3, vcc_lo
                                        ; implicit-def: $vgpr1_vgpr2
	v_cmpx_ne_u32_e64 v9, v5
	s_wait_alu 0xfffe
	s_xor_b32 s10, exec_lo, s0
	s_cbranch_execz .LBB35_164
; %bb.150:
	s_load_b32 s0, s[2:3], 0x0
	ds_load_b128 v[1:4], v22 offset:12288
	s_mov_b32 s2, exec_lo
	s_wait_kmcnt 0x0
	s_sub_co_i32 s0, s0, s24
	s_wait_alu 0xfffe
	v_cmpx_gt_i32_e64 s0, v20
	s_cbranch_execz .LBB35_163
; %bb.151:
	v_ashrrev_i32_e32 v6, 31, v5
	v_cmp_le_i32_e64 s0, s23, v9
	s_delay_alu instid0(VALU_DEP_2) | instskip(NEXT) | instid1(VALU_DEP_1)
	v_lshlrev_b64_e32 v[5:6], 4, v[5:6]
	v_add_co_u32 v5, vcc_lo, s14, v5
	s_wait_alu 0xfffd
	s_delay_alu instid0(VALU_DEP_2)
	v_add_co_ci_u32_e64 v6, null, s15, v6, vcc_lo
	v_cmp_gt_i32_e32 vcc_lo, s7, v9
	global_load_b128 v[5:8], v[5:6], off
	s_or_b32 s0, vcc_lo, s0
	s_wait_loadcnt_dscnt 0x0
	v_mul_f64_e64 v[10:11], v[7:8], -v[3:4]
	v_mul_f64_e32 v[7:8], v[7:8], v[1:2]
	s_delay_alu instid0(VALU_DEP_2) | instskip(NEXT) | instid1(VALU_DEP_2)
	v_fma_f64 v[13:14], v[1:2], v[5:6], v[10:11]
	v_fma_f64 v[11:12], v[3:4], v[5:6], v[7:8]
	s_wait_alu 0xfffe
	s_and_saveexec_b32 s3, s0
	s_wait_alu 0xfffe
	s_xor_b32 s0, exec_lo, s3
	s_cbranch_execz .LBB35_157
; %bb.152:
	v_ashrrev_i32_e32 v10, 31, v9
	s_mov_b32 s3, 0
	s_delay_alu instid0(VALU_DEP_1) | instskip(NEXT) | instid1(VALU_DEP_1)
	v_lshlrev_b64_e32 v[5:6], 4, v[9:10]
	v_add_co_u32 v15, vcc_lo, s20, v5
	s_wait_alu 0xfffd
	s_delay_alu instid0(VALU_DEP_2)
	v_add_co_ci_u32_e64 v16, null, s21, v6, vcc_lo
	global_load_b64 v[7:8], v[15:16], off
.LBB35_153:                             ; =>This Inner Loop Header: Depth=1
	s_wait_loadcnt 0x0
	v_add_f64_e32 v[5:6], v[7:8], v[13:14]
	global_atomic_cmpswap_b64 v[5:6], v[15:16], v[5:8], off th:TH_ATOMIC_RETURN scope:SCOPE_DEV
	s_wait_loadcnt 0x0
	v_cmp_eq_u64_e32 vcc_lo, v[5:6], v[7:8]
	v_dual_mov_b32 v8, v6 :: v_dual_mov_b32 v7, v5
	s_wait_alu 0xfffe
	s_or_b32 s3, vcc_lo, s3
	s_wait_alu 0xfffe
	s_and_not1_b32 exec_lo, exec_lo, s3
	s_cbranch_execnz .LBB35_153
; %bb.154:
	s_or_b32 exec_lo, exec_lo, s3
	global_load_b64 v[7:8], v[15:16], off offset:8
	s_mov_b32 s3, 0
.LBB35_155:                             ; =>This Inner Loop Header: Depth=1
	s_wait_loadcnt 0x0
	v_add_f64_e32 v[5:6], v[7:8], v[11:12]
	global_atomic_cmpswap_b64 v[5:6], v[15:16], v[5:8], off offset:8 th:TH_ATOMIC_RETURN scope:SCOPE_DEV
	s_wait_loadcnt 0x0
	v_cmp_eq_u64_e32 vcc_lo, v[5:6], v[7:8]
	v_dual_mov_b32 v8, v6 :: v_dual_mov_b32 v7, v5
	s_wait_alu 0xfffe
	s_or_b32 s3, vcc_lo, s3
	s_wait_alu 0xfffe
	s_and_not1_b32 exec_lo, exec_lo, s3
	s_cbranch_execnz .LBB35_155
; %bb.156:
	s_or_b32 exec_lo, exec_lo, s3
                                        ; implicit-def: $vgpr11_vgpr12
                                        ; implicit-def: $vgpr13_vgpr14
.LBB35_157:
	s_wait_alu 0xfffe
	s_and_not1_saveexec_b32 s0, s0
	s_cbranch_execz .LBB35_163
; %bb.158:
	v_subrev_nc_u32_e32 v5, s7, v9
	s_mov_b32 s0, 0
	s_delay_alu instid0(VALU_DEP_1)
	v_lshl_add_u32 v7, v5, 4, 0x4000
	ds_load_b64 v[5:6], v7
.LBB35_159:                             ; =>This Inner Loop Header: Depth=1
	s_wait_dscnt 0x0
	v_add_f64_e32 v[15:16], v[5:6], v[13:14]
	ds_cmpstore_rtn_b64 v[15:16], v7, v[15:16], v[5:6]
	s_wait_dscnt 0x0
	v_cmp_eq_u64_e32 vcc_lo, v[15:16], v[5:6]
	v_dual_mov_b32 v5, v15 :: v_dual_mov_b32 v6, v16
	s_wait_alu 0xfffe
	s_or_b32 s0, vcc_lo, s0
	s_wait_alu 0xfffe
	s_and_not1_b32 exec_lo, exec_lo, s0
	s_cbranch_execnz .LBB35_159
; %bb.160:
	s_or_b32 exec_lo, exec_lo, s0
	ds_load_b64 v[5:6], v7 offset:8
	s_mov_b32 s0, 0
.LBB35_161:                             ; =>This Inner Loop Header: Depth=1
	s_wait_dscnt 0x0
	v_add_f64_e32 v[13:14], v[5:6], v[11:12]
	ds_cmpstore_rtn_b64 v[13:14], v7, v[13:14], v[5:6] offset:8
	s_wait_dscnt 0x0
	v_cmp_eq_u64_e32 vcc_lo, v[13:14], v[5:6]
	v_dual_mov_b32 v5, v13 :: v_dual_mov_b32 v6, v14
	s_wait_alu 0xfffe
	s_or_b32 s0, vcc_lo, s0
	s_wait_alu 0xfffe
	s_and_not1_b32 exec_lo, exec_lo, s0
	s_cbranch_execnz .LBB35_161
; %bb.162:
	s_or_b32 exec_lo, exec_lo, s0
.LBB35_163:
	s_delay_alu instid0(SALU_CYCLE_1)
	s_or_b32 exec_lo, exec_lo, s2
.LBB35_164:
	s_wait_alu 0xfffe
	s_and_not1_saveexec_b32 s0, s10
	s_cbranch_execz .LBB35_166
; %bb.165:
	s_wait_dscnt 0x0
	ds_load_b128 v[1:4], v22 offset:12288
.LBB35_166:
	s_wait_alu 0xfffe
	s_or_b32 exec_lo, exec_lo, s0
	v_ashrrev_i32_e32 v10, 31, v9
	s_delay_alu instid0(VALU_DEP_1) | instskip(NEXT) | instid1(VALU_DEP_1)
	v_lshlrev_b64_e32 v[5:6], 4, v[9:10]
	v_add_co_u32 v5, vcc_lo, s14, v5
	s_wait_alu 0xfffd
	s_delay_alu instid0(VALU_DEP_2) | instskip(SKIP_4) | instid1(VALU_DEP_2)
	v_add_co_ci_u32_e64 v6, null, s15, v6, vcc_lo
	global_load_b128 v[5:8], v[5:6], off
	s_wait_loadcnt_dscnt 0x0
	v_mul_f64_e64 v[9:10], v[7:8], -v[3:4]
	v_mul_f64_e32 v[7:8], v[7:8], v[1:2]
	v_fma_f64 v[1:2], v[1:2], v[5:6], v[9:10]
	s_delay_alu instid0(VALU_DEP_2)
	v_fma_f64 v[3:4], v[3:4], v[5:6], v[7:8]
	ds_store_b128 v22, v[1:4] offset:12288
.LBB35_167:
	s_wait_alu 0xfffe
	s_or_b32 exec_lo, exec_lo, s12
	s_min_i32 s3, s23, s18
	s_mov_b32 s2, exec_lo
	s_wait_alu 0xfffe
	s_sub_co_i32 s0, s3, s19
	s_wait_loadcnt_dscnt 0x0
	s_barrier_signal -1
	s_barrier_wait -1
	global_inv scope:SCOPE_SE
	s_wait_alu 0xfffe
	v_cmpx_gt_i32_e64 s0, v0
	s_cbranch_execz .LBB35_174
; %bb.168:
	v_mov_b32_e32 v11, v0
	s_mov_b32 s10, 0
.LBB35_169:                             ; =>This Loop Header: Depth=1
                                        ;     Child Loop BB35_170 Depth 2
                                        ;     Child Loop BB35_172 Depth 2
	s_delay_alu instid0(VALU_DEP_1) | instskip(SKIP_1) | instid1(VALU_DEP_1)
	v_add_nc_u32_e32 v1, s7, v11
	s_mov_b32 s11, 0
	v_ashrrev_i32_e32 v2, 31, v1
	s_delay_alu instid0(VALU_DEP_1) | instskip(NEXT) | instid1(VALU_DEP_1)
	v_lshlrev_b64_e32 v[1:2], 4, v[1:2]
	v_add_co_u32 v9, vcc_lo, s20, v1
	s_wait_alu 0xfffd
	s_delay_alu instid0(VALU_DEP_2)
	v_add_co_ci_u32_e64 v10, null, s21, v2, vcc_lo
	v_lshl_add_u32 v1, v11, 4, 0x4000
	global_load_b64 v[7:8], v[9:10], off
	ds_load_2addr_b64 v[1:4], v1 offset1:1
.LBB35_170:                             ;   Parent Loop BB35_169 Depth=1
                                        ; =>  This Inner Loop Header: Depth=2
	s_wait_loadcnt_dscnt 0x0
	v_add_f64_e32 v[5:6], v[7:8], v[1:2]
	global_atomic_cmpswap_b64 v[5:6], v[9:10], v[5:8], off th:TH_ATOMIC_RETURN scope:SCOPE_DEV
	s_wait_loadcnt 0x0
	v_cmp_eq_u64_e32 vcc_lo, v[5:6], v[7:8]
	v_dual_mov_b32 v8, v6 :: v_dual_mov_b32 v7, v5
	s_wait_alu 0xfffe
	s_or_b32 s11, vcc_lo, s11
	s_wait_alu 0xfffe
	s_and_not1_b32 exec_lo, exec_lo, s11
	s_cbranch_execnz .LBB35_170
; %bb.171:                              ;   in Loop: Header=BB35_169 Depth=1
	s_or_b32 exec_lo, exec_lo, s11
	global_load_b64 v[7:8], v[9:10], off offset:8
	s_mov_b32 s11, 0
.LBB35_172:                             ;   Parent Loop BB35_169 Depth=1
                                        ; =>  This Inner Loop Header: Depth=2
	s_wait_loadcnt 0x0
	v_add_f64_e32 v[5:6], v[7:8], v[3:4]
	global_atomic_cmpswap_b64 v[1:2], v[9:10], v[5:8], off offset:8 th:TH_ATOMIC_RETURN scope:SCOPE_DEV
	s_wait_loadcnt 0x0
	v_cmp_eq_u64_e32 vcc_lo, v[1:2], v[7:8]
	v_dual_mov_b32 v8, v2 :: v_dual_mov_b32 v7, v1
	s_wait_alu 0xfffe
	s_or_b32 s11, vcc_lo, s11
	s_wait_alu 0xfffe
	s_and_not1_b32 exec_lo, exec_lo, s11
	s_cbranch_execnz .LBB35_172
; %bb.173:                              ;   in Loop: Header=BB35_169 Depth=1
	s_or_b32 exec_lo, exec_lo, s11
	v_add_nc_u32_e32 v11, 0x100, v11
	s_delay_alu instid0(VALU_DEP_1)
	v_cmp_le_i32_e32 vcc_lo, s0, v11
	s_or_b32 s10, vcc_lo, s10
	s_wait_alu 0xfffe
	s_and_not1_b32 exec_lo, exec_lo, s10
	s_cbranch_execnz .LBB35_169
.LBB35_174:
	s_or_b32 exec_lo, exec_lo, s2
	s_mul_i32 s2, s1, s19
	s_add_co_i32 s7, s1, 1
	s_wait_alu 0xfffe
	s_sub_co_i32 s2, s6, s2
	v_add_nc_u32_e32 v9, s22, v0
	s_wait_alu 0xfffe
	s_sub_co_i32 s10, s2, s19
	s_cmp_ge_u32 s2, s19
	s_wait_loadcnt 0x0
	s_cselect_b32 s1, s7, s1
	s_wait_alu 0xfffe
	s_cselect_b32 s2, s10, s2
	s_add_co_i32 s7, s1, 1
	s_wait_alu 0xfffe
	s_cmp_ge_u32 s2, s19
	s_barrier_signal -1
	s_cselect_b32 s1, s7, s1
	s_barrier_wait -1
	s_wait_alu 0xfffe
	s_add_co_i32 s1, s1, -1
	global_inv scope:SCOPE_SE
	s_wait_alu 0xfffe
	s_ashr_i32 s2, s1, 1
	s_wait_alu 0xfffe
	s_or_b32 s1, s2, s1
	s_wait_alu 0xfffe
	s_ashr_i32 s2, s1, 2
	s_wait_alu 0xfffe
	s_or_b32 s1, s2, s1
	;; [unrolled: 4-line block ×5, first 2 shown]
	s_mov_b32 s2, -1
	s_wait_alu 0xfffe
	s_add_co_i32 s1, s1, 1
	s_wait_alu 0xfffe
	s_ashr_i32 s1, s1, 1
	s_wait_alu 0xfffe
	s_cmp_gt_i32 s1, 1
	s_cbranch_scc1 .LBB35_187
; %bb.175:
	s_mov_b32 s2, exec_lo
	v_cmpx_gt_i32_e64 s23, v9
	s_cbranch_execz .LBB35_186
; %bb.176:
	s_sub_co_i32 s3, s3, s23
	v_mov_b32_e32 v10, v9
	s_lshl_b32 s10, s25, 4
	s_wait_alu 0xfffe
	s_lshl_b32 s3, s3, 4
	s_mov_b32 s7, 0
	s_wait_alu 0xfffe
	s_addk_co_i32 s3, 0x4000
	s_sub_co_i32 s10, 0, s10
.LBB35_177:                             ; =>This Loop Header: Depth=1
                                        ;     Child Loop BB35_179 Depth 2
                                        ;     Child Loop BB35_182 Depth 2
	;; [unrolled: 1-line block ×3, first 2 shown]
	v_ashrrev_i32_e32 v11, 31, v10
	v_dual_mov_b32 v12, 0 :: v_dual_mov_b32 v5, 0
	v_dual_mov_b32 v13, 0 :: v_dual_mov_b32 v6, 0
	s_delay_alu instid0(VALU_DEP_3) | instskip(SKIP_1) | instid1(VALU_DEP_1)
	v_lshlrev_b64_e32 v[1:2], 2, v[10:11]
	s_mov_b32 s11, exec_lo
	v_add_co_u32 v1, vcc_lo, s8, v1
	s_wait_alu 0xfffd
	s_delay_alu instid0(VALU_DEP_2)
	v_add_co_ci_u32_e64 v2, null, s9, v2, vcc_lo
	global_load_b64 v[1:2], v[1:2], off
	s_wait_loadcnt 0x0
	v_cmpx_lt_i32_e64 v1, v2
	s_cbranch_execz .LBB35_181
; %bb.178:                              ;   in Loop: Header=BB35_177 Depth=1
	v_dual_mov_b32 v12, 0 :: v_dual_mov_b32 v5, 0
	v_subrev_nc_u32_e32 v2, s25, v2
	v_subrev_nc_u32_e32 v3, s25, v1
	v_dual_mov_b32 v13, 0 :: v_dual_mov_b32 v6, 0
	s_wait_alu 0xfffe
	v_lshl_add_u32 v1, v1, 4, s10
	s_mov_b32 s12, 0
.LBB35_179:                             ;   Parent Loop BB35_177 Depth=1
                                        ; =>  This Inner Loop Header: Depth=2
	ds_load_b128 v[14:17], v1
	v_add_nc_u32_e32 v3, 1, v3
	v_add_nc_u32_e32 v1, 16, v1
	s_delay_alu instid0(VALU_DEP_2)
	v_cmp_ge_i32_e32 vcc_lo, v3, v2
	s_wait_alu 0xfffe
	s_or_b32 s12, vcc_lo, s12
	s_wait_dscnt 0x0
	v_add_f64_e32 v[5:6], v[5:6], v[14:15]
	v_add_f64_e32 v[12:13], v[12:13], v[16:17]
	s_wait_alu 0xfffe
	s_and_not1_b32 exec_lo, exec_lo, s12
	s_cbranch_execnz .LBB35_179
; %bb.180:                              ;   in Loop: Header=BB35_177 Depth=1
	s_or_b32 exec_lo, exec_lo, s12
.LBB35_181:                             ;   in Loop: Header=BB35_177 Depth=1
	s_wait_alu 0xfffe
	s_or_b32 exec_lo, exec_lo, s11
	v_lshlrev_b64_e32 v[1:2], 4, v[10:11]
	s_mov_b32 s11, 0
	s_delay_alu instid0(VALU_DEP_1) | instskip(SKIP_1) | instid1(VALU_DEP_2)
	v_add_co_u32 v14, vcc_lo, s20, v1
	s_wait_alu 0xfffd
	v_add_co_ci_u32_e64 v15, null, s21, v2, vcc_lo
	v_lshl_add_u32 v1, v10, 4, s3
	global_load_b64 v[7:8], v[14:15], off
	ds_load_2addr_b64 v[1:4], v1 offset1:1
	s_wait_dscnt 0x0
	v_add_f64_e32 v[1:2], v[5:6], v[1:2]
.LBB35_182:                             ;   Parent Loop BB35_177 Depth=1
                                        ; =>  This Inner Loop Header: Depth=2
	s_wait_loadcnt 0x0
	s_delay_alu instid0(VALU_DEP_1)
	v_add_f64_e32 v[5:6], v[7:8], v[1:2]
	global_atomic_cmpswap_b64 v[5:6], v[14:15], v[5:8], off th:TH_ATOMIC_RETURN scope:SCOPE_DEV
	s_wait_loadcnt 0x0
	v_cmp_eq_u64_e32 vcc_lo, v[5:6], v[7:8]
	v_dual_mov_b32 v8, v6 :: v_dual_mov_b32 v7, v5
	s_wait_alu 0xfffe
	s_or_b32 s11, vcc_lo, s11
	s_wait_alu 0xfffe
	s_and_not1_b32 exec_lo, exec_lo, s11
	s_cbranch_execnz .LBB35_182
; %bb.183:                              ;   in Loop: Header=BB35_177 Depth=1
	s_or_b32 exec_lo, exec_lo, s11
	global_load_b64 v[5:6], v[14:15], off offset:8
	v_add_f64_e32 v[1:2], v[12:13], v[3:4]
	s_mov_b32 s11, 0
.LBB35_184:                             ;   Parent Loop BB35_177 Depth=1
                                        ; =>  This Inner Loop Header: Depth=2
	s_wait_loadcnt 0x0
	s_delay_alu instid0(VALU_DEP_1)
	v_add_f64_e32 v[3:4], v[5:6], v[1:2]
	global_atomic_cmpswap_b64 v[3:4], v[14:15], v[3:6], off offset:8 th:TH_ATOMIC_RETURN scope:SCOPE_DEV
	s_wait_loadcnt 0x0
	v_cmp_eq_u64_e32 vcc_lo, v[3:4], v[5:6]
	v_dual_mov_b32 v6, v4 :: v_dual_mov_b32 v5, v3
	s_wait_alu 0xfffe
	s_or_b32 s11, vcc_lo, s11
	s_wait_alu 0xfffe
	s_and_not1_b32 exec_lo, exec_lo, s11
	s_cbranch_execnz .LBB35_184
; %bb.185:                              ;   in Loop: Header=BB35_177 Depth=1
	s_or_b32 exec_lo, exec_lo, s11
	v_add_nc_u32_e32 v10, s6, v10
	s_delay_alu instid0(VALU_DEP_1)
	v_cmp_le_i32_e32 vcc_lo, s23, v10
	s_or_b32 s7, vcc_lo, s7
	s_wait_alu 0xfffe
	s_and_not1_b32 exec_lo, exec_lo, s7
	s_cbranch_execnz .LBB35_177
.LBB35_186:
	s_wait_alu 0xfffe
	s_or_b32 exec_lo, exec_lo, s2
	s_mov_b32 s2, 0
.LBB35_187:
	s_wait_alu 0xfffe
	s_and_not1_b32 vcc_lo, exec_lo, s2
	s_wait_alu 0xfffe
	s_cbranch_vccnz .LBB35_203
; %bb.188:
	s_cvt_f32_u32 s2, s1
	s_sub_co_i32 s3, 0, s1
	s_wait_alu 0xfffe
	s_delay_alu instid0(SALU_CYCLE_1) | instskip(NEXT) | instid1(TRANS32_DEP_1)
	v_rcp_iflag_f32_e32 v1, s2
	v_readfirstlane_b32 s2, v1
	s_mul_f32 s2, s2, 0x4f7ffffe
	s_wait_alu 0xfffe
	s_delay_alu instid0(SALU_CYCLE_2) | instskip(SKIP_1) | instid1(SALU_CYCLE_2)
	s_cvt_u32_f32 s2, s2
	s_wait_alu 0xfffe
	s_mul_i32 s3, s3, s2
	s_wait_alu 0xfffe
	s_mul_hi_u32 s3, s2, s3
	s_wait_alu 0xfffe
	s_add_co_i32 s2, s2, s3
	s_abs_i32 s3, s1
	s_wait_alu 0xfffe
	v_mul_hi_u32 v1, v0, s2
	s_cvt_f32_u32 s2, s3
	s_delay_alu instid0(VALU_DEP_1) | instskip(NEXT) | instid1(VALU_DEP_1)
	v_mul_lo_u32 v2, v1, s1
	v_sub_nc_u32_e32 v2, v0, v2
	s_delay_alu instid0(VALU_DEP_1) | instskip(SKIP_2) | instid1(VALU_DEP_2)
	v_subrev_nc_u32_e32 v4, s1, v2
	v_cmp_le_u32_e32 vcc_lo, s1, v2
	s_wait_alu 0xfffd
	v_dual_cndmask_b32 v2, v2, v4 :: v_dual_add_nc_u32 v3, 1, v1
	s_delay_alu instid0(VALU_DEP_1) | instskip(NEXT) | instid1(VALU_DEP_2)
	v_cndmask_b32_e32 v1, v1, v3, vcc_lo
	v_cmp_le_u32_e32 vcc_lo, s1, v2
	s_delay_alu instid0(VALU_DEP_2) | instskip(SKIP_1) | instid1(VALU_DEP_1)
	v_add_nc_u32_e32 v3, 1, v1
	s_wait_alu 0xfffd
	v_cndmask_b32_e32 v7, v1, v3, vcc_lo
	v_mov_b32_e32 v3, 0
	s_delay_alu instid0(VALU_DEP_2) | instskip(SKIP_4) | instid1(TRANS32_DEP_1)
	v_dual_mov_b32 v4, 0 :: v_dual_lshlrev_b32 v1, 2, v7
	global_load_b64 v[5:6], v1, s[4:5]
	s_wait_alu 0xfffe
	v_rcp_iflag_f32_e32 v1, s2
	s_mov_b32 s2, exec_lo
	v_readfirstlane_b32 s4, v1
	v_mov_b32_e32 v1, 0
	v_mov_b32_e32 v2, 0
	v_cmpx_gt_i32_e64 s19, v7
	s_cbranch_execz .LBB35_196
; %bb.189:
	s_wait_loadcnt 0x0
	v_subrev_nc_u32_e32 v5, s25, v5
	v_subrev_nc_u32_e32 v7, s25, v6
	s_mul_f32 s4, s4, 0x4f7ffffe
	s_sub_co_i32 s5, 0, s3
	s_wait_alu 0xfffe
	s_delay_alu instid0(SALU_CYCLE_1) | instskip(SKIP_2) | instid1(SALU_CYCLE_1)
	s_cvt_u32_f32 s4, s4
	v_sub_nc_u32_e32 v3, v7, v5
	s_wait_alu 0xfffe
	s_mul_i32 s5, s5, s4
	s_delay_alu instid0(VALU_DEP_1)
	v_sub_nc_u32_e32 v1, 0, v3
	s_wait_alu 0xfffe
	s_mul_hi_u32 s5, s4, s5
	s_wait_alu 0xfffe
	s_add_co_i32 s4, s4, s5
	v_max_i32_e32 v4, v3, v1
	v_ashrrev_i32_e32 v3, 31, v3
	s_wait_alu 0xfffe
	s_delay_alu instid0(VALU_DEP_2) | instskip(SKIP_4) | instid1(VALU_DEP_1)
	v_mad_co_u64_u32 v[1:2], null, v4, s4, 0
	s_ashr_i32 s4, s1, 31
	s_wait_alu 0xfffe
	v_xor_b32_e32 v3, s4, v3
	v_mul_lo_u32 v1, v2, s3
	v_sub_nc_u32_e32 v1, v4, v1
	v_add_nc_u32_e32 v4, 1, v2
	s_delay_alu instid0(VALU_DEP_2) | instskip(SKIP_2) | instid1(VALU_DEP_2)
	v_subrev_nc_u32_e32 v6, s3, v1
	v_cmp_le_u32_e32 vcc_lo, s3, v1
	s_wait_alu 0xfffd
	v_dual_cndmask_b32 v2, v2, v4 :: v_dual_cndmask_b32 v1, v1, v6
	s_delay_alu instid0(VALU_DEP_1) | instskip(NEXT) | instid1(VALU_DEP_2)
	v_add_nc_u32_e32 v4, 1, v2
	v_cmp_le_u32_e32 vcc_lo, s3, v1
	s_add_co_i32 s3, s1, -1
	s_wait_alu 0xfffe
	v_and_b32_e32 v10, s3, v0
	s_mov_b32 s3, exec_lo
	s_wait_alu 0xfffd
	v_cndmask_b32_e32 v1, v2, v4, vcc_lo
	s_delay_alu instid0(VALU_DEP_1) | instskip(NEXT) | instid1(VALU_DEP_1)
	v_xor_b32_e32 v1, v1, v3
	v_sub_nc_u32_e32 v6, v1, v3
	v_mov_b32_e32 v3, 0
	v_dual_mov_b32 v1, 0 :: v_dual_mov_b32 v4, 0
	v_mov_b32_e32 v2, 0
	v_lshlrev_b32_e32 v8, 4, v10
	v_cmpx_lt_i32_e32 0, v6
	s_cbranch_execz .LBB35_193
; %bb.190:
	v_dual_mov_b32 v3, 0 :: v_dual_mov_b32 v12, v6
	v_mov_b32_e32 v4, 0
	v_lshl_add_u32 v11, v5, 4, v8
	s_delay_alu instid0(VALU_DEP_3)
	v_mov_b32_e32 v1, v3
	s_lshl_b32 s5, s1, 4
	s_mov_b32 s4, 0
	v_mov_b32_e32 v2, v4
.LBB35_191:                             ; =>This Inner Loop Header: Depth=1
	ds_load_b128 v[13:16], v11
	v_add_nc_u32_e32 v12, -1, v12
	s_wait_alu 0xfffe
	v_add_nc_u32_e32 v11, s5, v11
	s_delay_alu instid0(VALU_DEP_2)
	v_cmp_eq_u32_e32 vcc_lo, 0, v12
	s_or_b32 s4, vcc_lo, s4
	s_wait_dscnt 0x0
	v_add_f64_e32 v[1:2], v[1:2], v[13:14]
	v_add_f64_e32 v[3:4], v[3:4], v[15:16]
	s_wait_alu 0xfffe
	s_and_not1_b32 exec_lo, exec_lo, s4
	s_cbranch_execnz .LBB35_191
; %bb.192:
	s_or_b32 exec_lo, exec_lo, s4
.LBB35_193:
	s_wait_alu 0xfffe
	s_or_b32 exec_lo, exec_lo, s3
	v_mad_co_u64_u32 v[5:6], null, v6, s1, v[5:6]
	s_mov_b32 s3, exec_lo
	v_sub_nc_u32_e32 v6, v7, v5
	s_delay_alu instid0(VALU_DEP_1)
	v_cmpx_lt_i32_e64 v10, v6
	s_cbranch_execz .LBB35_195
; %bb.194:
	v_lshl_add_u32 v5, v5, 4, v8
	ds_load_b128 v[5:8], v5
	s_wait_dscnt 0x0
	v_add_f64_e32 v[1:2], v[1:2], v[5:6]
	v_add_f64_e32 v[3:4], v[3:4], v[7:8]
.LBB35_195:
	s_wait_alu 0xfffe
	s_or_b32 exec_lo, exec_lo, s3
.LBB35_196:
	s_wait_alu 0xfffe
	s_or_b32 exec_lo, exec_lo, s2
	v_cmp_gt_i32_e32 vcc_lo, s19, v0
	s_wait_loadcnt 0x0
	s_barrier_signal -1
	s_barrier_wait -1
	global_inv scope:SCOPE_SE
	ds_store_b128 v22, v[1:4]
	s_wait_loadcnt_dscnt 0x0
	s_barrier_signal -1
	s_barrier_wait -1
	global_inv scope:SCOPE_SE
	s_and_b32 exec_lo, exec_lo, vcc_lo
	s_cbranch_execz .LBB35_203
; %bb.197:
	v_mul_lo_u32 v1, s1, v0
	v_dual_mov_b32 v11, 0 :: v_dual_mov_b32 v4, 0
	v_dual_mov_b32 v12, 0 :: v_dual_mov_b32 v5, 0
	s_delay_alu instid0(VALU_DEP_3)
	v_lshlrev_b32_e32 v1, 4, v1
.LBB35_198:                             ; =>This Inner Loop Header: Depth=1
	ds_load_b128 v[13:16], v1
	v_add_nc_u32_e32 v1, 16, v1
	s_add_co_i32 s1, s1, -1
	s_wait_alu 0xfffe
	s_cmp_eq_u32 s1, 0
	s_wait_dscnt 0x0
	v_add_f64_e32 v[4:5], v[4:5], v[13:14]
	v_add_f64_e32 v[11:12], v[11:12], v[15:16]
	s_cbranch_scc0 .LBB35_198
; %bb.199:
	v_ashrrev_i32_e32 v10, 31, v9
	v_lshlrev_b32_e32 v0, 4, v0
	s_lshl_b32 s0, s0, 4
	s_delay_alu instid0(VALU_DEP_2) | instskip(SKIP_1) | instid1(VALU_DEP_2)
	v_lshlrev_b64_e32 v[1:2], 4, v[9:10]
	s_wait_alu 0xfffe
	v_add3_u32 v0, 0x4000, s0, v0
	s_mov_b32 s0, 0
	s_delay_alu instid0(VALU_DEP_2)
	v_add_co_u32 v8, vcc_lo, s20, v1
	s_wait_alu 0xfffd
	v_add_co_ci_u32_e64 v9, null, s21, v2, vcc_lo
	ds_load_2addr_b64 v[0:3], v0 offset1:1
	global_load_b64 v[6:7], v[8:9], off
	s_wait_dscnt 0x0
	v_add_f64_e32 v[0:1], v[4:5], v[0:1]
.LBB35_200:                             ; =>This Inner Loop Header: Depth=1
	s_wait_loadcnt 0x0
	s_delay_alu instid0(VALU_DEP_1)
	v_add_f64_e32 v[4:5], v[6:7], v[0:1]
	global_atomic_cmpswap_b64 v[4:5], v[8:9], v[4:7], off th:TH_ATOMIC_RETURN scope:SCOPE_DEV
	s_wait_loadcnt 0x0
	v_cmp_eq_u64_e32 vcc_lo, v[4:5], v[6:7]
	v_dual_mov_b32 v7, v5 :: v_dual_mov_b32 v6, v4
	s_wait_alu 0xfffe
	s_or_b32 s0, vcc_lo, s0
	s_wait_alu 0xfffe
	s_and_not1_b32 exec_lo, exec_lo, s0
	s_cbranch_execnz .LBB35_200
; %bb.201:
	s_or_b32 exec_lo, exec_lo, s0
	global_load_b64 v[4:5], v[8:9], off offset:8
	v_add_f64_e32 v[0:1], v[11:12], v[2:3]
	s_mov_b32 s0, 0
.LBB35_202:                             ; =>This Inner Loop Header: Depth=1
	s_wait_loadcnt 0x0
	s_delay_alu instid0(VALU_DEP_1)
	v_add_f64_e32 v[2:3], v[4:5], v[0:1]
	global_atomic_cmpswap_b64 v[2:3], v[8:9], v[2:5], off offset:8 th:TH_ATOMIC_RETURN scope:SCOPE_DEV
	s_wait_loadcnt 0x0
	v_cmp_eq_u64_e32 vcc_lo, v[2:3], v[4:5]
	v_dual_mov_b32 v5, v3 :: v_dual_mov_b32 v4, v2
	s_wait_alu 0xfffe
	s_or_b32 s0, vcc_lo, s0
	s_wait_alu 0xfffe
	s_and_not1_b32 exec_lo, exec_lo, s0
	s_cbranch_execnz .LBB35_202
.LBB35_203:
	s_endpgm
	.section	.rodata,"a",@progbits
	.p2align	6, 0x0
	.amdhsa_kernel _ZN9rocsparseL27csrmvn_symm_adaptive_kernelIii21rocsparse_complex_numIdES2_S2_S2_EEvbT_S3_PKS3_NS_24const_host_device_scalarIT4_EES5_PKT0_PKT1_PKT2_S8_PT3_21rocsparse_index_base_b
		.amdhsa_group_segment_fixed_size 16384
		.amdhsa_private_segment_fixed_size 0
		.amdhsa_kernarg_size 360
		.amdhsa_user_sgpr_count 2
		.amdhsa_user_sgpr_dispatch_ptr 0
		.amdhsa_user_sgpr_queue_ptr 0
		.amdhsa_user_sgpr_kernarg_segment_ptr 1
		.amdhsa_user_sgpr_dispatch_id 0
		.amdhsa_user_sgpr_private_segment_size 0
		.amdhsa_wavefront_size32 1
		.amdhsa_uses_dynamic_stack 0
		.amdhsa_enable_private_segment 0
		.amdhsa_system_sgpr_workgroup_id_x 1
		.amdhsa_system_sgpr_workgroup_id_y 0
		.amdhsa_system_sgpr_workgroup_id_z 0
		.amdhsa_system_sgpr_workgroup_info 0
		.amdhsa_system_vgpr_workitem_id 0
		.amdhsa_next_free_vgpr 37
		.amdhsa_next_free_sgpr 36
		.amdhsa_reserve_vcc 1
		.amdhsa_float_round_mode_32 0
		.amdhsa_float_round_mode_16_64 0
		.amdhsa_float_denorm_mode_32 3
		.amdhsa_float_denorm_mode_16_64 3
		.amdhsa_fp16_overflow 0
		.amdhsa_workgroup_processor_mode 1
		.amdhsa_memory_ordered 1
		.amdhsa_forward_progress 1
		.amdhsa_inst_pref_size 85
		.amdhsa_round_robin_scheduling 0
		.amdhsa_exception_fp_ieee_invalid_op 0
		.amdhsa_exception_fp_denorm_src 0
		.amdhsa_exception_fp_ieee_div_zero 0
		.amdhsa_exception_fp_ieee_overflow 0
		.amdhsa_exception_fp_ieee_underflow 0
		.amdhsa_exception_fp_ieee_inexact 0
		.amdhsa_exception_int_div_zero 0
	.end_amdhsa_kernel
	.section	.text._ZN9rocsparseL27csrmvn_symm_adaptive_kernelIii21rocsparse_complex_numIdES2_S2_S2_EEvbT_S3_PKS3_NS_24const_host_device_scalarIT4_EES5_PKT0_PKT1_PKT2_S8_PT3_21rocsparse_index_base_b,"axG",@progbits,_ZN9rocsparseL27csrmvn_symm_adaptive_kernelIii21rocsparse_complex_numIdES2_S2_S2_EEvbT_S3_PKS3_NS_24const_host_device_scalarIT4_EES5_PKT0_PKT1_PKT2_S8_PT3_21rocsparse_index_base_b,comdat
.Lfunc_end35:
	.size	_ZN9rocsparseL27csrmvn_symm_adaptive_kernelIii21rocsparse_complex_numIdES2_S2_S2_EEvbT_S3_PKS3_NS_24const_host_device_scalarIT4_EES5_PKT0_PKT1_PKT2_S8_PT3_21rocsparse_index_base_b, .Lfunc_end35-_ZN9rocsparseL27csrmvn_symm_adaptive_kernelIii21rocsparse_complex_numIdES2_S2_S2_EEvbT_S3_PKS3_NS_24const_host_device_scalarIT4_EES5_PKT0_PKT1_PKT2_S8_PT3_21rocsparse_index_base_b
                                        ; -- End function
	.set _ZN9rocsparseL27csrmvn_symm_adaptive_kernelIii21rocsparse_complex_numIdES2_S2_S2_EEvbT_S3_PKS3_NS_24const_host_device_scalarIT4_EES5_PKT0_PKT1_PKT2_S8_PT3_21rocsparse_index_base_b.num_vgpr, 37
	.set _ZN9rocsparseL27csrmvn_symm_adaptive_kernelIii21rocsparse_complex_numIdES2_S2_S2_EEvbT_S3_PKS3_NS_24const_host_device_scalarIT4_EES5_PKT0_PKT1_PKT2_S8_PT3_21rocsparse_index_base_b.num_agpr, 0
	.set _ZN9rocsparseL27csrmvn_symm_adaptive_kernelIii21rocsparse_complex_numIdES2_S2_S2_EEvbT_S3_PKS3_NS_24const_host_device_scalarIT4_EES5_PKT0_PKT1_PKT2_S8_PT3_21rocsparse_index_base_b.numbered_sgpr, 36
	.set _ZN9rocsparseL27csrmvn_symm_adaptive_kernelIii21rocsparse_complex_numIdES2_S2_S2_EEvbT_S3_PKS3_NS_24const_host_device_scalarIT4_EES5_PKT0_PKT1_PKT2_S8_PT3_21rocsparse_index_base_b.num_named_barrier, 0
	.set _ZN9rocsparseL27csrmvn_symm_adaptive_kernelIii21rocsparse_complex_numIdES2_S2_S2_EEvbT_S3_PKS3_NS_24const_host_device_scalarIT4_EES5_PKT0_PKT1_PKT2_S8_PT3_21rocsparse_index_base_b.private_seg_size, 0
	.set _ZN9rocsparseL27csrmvn_symm_adaptive_kernelIii21rocsparse_complex_numIdES2_S2_S2_EEvbT_S3_PKS3_NS_24const_host_device_scalarIT4_EES5_PKT0_PKT1_PKT2_S8_PT3_21rocsparse_index_base_b.uses_vcc, 1
	.set _ZN9rocsparseL27csrmvn_symm_adaptive_kernelIii21rocsparse_complex_numIdES2_S2_S2_EEvbT_S3_PKS3_NS_24const_host_device_scalarIT4_EES5_PKT0_PKT1_PKT2_S8_PT3_21rocsparse_index_base_b.uses_flat_scratch, 0
	.set _ZN9rocsparseL27csrmvn_symm_adaptive_kernelIii21rocsparse_complex_numIdES2_S2_S2_EEvbT_S3_PKS3_NS_24const_host_device_scalarIT4_EES5_PKT0_PKT1_PKT2_S8_PT3_21rocsparse_index_base_b.has_dyn_sized_stack, 0
	.set _ZN9rocsparseL27csrmvn_symm_adaptive_kernelIii21rocsparse_complex_numIdES2_S2_S2_EEvbT_S3_PKS3_NS_24const_host_device_scalarIT4_EES5_PKT0_PKT1_PKT2_S8_PT3_21rocsparse_index_base_b.has_recursion, 0
	.set _ZN9rocsparseL27csrmvn_symm_adaptive_kernelIii21rocsparse_complex_numIdES2_S2_S2_EEvbT_S3_PKS3_NS_24const_host_device_scalarIT4_EES5_PKT0_PKT1_PKT2_S8_PT3_21rocsparse_index_base_b.has_indirect_call, 0
	.section	.AMDGPU.csdata,"",@progbits
; Kernel info:
; codeLenInByte = 10864
; TotalNumSgprs: 38
; NumVgprs: 37
; ScratchSize: 0
; MemoryBound: 0
; FloatMode: 240
; IeeeMode: 1
; LDSByteSize: 16384 bytes/workgroup (compile time only)
; SGPRBlocks: 0
; VGPRBlocks: 4
; NumSGPRsForWavesPerEU: 38
; NumVGPRsForWavesPerEU: 37
; Occupancy: 16
; WaveLimiterHint : 1
; COMPUTE_PGM_RSRC2:SCRATCH_EN: 0
; COMPUTE_PGM_RSRC2:USER_SGPR: 2
; COMPUTE_PGM_RSRC2:TRAP_HANDLER: 0
; COMPUTE_PGM_RSRC2:TGID_X_EN: 1
; COMPUTE_PGM_RSRC2:TGID_Y_EN: 0
; COMPUTE_PGM_RSRC2:TGID_Z_EN: 0
; COMPUTE_PGM_RSRC2:TIDIG_COMP_CNT: 0
	.section	.text._ZL33csrmvn_symm_large_adaptive_kernelIii21rocsparse_complex_numIdES1_S1_S1_EvbT_PKS2_N9rocsparse24const_host_device_scalarIT4_EES4_PKT0_PKT1_PKT2_S8_PT3_21rocsparse_index_base_b,"axG",@progbits,_ZL33csrmvn_symm_large_adaptive_kernelIii21rocsparse_complex_numIdES1_S1_S1_EvbT_PKS2_N9rocsparse24const_host_device_scalarIT4_EES4_PKT0_PKT1_PKT2_S8_PT3_21rocsparse_index_base_b,comdat
	.globl	_ZL33csrmvn_symm_large_adaptive_kernelIii21rocsparse_complex_numIdES1_S1_S1_EvbT_PKS2_N9rocsparse24const_host_device_scalarIT4_EES4_PKT0_PKT1_PKT2_S8_PT3_21rocsparse_index_base_b ; -- Begin function _ZL33csrmvn_symm_large_adaptive_kernelIii21rocsparse_complex_numIdES1_S1_S1_EvbT_PKS2_N9rocsparse24const_host_device_scalarIT4_EES4_PKT0_PKT1_PKT2_S8_PT3_21rocsparse_index_base_b
	.p2align	8
	.type	_ZL33csrmvn_symm_large_adaptive_kernelIii21rocsparse_complex_numIdES1_S1_S1_EvbT_PKS2_N9rocsparse24const_host_device_scalarIT4_EES4_PKT0_PKT1_PKT2_S8_PT3_21rocsparse_index_base_b,@function
_ZL33csrmvn_symm_large_adaptive_kernelIii21rocsparse_complex_numIdES1_S1_S1_EvbT_PKS2_N9rocsparse24const_host_device_scalarIT4_EES4_PKT0_PKT1_PKT2_S8_PT3_21rocsparse_index_base_b: ; @_ZL33csrmvn_symm_large_adaptive_kernelIii21rocsparse_complex_numIdES1_S1_S1_EvbT_PKS2_N9rocsparse24const_host_device_scalarIT4_EES4_PKT0_PKT1_PKT2_S8_PT3_21rocsparse_index_base_b
; %bb.0:
	s_clause 0x1
	s_load_b64 s[6:7], s[0:1], 0x58
	s_load_b64 s[4:5], s[0:1], 0x10
	s_add_nc_u64 s[8:9], s[0:1], 16
	s_wait_kmcnt 0x0
	s_bitcmp1_b32 s7, 0
	s_cselect_b32 s3, -1, 0
	s_delay_alu instid0(SALU_CYCLE_1) | instskip(SKIP_2) | instid1(SALU_CYCLE_1)
	s_and_b32 s2, s3, exec_lo
	s_cselect_b32 s2, s8, s4
	s_cselect_b32 s4, s9, s5
	v_dual_mov_b32 v1, s2 :: v_dual_mov_b32 v2, s4
	flat_load_b128 v[1:4], v[1:2]
	s_wait_loadcnt_dscnt 0x0
	v_cmp_eq_f64_e32 vcc_lo, 0, v[1:2]
	v_cmp_eq_f64_e64 s2, 0, v[3:4]
	s_and_b32 s5, vcc_lo, s2
	s_mov_b32 s2, -1
	s_wait_alu 0xfffe
	s_and_saveexec_b32 s4, s5
	s_cbranch_execz .LBB36_2
; %bb.1:
	s_load_b64 s[8:9], s[0:1], 0x40
	s_add_nc_u64 s[10:11], s[0:1], 64
	s_and_b32 s2, s3, exec_lo
	s_wait_kmcnt 0x0
	s_cselect_b32 s2, s10, s8
	s_cselect_b32 s3, s11, s9
	s_wait_alu 0xfffe
	v_dual_mov_b32 v5, s2 :: v_dual_mov_b32 v6, s3
	flat_load_b128 v[5:8], v[5:6]
	s_wait_loadcnt_dscnt 0x0
	v_cmp_neq_f64_e32 vcc_lo, 1.0, v[5:6]
	v_cmp_neq_f64_e64 s2, 0, v[7:8]
	s_or_b32 s2, vcc_lo, s2
	s_wait_alu 0xfffe
	s_or_not1_b32 s2, s2, exec_lo
.LBB36_2:
	s_wait_alu 0xfffe
	s_or_b32 exec_lo, exec_lo, s4
	s_and_saveexec_b32 s3, s2
	s_cbranch_execz .LBB36_43
; %bb.3:
	s_clause 0x1
	s_load_b32 s2, s[0:1], 0x0
	s_load_b64 s[12:13], s[0:1], 0x8
	s_mov_b32 s8, 0
	s_mov_b32 s4, ttmp9
	s_mov_b32 s9, s8
	s_mov_b32 s10, s8
	;; [unrolled: 1-line block ×3, first 2 shown]
	s_delay_alu instid0(SALU_CYCLE_1)
	v_dual_mov_b32 v5, s8 :: v_dual_mov_b32 v8, s11
	v_dual_mov_b32 v6, s9 :: v_dual_lshlrev_b32 v15, 4, v0
	v_mov_b32_e32 v7, s10
	ds_store_b128 v15, v[5:8]
	ds_store_b128 v15, v[5:8] offset:4096
	ds_store_b128 v15, v[5:8] offset:8192
	;; [unrolled: 1-line block ×3, first 2 shown]
	s_wait_dscnt 0x0
	s_barrier_signal -1
	s_barrier_wait -1
	s_wait_kmcnt 0x0
	s_bitcmp1_b32 s2, 0
	global_inv scope:SCOPE_SE
	s_cselect_b32 s2, -1, 0
	s_ashr_i32 s5, ttmp9, 31
	v_subrev_nc_u32_e32 v16, s6, v0
	s_wait_alu 0xfffe
	s_lshl_b64 s[4:5], s[4:5], 2
	s_wait_alu 0xfffe
	s_add_nc_u64 s[4:5], s[12:13], s[4:5]
	s_load_b64 s[16:17], s[4:5], 0x0
	s_clause 0x1
	s_load_b64 s[18:19], s[0:1], 0x50
	s_load_b256 s[8:15], s[0:1], 0x20
	s_wait_kmcnt 0x0
	s_cmp_ge_i32 s16, s17
	s_cbranch_scc1 .LBB36_31
; %bb.4:
	v_cmp_gt_u32_e32 vcc_lo, 64, v0
	v_cmp_gt_u32_e64 s0, 16, v0
	v_cmp_gt_u32_e64 s1, 4, v0
	v_cmp_eq_u32_e64 s3, 0, v0
	v_mov_b32_e32 v0, 0
	s_add_nc_u64 s[20:21], s[12:13], 8
	s_mov_b32 s22, s16
	s_branch .LBB36_6
.LBB36_5:                               ;   in Loop: Header=BB36_6 Depth=1
	s_wait_alu 0xfffe
	s_or_b32 exec_lo, exec_lo, s5
	s_add_co_i32 s22, s22, 1
	s_delay_alu instid0(SALU_CYCLE_1)
	s_cmp_ge_i32 s22, s17
	s_cbranch_scc1 .LBB36_31
.LBB36_6:                               ; =>This Loop Header: Depth=1
                                        ;     Child Loop BB36_8 Depth 2
                                        ;     Child Loop BB36_20 Depth 2
	;; [unrolled: 1-line block ×5, first 2 shown]
	s_ashr_i32 s23, s22, 31
	v_mov_b32_e32 v7, 0
	s_lshl_b64 s[4:5], s[22:23], 2
	v_mov_b32_e32 v5, 0
	s_wait_alu 0xfffe
	s_add_nc_u64 s[4:5], s[8:9], s[4:5]
	v_mov_b32_e32 v6, 0
	s_load_b64 s[4:5], s[4:5], 0x0
	s_mov_b32 s7, exec_lo
	s_wait_kmcnt 0x0
	v_dual_mov_b32 v8, 0 :: v_dual_add_nc_u32 v9, s4, v16
	s_sub_co_i32 s24, s5, s6
	s_wait_alu 0xfffe
	s_delay_alu instid0(VALU_DEP_1)
	v_cmpx_gt_i32_e64 s24, v9
	s_cbranch_execz .LBB36_10
; %bb.7:                                ;   in Loop: Header=BB36_6 Depth=1
	v_ashrrev_i32_e32 v10, 31, v9
	v_mov_b32_e32 v7, 0
	v_mov_b32_e32 v8, 0
	s_mov_b32 s25, 0
	s_delay_alu instid0(VALU_DEP_3) | instskip(SKIP_1) | instid1(VALU_DEP_2)
	v_lshlrev_b64_e32 v[5:6], 2, v[9:10]
	v_lshlrev_b64_e32 v[12:13], 4, v[9:10]
	v_add_co_u32 v10, s4, s10, v5
	s_wait_alu 0xf1ff
	s_delay_alu instid0(VALU_DEP_3) | instskip(NEXT) | instid1(VALU_DEP_3)
	v_add_co_ci_u32_e64 v11, null, s11, v6, s4
	v_add_co_u32 v12, s4, s20, v12
	s_wait_alu 0xf1ff
	v_add_co_ci_u32_e64 v13, null, s21, v13, s4
	v_dual_mov_b32 v5, v7 :: v_dual_mov_b32 v6, v8
.LBB36_8:                               ;   Parent Loop BB36_6 Depth=1
                                        ; =>  This Inner Loop Header: Depth=2
	global_load_b32 v14, v[10:11], off
	v_add_nc_u32_e32 v9, 0x100, v9
	s_wait_loadcnt 0x0
	v_subrev_nc_u32_e32 v17, s6, v14
	s_delay_alu instid0(VALU_DEP_1) | instskip(NEXT) | instid1(VALU_DEP_1)
	v_ashrrev_i32_e32 v18, 31, v17
	v_lshlrev_b64_e32 v[21:22], 4, v[17:18]
	global_load_b128 v[17:20], v[12:13], off offset:-8
	v_add_co_u32 v12, s5, 0x1000, v12
	s_wait_alu 0xf1ff
	v_add_co_ci_u32_e64 v13, null, 0, v13, s5
	v_add_co_u32 v21, s4, s14, v21
	s_wait_alu 0xf1ff
	v_add_co_ci_u32_e64 v22, null, s15, v22, s4
	;; [unrolled: 3-line block ×3, first 2 shown]
	global_load_b128 v[21:24], v[21:22], off
	v_cmp_le_i32_e64 s4, s24, v9
	s_wait_alu 0xfffe
	s_or_b32 s25, s4, s25
	s_wait_loadcnt 0x1
	v_xor_b32_e32 v14, 0x80000000, v20
	s_delay_alu instid0(VALU_DEP_1) | instskip(SKIP_2) | instid1(VALU_DEP_2)
	v_cndmask_b32_e64 v20, v20, v14, s2
	s_wait_loadcnt 0x0
	v_fma_f64 v[5:6], v[17:18], v[21:22], v[5:6]
	v_fma_f64 v[7:8], v[19:20], v[21:22], v[7:8]
	s_delay_alu instid0(VALU_DEP_2) | instskip(NEXT) | instid1(VALU_DEP_2)
	v_fma_f64 v[5:6], -v[19:20], v[23:24], v[5:6]
	v_fma_f64 v[7:8], v[17:18], v[23:24], v[7:8]
	s_wait_alu 0xfffe
	s_and_not1_b32 exec_lo, exec_lo, s25
	s_cbranch_execnz .LBB36_8
; %bb.9:                                ;   in Loop: Header=BB36_6 Depth=1
	s_or_b32 exec_lo, exec_lo, s25
.LBB36_10:                              ;   in Loop: Header=BB36_6 Depth=1
	s_wait_alu 0xfffe
	s_or_b32 exec_lo, exec_lo, s7
	ds_store_b128 v15, v[5:8]
	s_wait_loadcnt_dscnt 0x0
	s_barrier_signal -1
	s_barrier_wait -1
	global_inv scope:SCOPE_SE
	ds_load_b128 v[5:8], v15 offset:4096
	ds_load_b128 v[9:12], v15 offset:8192
	;; [unrolled: 1-line block ×3, first 2 shown]
	ds_load_b128 v[21:24], v15
	s_wait_dscnt 0x2
	v_add_f64_e32 v[5:6], v[9:10], v[5:6]
	v_add_f64_e32 v[7:8], v[11:12], v[7:8]
	s_wait_dscnt 0x1
	s_delay_alu instid0(VALU_DEP_2) | instskip(NEXT) | instid1(VALU_DEP_2)
	v_add_f64_e32 v[5:6], v[5:6], v[17:18]
	v_add_f64_e32 v[7:8], v[7:8], v[19:20]
	s_wait_dscnt 0x0
	s_delay_alu instid0(VALU_DEP_2) | instskip(NEXT) | instid1(VALU_DEP_2)
	v_add_f64_e32 v[5:6], v[5:6], v[21:22]
	v_add_f64_e32 v[7:8], v[7:8], v[23:24]
	ds_store_b128 v15, v[5:8]
	s_wait_loadcnt_dscnt 0x0
	s_barrier_signal -1
	s_barrier_wait -1
	global_inv scope:SCOPE_SE
	s_and_saveexec_b32 s4, vcc_lo
	s_cbranch_execz .LBB36_12
; %bb.11:                               ;   in Loop: Header=BB36_6 Depth=1
	ds_load_b128 v[5:8], v15 offset:1024
	ds_load_b128 v[9:12], v15 offset:2048
	ds_load_b128 v[17:20], v15 offset:3072
	ds_load_b128 v[21:24], v15
	s_wait_dscnt 0x2
	v_add_f64_e32 v[5:6], v[9:10], v[5:6]
	v_add_f64_e32 v[7:8], v[11:12], v[7:8]
	s_wait_dscnt 0x1
	s_delay_alu instid0(VALU_DEP_2) | instskip(NEXT) | instid1(VALU_DEP_2)
	v_add_f64_e32 v[5:6], v[5:6], v[17:18]
	v_add_f64_e32 v[7:8], v[7:8], v[19:20]
	s_wait_dscnt 0x0
	s_delay_alu instid0(VALU_DEP_2) | instskip(NEXT) | instid1(VALU_DEP_2)
	v_add_f64_e32 v[5:6], v[5:6], v[21:22]
	v_add_f64_e32 v[7:8], v[7:8], v[23:24]
	ds_store_b128 v15, v[5:8]
.LBB36_12:                              ;   in Loop: Header=BB36_6 Depth=1
	s_wait_alu 0xfffe
	s_or_b32 exec_lo, exec_lo, s4
	s_wait_loadcnt_dscnt 0x0
	s_barrier_signal -1
	s_barrier_wait -1
	global_inv scope:SCOPE_SE
	s_and_saveexec_b32 s4, s0
	s_cbranch_execz .LBB36_14
; %bb.13:                               ;   in Loop: Header=BB36_6 Depth=1
	ds_load_b128 v[5:8], v15 offset:256
	ds_load_b128 v[9:12], v15 offset:512
	ds_load_b128 v[17:20], v15 offset:768
	ds_load_b128 v[21:24], v15
	s_wait_dscnt 0x2
	v_add_f64_e32 v[5:6], v[9:10], v[5:6]
	v_add_f64_e32 v[7:8], v[11:12], v[7:8]
	s_wait_dscnt 0x1
	s_delay_alu instid0(VALU_DEP_2) | instskip(NEXT) | instid1(VALU_DEP_2)
	v_add_f64_e32 v[5:6], v[5:6], v[17:18]
	v_add_f64_e32 v[7:8], v[7:8], v[19:20]
	s_wait_dscnt 0x0
	s_delay_alu instid0(VALU_DEP_2) | instskip(NEXT) | instid1(VALU_DEP_2)
	v_add_f64_e32 v[5:6], v[5:6], v[21:22]
	v_add_f64_e32 v[7:8], v[7:8], v[23:24]
	ds_store_b128 v15, v[5:8]
.LBB36_14:                              ;   in Loop: Header=BB36_6 Depth=1
	s_wait_alu 0xfffe
	s_or_b32 exec_lo, exec_lo, s4
	s_wait_loadcnt_dscnt 0x0
	s_barrier_signal -1
	s_barrier_wait -1
	global_inv scope:SCOPE_SE
	s_and_saveexec_b32 s4, s1
	;; [unrolled: 26-line block ×4, first 2 shown]
	s_cbranch_execz .LBB36_5
; %bb.19:                               ;   in Loop: Header=BB36_6 Depth=1
	ds_load_b128 v[5:8], v0
	v_mov_b32_e32 v13, 0
	v_bfrev_b32_e32 v14, 1
	s_mov_b32 s4, exec_lo
	s_wait_dscnt 0x0
	v_mul_f64_e64 v[9:10], v[7:8], -v[3:4]
	s_delay_alu instid0(VALU_DEP_1)
	v_fma_f64 v[9:10], v[1:2], v[5:6], v[9:10]
.LBB36_20:                              ;   Parent Loop BB36_6 Depth=1
                                        ; =>  This Inner Loop Header: Depth=2
	s_wait_alu 0xfffe
	s_ctz_i32_b32 s7, s4
	s_wait_alu 0xfffe
	s_delay_alu instid0(VALU_DEP_1) | instskip(NEXT) | instid1(VALU_DEP_2)
	v_readlane_b32 s25, v10, s7
	v_readlane_b32 s24, v9, s7
	s_lshl_b32 s7, 1, s7
	s_wait_alu 0xfffe
	s_and_not1_b32 s4, s4, s7
	v_add_f64_e32 v[13:14], s[24:25], v[13:14]
	s_wait_alu 0xfffe
	s_cmp_lg_u32 s4, 0
	s_cbranch_scc1 .LBB36_20
; %bb.21:                               ;   in Loop: Header=BB36_6 Depth=1
	v_mbcnt_lo_u32_b32 v9, exec_lo, 0
	s_lshl_b64 s[24:25], s[22:23], 4
	s_mov_b32 s7, exec_lo
	s_wait_alu 0xfffe
	s_add_nc_u64 s[24:25], s[18:19], s[24:25]
	v_cmpx_eq_u32_e32 0, v9
	s_xor_b32 s7, exec_lo, s7
	s_cbranch_execz .LBB36_25
; %bb.22:                               ;   in Loop: Header=BB36_6 Depth=1
	global_load_b64 v[11:12], v0, s[24:25]
	s_mov_b32 s23, 0
.LBB36_23:                              ;   Parent Loop BB36_6 Depth=1
                                        ; =>  This Inner Loop Header: Depth=2
	s_wait_loadcnt 0x0
	v_add_f64_e32 v[9:10], v[11:12], v[13:14]
	global_atomic_cmpswap_b64 v[9:10], v0, v[9:12], s[24:25] th:TH_ATOMIC_RETURN scope:SCOPE_DEV
	s_wait_loadcnt 0x0
	v_cmp_eq_u64_e64 s4, v[9:10], v[11:12]
	v_dual_mov_b32 v12, v10 :: v_dual_mov_b32 v11, v9
	s_or_b32 s23, s4, s23
	s_delay_alu instid0(SALU_CYCLE_1)
	s_and_not1_b32 exec_lo, exec_lo, s23
	s_cbranch_execnz .LBB36_23
; %bb.24:                               ;   in Loop: Header=BB36_6 Depth=1
	s_or_b32 exec_lo, exec_lo, s23
.LBB36_25:                              ;   in Loop: Header=BB36_6 Depth=1
	s_wait_alu 0xfffe
	s_or_b32 exec_lo, exec_lo, s7
	v_mul_f64_e32 v[7:8], v[1:2], v[7:8]
	v_mov_b32_e32 v9, 0
	v_bfrev_b32_e32 v10, 1
	s_mov_b32 s4, exec_lo
	s_delay_alu instid0(VALU_DEP_3)
	v_fma_f64 v[5:6], v[3:4], v[5:6], v[7:8]
.LBB36_26:                              ;   Parent Loop BB36_6 Depth=1
                                        ; =>  This Inner Loop Header: Depth=2
	s_wait_alu 0xfffe
	s_ctz_i32_b32 s7, s4
	s_wait_alu 0xfffe
	s_delay_alu instid0(VALU_DEP_1) | instskip(NEXT) | instid1(VALU_DEP_2)
	v_readlane_b32 s27, v6, s7
	v_readlane_b32 s26, v5, s7
	s_lshl_b32 s7, 1, s7
	s_wait_alu 0xfffe
	s_and_not1_b32 s4, s4, s7
	v_add_f64_e32 v[9:10], s[26:27], v[9:10]
	s_wait_alu 0xfffe
	s_cmp_lg_u32 s4, 0
	s_cbranch_scc1 .LBB36_26
; %bb.27:                               ;   in Loop: Header=BB36_6 Depth=1
	v_mbcnt_lo_u32_b32 v5, exec_lo, 0
	s_mov_b32 s7, exec_lo
	s_delay_alu instid0(VALU_DEP_1)
	v_cmpx_eq_u32_e32 0, v5
	s_wait_alu 0xfffe
	s_xor_b32 s7, exec_lo, s7
	s_cbranch_execz .LBB36_5
; %bb.28:                               ;   in Loop: Header=BB36_6 Depth=1
	global_load_b64 v[7:8], v0, s[24:25] offset:8
	s_mov_b32 s7, 0
.LBB36_29:                              ;   Parent Loop BB36_6 Depth=1
                                        ; =>  This Inner Loop Header: Depth=2
	s_wait_loadcnt 0x0
	v_add_f64_e32 v[5:6], v[7:8], v[9:10]
	global_atomic_cmpswap_b64 v[5:6], v0, v[5:8], s[24:25] offset:8 th:TH_ATOMIC_RETURN scope:SCOPE_DEV
	s_wait_loadcnt 0x0
	v_cmp_eq_u64_e64 s4, v[5:6], v[7:8]
	v_dual_mov_b32 v8, v6 :: v_dual_mov_b32 v7, v5
	s_wait_alu 0xfffe
	s_or_b32 s7, s4, s7
	s_wait_alu 0xfffe
	s_and_not1_b32 exec_lo, exec_lo, s7
	s_cbranch_execnz .LBB36_29
; %bb.30:                               ;   in Loop: Header=BB36_6 Depth=1
	s_or_b32 exec_lo, exec_lo, s7
	s_branch .LBB36_5
.LBB36_31:
	s_ashr_i32 s1, s16, 31
	s_mov_b32 s0, s16
	s_ashr_i32 s5, s17, 31
	s_lshl_b64 s[0:1], s[0:1], 2
	s_mov_b32 s4, s17
	s_add_nc_u64 s[0:1], s[8:9], s[0:1]
	s_wait_alu 0xfffe
	s_lshl_b64 s[4:5], s[4:5], 2
	s_load_b32 s3, s[0:1], 0x0
	s_add_nc_u64 s[0:1], s[8:9], s[4:5]
	s_load_b32 s0, s[0:1], 0x0
	s_wait_kmcnt 0x0
	v_add_nc_u32_e32 v13, s3, v16
	s_sub_co_i32 s1, s0, s6
	s_delay_alu instid0(VALU_DEP_1) | instid1(SALU_CYCLE_1)
	v_cmp_gt_i32_e32 vcc_lo, s1, v13
	s_and_b32 exec_lo, exec_lo, vcc_lo
	s_cbranch_execz .LBB36_43
; %bb.32:
	s_add_co_i32 s3, s17, -1
	s_mov_b32 s5, 0
	s_wait_alu 0xfffe
	s_cmp_lt_i32 s16, s3
	s_cselect_b32 s0, -1, 0
	s_add_co_i32 s4, s17, -2
	s_wait_alu 0xfffe
	s_cmp_lg_u32 s16, s4
	s_cselect_b32 s4, -1, 0
	s_wait_alu 0xfffe
	s_and_b32 s4, s0, s4
	s_branch .LBB36_34
.LBB36_33:                              ;   in Loop: Header=BB36_34 Depth=1
	s_wait_alu 0xfffe
	s_or_b32 exec_lo, exec_lo, s0
	v_add_nc_u32_e32 v13, 0x100, v13
	s_delay_alu instid0(VALU_DEP_1)
	v_cmp_le_i32_e32 vcc_lo, s1, v13
	s_or_b32 s5, vcc_lo, s5
	s_wait_alu 0xfffe
	s_and_not1_b32 exec_lo, exec_lo, s5
	s_cbranch_execz .LBB36_43
.LBB36_34:                              ; =>This Loop Header: Depth=1
                                        ;     Child Loop BB36_36 Depth 2
                                        ;     Child Loop BB36_40 Depth 2
	;; [unrolled: 1-line block ×3, first 2 shown]
	v_dual_mov_b32 v0, s16 :: v_dual_mov_b32 v5, s3
	s_wait_alu 0xfffe
	s_and_not1_b32 vcc_lo, exec_lo, s4
	s_wait_alu 0xfffe
	s_cbranch_vccnz .LBB36_38
; %bb.35:                               ;   in Loop: Header=BB36_34 Depth=1
	v_dual_mov_b32 v0, s16 :: v_dual_mov_b32 v5, s3
	s_mov_b32 s7, 0
.LBB36_36:                              ;   Parent Loop BB36_34 Depth=1
                                        ; =>  This Inner Loop Header: Depth=2
	s_delay_alu instid0(VALU_DEP_1) | instskip(NEXT) | instid1(VALU_DEP_1)
	v_add_nc_u32_e32 v6, v5, v0
	v_lshrrev_b32_e32 v7, 31, v6
	s_delay_alu instid0(VALU_DEP_1) | instskip(NEXT) | instid1(VALU_DEP_1)
	v_add_nc_u32_e32 v6, v6, v7
	v_ashrrev_i32_e32 v6, 1, v6
	s_delay_alu instid0(VALU_DEP_1) | instskip(NEXT) | instid1(VALU_DEP_1)
	v_ashrrev_i32_e32 v7, 31, v6
	v_lshlrev_b64_e32 v[7:8], 2, v[6:7]
	s_delay_alu instid0(VALU_DEP_1) | instskip(SKIP_1) | instid1(VALU_DEP_2)
	v_add_co_u32 v7, vcc_lo, s8, v7
	s_wait_alu 0xfffd
	v_add_co_ci_u32_e64 v8, null, s9, v8, vcc_lo
	global_load_b32 v7, v[7:8], off
	s_wait_loadcnt 0x0
	v_subrev_nc_u32_e32 v7, s6, v7
	s_delay_alu instid0(VALU_DEP_1) | instskip(SKIP_2) | instid1(VALU_DEP_1)
	v_cmp_lt_i32_e32 vcc_lo, v13, v7
	s_wait_alu 0xfffd
	v_dual_cndmask_b32 v5, v5, v6 :: v_dual_cndmask_b32 v0, v6, v0
	v_add_nc_u32_e32 v6, -1, v5
	s_delay_alu instid0(VALU_DEP_2) | instskip(NEXT) | instid1(VALU_DEP_2)
	v_cmp_ge_i32_e32 vcc_lo, v0, v5
	v_cmp_eq_u32_e64 s0, v0, v6
	s_or_b32 s0, vcc_lo, s0
	s_wait_alu 0xfffe
	s_and_b32 s0, exec_lo, s0
	s_wait_alu 0xfffe
	s_or_b32 s7, s0, s7
	s_wait_alu 0xfffe
	s_and_not1_b32 exec_lo, exec_lo, s7
	s_cbranch_execnz .LBB36_36
; %bb.37:                               ;   in Loop: Header=BB36_34 Depth=1
	s_or_b32 exec_lo, exec_lo, s7
.LBB36_38:                              ;   in Loop: Header=BB36_34 Depth=1
	v_ashrrev_i32_e32 v6, 31, v5
	v_ashrrev_i32_e32 v14, 31, v13
	s_mov_b32 s0, exec_lo
	s_delay_alu instid0(VALU_DEP_2) | instskip(NEXT) | instid1(VALU_DEP_2)
	v_lshlrev_b64_e32 v[6:7], 2, v[5:6]
	v_lshlrev_b64_e32 v[8:9], 2, v[13:14]
	s_delay_alu instid0(VALU_DEP_2) | instskip(SKIP_1) | instid1(VALU_DEP_3)
	v_add_co_u32 v6, vcc_lo, s8, v6
	s_wait_alu 0xfffd
	v_add_co_ci_u32_e64 v7, null, s9, v7, vcc_lo
	global_load_b32 v10, v[6:7], off
	v_add_co_u32 v6, vcc_lo, s10, v8
	s_wait_alu 0xfffd
	v_add_co_ci_u32_e64 v7, null, s11, v9, vcc_lo
	global_load_b32 v6, v[6:7], off
	s_wait_loadcnt 0x1
	v_subrev_nc_u32_e32 v7, s6, v10
	s_delay_alu instid0(VALU_DEP_1) | instskip(SKIP_4) | instid1(VALU_DEP_1)
	v_cmp_lt_i32_e32 vcc_lo, v13, v7
	s_wait_loadcnt 0x0
	v_subrev_nc_u32_e32 v9, s6, v6
	s_wait_alu 0xfffd
	v_cndmask_b32_e32 v5, v5, v0, vcc_lo
	v_cmpx_ne_u32_e64 v9, v5
	s_cbranch_execz .LBB36_33
; %bb.39:                               ;   in Loop: Header=BB36_34 Depth=1
	v_lshlrev_b64_e32 v[6:7], 4, v[13:14]
	v_ashrrev_i32_e32 v10, 31, v9
	s_mov_b32 s7, 0
	s_delay_alu instid0(VALU_DEP_1) | instskip(NEXT) | instid1(VALU_DEP_3)
	v_lshlrev_b64_e32 v[9:10], 4, v[9:10]
	v_add_co_u32 v6, vcc_lo, s12, v6
	s_wait_alu 0xfffd
	v_add_co_ci_u32_e64 v7, null, s13, v7, vcc_lo
	global_load_b128 v[18:21], v[6:7], off
	v_ashrrev_i32_e32 v6, 31, v5
	s_delay_alu instid0(VALU_DEP_1) | instskip(NEXT) | instid1(VALU_DEP_1)
	v_lshlrev_b64_e32 v[5:6], 4, v[5:6]
	v_add_co_u32 v5, vcc_lo, s14, v5
	s_wait_alu 0xfffd
	s_delay_alu instid0(VALU_DEP_2)
	v_add_co_ci_u32_e64 v6, null, s15, v6, vcc_lo
	v_add_co_u32 v14, vcc_lo, s18, v9
	s_wait_alu 0xfffd
	v_add_co_ci_u32_e64 v15, null, s19, v10, vcc_lo
	global_load_b128 v[5:8], v[5:6], off
	global_load_b64 v[11:12], v[14:15], off
	s_wait_loadcnt 0x2
	v_xor_b32_e32 v0, 0x80000000, v21
	s_delay_alu instid0(VALU_DEP_1) | instskip(NEXT) | instid1(VALU_DEP_1)
	v_cndmask_b32_e64 v21, v21, v0, s2
	v_mul_f64_e32 v[9:10], v[1:2], v[20:21]
	v_mul_f64_e64 v[20:21], v[20:21], -v[3:4]
	s_delay_alu instid0(VALU_DEP_2) | instskip(NEXT) | instid1(VALU_DEP_2)
	v_fma_f64 v[16:17], v[3:4], v[18:19], v[9:10]
	v_fma_f64 v[18:19], v[1:2], v[18:19], v[20:21]
	s_wait_loadcnt 0x1
	s_delay_alu instid0(VALU_DEP_2) | instskip(NEXT) | instid1(VALU_DEP_1)
	v_mul_f64_e64 v[9:10], v[7:8], -v[16:17]
	v_fma_f64 v[20:21], v[18:19], v[5:6], v[9:10]
.LBB36_40:                              ;   Parent Loop BB36_34 Depth=1
                                        ; =>  This Inner Loop Header: Depth=2
	s_wait_loadcnt 0x0
	s_delay_alu instid0(VALU_DEP_1)
	v_add_f64_e32 v[9:10], v[11:12], v[20:21]
	global_atomic_cmpswap_b64 v[9:10], v[14:15], v[9:12], off th:TH_ATOMIC_RETURN scope:SCOPE_DEV
	s_wait_loadcnt 0x0
	v_cmp_eq_u64_e32 vcc_lo, v[9:10], v[11:12]
	v_dual_mov_b32 v12, v10 :: v_dual_mov_b32 v11, v9
	s_wait_alu 0xfffe
	s_or_b32 s7, vcc_lo, s7
	s_wait_alu 0xfffe
	s_and_not1_b32 exec_lo, exec_lo, s7
	s_cbranch_execnz .LBB36_40
; %bb.41:                               ;   in Loop: Header=BB36_34 Depth=1
	s_or_b32 exec_lo, exec_lo, s7
	global_load_b64 v[9:10], v[14:15], off offset:8
	v_mul_f64_e32 v[7:8], v[7:8], v[18:19]
	s_mov_b32 s7, 0
	s_delay_alu instid0(VALU_DEP_1)
	v_fma_f64 v[5:6], v[16:17], v[5:6], v[7:8]
.LBB36_42:                              ;   Parent Loop BB36_34 Depth=1
                                        ; =>  This Inner Loop Header: Depth=2
	s_wait_loadcnt 0x0
	s_delay_alu instid0(VALU_DEP_1)
	v_add_f64_e32 v[7:8], v[9:10], v[5:6]
	global_atomic_cmpswap_b64 v[7:8], v[14:15], v[7:10], off offset:8 th:TH_ATOMIC_RETURN scope:SCOPE_DEV
	s_wait_loadcnt 0x0
	v_cmp_eq_u64_e32 vcc_lo, v[7:8], v[9:10]
	v_dual_mov_b32 v10, v8 :: v_dual_mov_b32 v9, v7
	s_wait_alu 0xfffe
	s_or_b32 s7, vcc_lo, s7
	s_wait_alu 0xfffe
	s_and_not1_b32 exec_lo, exec_lo, s7
	s_cbranch_execnz .LBB36_42
	s_branch .LBB36_33
.LBB36_43:
	s_endpgm
	.section	.rodata,"a",@progbits
	.p2align	6, 0x0
	.amdhsa_kernel _ZL33csrmvn_symm_large_adaptive_kernelIii21rocsparse_complex_numIdES1_S1_S1_EvbT_PKS2_N9rocsparse24const_host_device_scalarIT4_EES4_PKT0_PKT1_PKT2_S8_PT3_21rocsparse_index_base_b
		.amdhsa_group_segment_fixed_size 16384
		.amdhsa_private_segment_fixed_size 0
		.amdhsa_kernarg_size 96
		.amdhsa_user_sgpr_count 2
		.amdhsa_user_sgpr_dispatch_ptr 0
		.amdhsa_user_sgpr_queue_ptr 0
		.amdhsa_user_sgpr_kernarg_segment_ptr 1
		.amdhsa_user_sgpr_dispatch_id 0
		.amdhsa_user_sgpr_private_segment_size 0
		.amdhsa_wavefront_size32 1
		.amdhsa_uses_dynamic_stack 0
		.amdhsa_enable_private_segment 0
		.amdhsa_system_sgpr_workgroup_id_x 1
		.amdhsa_system_sgpr_workgroup_id_y 0
		.amdhsa_system_sgpr_workgroup_id_z 0
		.amdhsa_system_sgpr_workgroup_info 0
		.amdhsa_system_vgpr_workitem_id 0
		.amdhsa_next_free_vgpr 25
		.amdhsa_next_free_sgpr 28
		.amdhsa_reserve_vcc 1
		.amdhsa_float_round_mode_32 0
		.amdhsa_float_round_mode_16_64 0
		.amdhsa_float_denorm_mode_32 3
		.amdhsa_float_denorm_mode_16_64 3
		.amdhsa_fp16_overflow 0
		.amdhsa_workgroup_processor_mode 1
		.amdhsa_memory_ordered 1
		.amdhsa_forward_progress 1
		.amdhsa_inst_pref_size 22
		.amdhsa_round_robin_scheduling 0
		.amdhsa_exception_fp_ieee_invalid_op 0
		.amdhsa_exception_fp_denorm_src 0
		.amdhsa_exception_fp_ieee_div_zero 0
		.amdhsa_exception_fp_ieee_overflow 0
		.amdhsa_exception_fp_ieee_underflow 0
		.amdhsa_exception_fp_ieee_inexact 0
		.amdhsa_exception_int_div_zero 0
	.end_amdhsa_kernel
	.section	.text._ZL33csrmvn_symm_large_adaptive_kernelIii21rocsparse_complex_numIdES1_S1_S1_EvbT_PKS2_N9rocsparse24const_host_device_scalarIT4_EES4_PKT0_PKT1_PKT2_S8_PT3_21rocsparse_index_base_b,"axG",@progbits,_ZL33csrmvn_symm_large_adaptive_kernelIii21rocsparse_complex_numIdES1_S1_S1_EvbT_PKS2_N9rocsparse24const_host_device_scalarIT4_EES4_PKT0_PKT1_PKT2_S8_PT3_21rocsparse_index_base_b,comdat
.Lfunc_end36:
	.size	_ZL33csrmvn_symm_large_adaptive_kernelIii21rocsparse_complex_numIdES1_S1_S1_EvbT_PKS2_N9rocsparse24const_host_device_scalarIT4_EES4_PKT0_PKT1_PKT2_S8_PT3_21rocsparse_index_base_b, .Lfunc_end36-_ZL33csrmvn_symm_large_adaptive_kernelIii21rocsparse_complex_numIdES1_S1_S1_EvbT_PKS2_N9rocsparse24const_host_device_scalarIT4_EES4_PKT0_PKT1_PKT2_S8_PT3_21rocsparse_index_base_b
                                        ; -- End function
	.set _ZL33csrmvn_symm_large_adaptive_kernelIii21rocsparse_complex_numIdES1_S1_S1_EvbT_PKS2_N9rocsparse24const_host_device_scalarIT4_EES4_PKT0_PKT1_PKT2_S8_PT3_21rocsparse_index_base_b.num_vgpr, 25
	.set _ZL33csrmvn_symm_large_adaptive_kernelIii21rocsparse_complex_numIdES1_S1_S1_EvbT_PKS2_N9rocsparse24const_host_device_scalarIT4_EES4_PKT0_PKT1_PKT2_S8_PT3_21rocsparse_index_base_b.num_agpr, 0
	.set _ZL33csrmvn_symm_large_adaptive_kernelIii21rocsparse_complex_numIdES1_S1_S1_EvbT_PKS2_N9rocsparse24const_host_device_scalarIT4_EES4_PKT0_PKT1_PKT2_S8_PT3_21rocsparse_index_base_b.numbered_sgpr, 28
	.set _ZL33csrmvn_symm_large_adaptive_kernelIii21rocsparse_complex_numIdES1_S1_S1_EvbT_PKS2_N9rocsparse24const_host_device_scalarIT4_EES4_PKT0_PKT1_PKT2_S8_PT3_21rocsparse_index_base_b.num_named_barrier, 0
	.set _ZL33csrmvn_symm_large_adaptive_kernelIii21rocsparse_complex_numIdES1_S1_S1_EvbT_PKS2_N9rocsparse24const_host_device_scalarIT4_EES4_PKT0_PKT1_PKT2_S8_PT3_21rocsparse_index_base_b.private_seg_size, 0
	.set _ZL33csrmvn_symm_large_adaptive_kernelIii21rocsparse_complex_numIdES1_S1_S1_EvbT_PKS2_N9rocsparse24const_host_device_scalarIT4_EES4_PKT0_PKT1_PKT2_S8_PT3_21rocsparse_index_base_b.uses_vcc, 1
	.set _ZL33csrmvn_symm_large_adaptive_kernelIii21rocsparse_complex_numIdES1_S1_S1_EvbT_PKS2_N9rocsparse24const_host_device_scalarIT4_EES4_PKT0_PKT1_PKT2_S8_PT3_21rocsparse_index_base_b.uses_flat_scratch, 0
	.set _ZL33csrmvn_symm_large_adaptive_kernelIii21rocsparse_complex_numIdES1_S1_S1_EvbT_PKS2_N9rocsparse24const_host_device_scalarIT4_EES4_PKT0_PKT1_PKT2_S8_PT3_21rocsparse_index_base_b.has_dyn_sized_stack, 0
	.set _ZL33csrmvn_symm_large_adaptive_kernelIii21rocsparse_complex_numIdES1_S1_S1_EvbT_PKS2_N9rocsparse24const_host_device_scalarIT4_EES4_PKT0_PKT1_PKT2_S8_PT3_21rocsparse_index_base_b.has_recursion, 0
	.set _ZL33csrmvn_symm_large_adaptive_kernelIii21rocsparse_complex_numIdES1_S1_S1_EvbT_PKS2_N9rocsparse24const_host_device_scalarIT4_EES4_PKT0_PKT1_PKT2_S8_PT3_21rocsparse_index_base_b.has_indirect_call, 0
	.section	.AMDGPU.csdata,"",@progbits
; Kernel info:
; codeLenInByte = 2804
; TotalNumSgprs: 30
; NumVgprs: 25
; ScratchSize: 0
; MemoryBound: 0
; FloatMode: 240
; IeeeMode: 1
; LDSByteSize: 16384 bytes/workgroup (compile time only)
; SGPRBlocks: 0
; VGPRBlocks: 3
; NumSGPRsForWavesPerEU: 30
; NumVGPRsForWavesPerEU: 25
; Occupancy: 16
; WaveLimiterHint : 1
; COMPUTE_PGM_RSRC2:SCRATCH_EN: 0
; COMPUTE_PGM_RSRC2:USER_SGPR: 2
; COMPUTE_PGM_RSRC2:TRAP_HANDLER: 0
; COMPUTE_PGM_RSRC2:TGID_X_EN: 1
; COMPUTE_PGM_RSRC2:TGID_Y_EN: 0
; COMPUTE_PGM_RSRC2:TGID_Z_EN: 0
; COMPUTE_PGM_RSRC2:TIDIG_COMP_CNT: 0
	.section	.text._ZN9rocsparseL22csrmvn_adaptive_kernelIli21rocsparse_complex_numIdES2_S2_S2_EEvbT_PKS3_PjPKT0_NS_24const_host_device_scalarIT4_EES5_S9_PKT1_PKT2_SC_PT3_21rocsparse_index_base_b,"axG",@progbits,_ZN9rocsparseL22csrmvn_adaptive_kernelIli21rocsparse_complex_numIdES2_S2_S2_EEvbT_PKS3_PjPKT0_NS_24const_host_device_scalarIT4_EES5_S9_PKT1_PKT2_SC_PT3_21rocsparse_index_base_b,comdat
	.globl	_ZN9rocsparseL22csrmvn_adaptive_kernelIli21rocsparse_complex_numIdES2_S2_S2_EEvbT_PKS3_PjPKT0_NS_24const_host_device_scalarIT4_EES5_S9_PKT1_PKT2_SC_PT3_21rocsparse_index_base_b ; -- Begin function _ZN9rocsparseL22csrmvn_adaptive_kernelIli21rocsparse_complex_numIdES2_S2_S2_EEvbT_PKS3_PjPKT0_NS_24const_host_device_scalarIT4_EES5_S9_PKT1_PKT2_SC_PT3_21rocsparse_index_base_b
	.p2align	8
	.type	_ZN9rocsparseL22csrmvn_adaptive_kernelIli21rocsparse_complex_numIdES2_S2_S2_EEvbT_PKS3_PjPKT0_NS_24const_host_device_scalarIT4_EES5_S9_PKT1_PKT2_SC_PT3_21rocsparse_index_base_b,@function
_ZN9rocsparseL22csrmvn_adaptive_kernelIli21rocsparse_complex_numIdES2_S2_S2_EEvbT_PKS3_PjPKT0_NS_24const_host_device_scalarIT4_EES5_S9_PKT1_PKT2_SC_PT3_21rocsparse_index_base_b: ; @_ZN9rocsparseL22csrmvn_adaptive_kernelIli21rocsparse_complex_numIdES2_S2_S2_EEvbT_PKS3_PjPKT0_NS_24const_host_device_scalarIT4_EES5_S9_PKT1_PKT2_SC_PT3_21rocsparse_index_base_b
; %bb.0:
	s_clause 0x1
	s_load_b64 s[34:35], s[0:1], 0x70
	s_load_b64 s[2:3], s[0:1], 0x28
	s_add_nc_u64 s[4:5], s[0:1], 40
	s_load_b64 s[6:7], s[0:1], 0x58
	s_wait_kmcnt 0x0
	s_bitcmp1_b32 s35, 0
	s_cselect_b32 s2, s4, s2
	s_cselect_b32 s3, s5, s3
	s_delay_alu instid0(SALU_CYCLE_1)
	v_dual_mov_b32 v1, s2 :: v_dual_mov_b32 v2, s3
	s_add_nc_u64 s[2:3], s[0:1], 0x58
	s_wait_alu 0xfffe
	s_cselect_b32 s2, s2, s6
	s_cselect_b32 s3, s3, s7
	flat_load_b128 v[5:8], v[1:2]
	s_wait_alu 0xfffe
	v_dual_mov_b32 v1, s2 :: v_dual_mov_b32 v2, s3
	flat_load_b128 v[1:4], v[1:2]
	s_wait_loadcnt_dscnt 0x101
	v_cmp_eq_f64_e32 vcc_lo, 0, v[5:6]
	v_cmp_eq_f64_e64 s2, 0, v[7:8]
	s_and_b32 s4, vcc_lo, s2
	s_mov_b32 s2, -1
	s_and_saveexec_b32 s3, s4
	s_cbranch_execz .LBB37_2
; %bb.1:
	s_wait_loadcnt_dscnt 0x0
	v_cmp_neq_f64_e32 vcc_lo, 1.0, v[1:2]
	v_cmp_neq_f64_e64 s2, 0, v[3:4]
	s_wait_alu 0xfffe
	s_or_b32 s2, vcc_lo, s2
	s_wait_alu 0xfffe
	s_or_not1_b32 s2, s2, exec_lo
.LBB37_2:
	s_wait_alu 0xfffe
	s_or_b32 exec_lo, exec_lo, s3
	s_and_saveexec_b32 s3, s2
	s_cbranch_execz .LBB37_117
; %bb.3:
	s_clause 0x2
	s_load_b64 s[4:5], s[0:1], 0x20
	s_load_b32 s2, s[0:1], 0x0
	s_load_b64 s[6:7], s[0:1], 0x10
	s_mov_b32 s36, ttmp9
	s_mov_b32 s3, -1
	s_wait_kmcnt 0x0
	s_bitcmp1_b32 s2, 0
	s_cselect_b32 s2, -1, 0
	s_ashr_i32 s37, ttmp9, 31
	s_delay_alu instid0(SALU_CYCLE_1)
	s_lshl_b64 s[8:9], s[36:37], 3
	s_lshl_b64 s[38:39], s[36:37], 2
	s_add_nc_u64 s[6:7], s[6:7], s[8:9]
	s_load_b128 s[20:23], s[6:7], 0x0
	s_clause 0x1
	s_load_b256 s[12:19], s[0:1], 0x38
	s_load_b64 s[24:25], s[0:1], 0x68
	s_add_nc_u64 s[4:5], s[4:5], s[38:39]
	s_wait_kmcnt 0x0
	s_lshl_b64 s[6:7], s[20:21], 3
	s_delay_alu instid0(SALU_CYCLE_1) | instskip(SKIP_3) | instid1(SALU_CYCLE_1)
	s_add_nc_u64 s[28:29], s[12:13], s[6:7]
	s_load_b32 s26, s[4:5], 0x0
	s_load_b64 s[30:31], s[28:29], 0x0
	s_sub_co_i32 s4, s22, s20
	s_cmp_lt_i32 s4, 2
	s_cbranch_scc0 .LBB37_73
; %bb.4:
	s_cmp_lg_u32 s4, 1
	s_cselect_b32 s3, -1, 0
	s_wait_kmcnt 0x0
	s_cmp_lg_u32 s26, 0
	s_cselect_b32 s4, -1, 0
	s_wait_alu 0xfffe
	s_or_b32 s3, s3, s4
	s_wait_alu 0xfffe
	s_and_b32 vcc_lo, exec_lo, s3
	s_mov_b32 s3, -1
	s_cbranch_vccnz .LBB37_33
; %bb.5:
	v_cmp_le_i64_e64 s3, s[22:23], s[20:21]
	s_wait_alu 0xfffe
	s_and_b32 vcc_lo, exec_lo, s3
	s_cbranch_vccnz .LBB37_32
; %bb.6:
	s_wait_loadcnt_dscnt 0x0
	v_cmp_neq_f64_e32 vcc_lo, 0, v[1:2]
	v_cmp_neq_f64_e64 s11, 0, v[3:4]
	v_sub_co_u32 v20, s3, v0, s34
	v_dual_mov_b32 v19, 0 :: v_dual_lshlrev_b32 v22, 4, v0
	s_wait_alu 0xf1ff
	v_sub_co_ci_u32_e64 v21, null, 0, 0, s3
	v_cmp_gt_u32_e64 s3, 0x80, v0
	v_cmp_gt_u32_e64 s4, 64, v0
	;; [unrolled: 1-line block ×7, first 2 shown]
	v_cmp_eq_u32_e64 s10, 0, v0
	s_mov_b32 s35, 0
	s_add_nc_u64 s[40:41], s[16:17], 8
	s_mov_b64 s[42:43], s[20:21]
	s_or_b32 s27, vcc_lo, s11
	s_branch .LBB37_9
.LBB37_7:                               ;   in Loop: Header=BB37_9 Depth=1
	s_or_b32 exec_lo, exec_lo, s33
	s_lshl_b64 s[44:45], s[42:43], 4
	s_wait_alu 0xfffe
	s_add_nc_u64 s[44:45], s[24:25], s[44:45]
	s_wait_dscnt 0x0
	global_store_b128 v19, v[9:12], s[44:45]
.LBB37_8:                               ;   in Loop: Header=BB37_9 Depth=1
	s_wait_alu 0xfffe
	s_or_b32 exec_lo, exec_lo, s11
	s_add_nc_u64 s[42:43], s[42:43], 1
	s_wait_alu 0xfffe
	v_cmp_ge_i64_e64 s11, s[42:43], s[22:23]
	s_and_b32 vcc_lo, exec_lo, s11
	s_wait_alu 0xfffe
	s_cbranch_vccnz .LBB37_32
.LBB37_9:                               ; =>This Loop Header: Depth=1
                                        ;     Child Loop BB37_11 Depth 2
	s_lshl_b64 s[44:45], s[42:43], 3
	v_mov_b32_e32 v11, 0
	s_wait_alu 0xfffe
	s_add_nc_u64 s[44:45], s[12:13], s[44:45]
	v_dual_mov_b32 v12, 0 :: v_dual_mov_b32 v9, 0
	s_load_b128 s[44:47], s[44:45], 0x0
	v_mov_b32_e32 v10, 0
	s_mov_b32 s33, exec_lo
	s_wait_kmcnt 0x0
	v_add_co_u32 v13, vcc_lo, s44, v20
	s_wait_alu 0xfffd
	v_add_co_ci_u32_e64 v14, null, s45, v21, vcc_lo
	s_sub_nc_u64 s[44:45], s[46:47], s[34:35]
	s_wait_alu 0xfffe
	v_cmpx_gt_i64_e64 s[44:45], v[13:14]
	s_cbranch_execz .LBB37_13
; %bb.10:                               ;   in Loop: Header=BB37_9 Depth=1
	v_lshlrev_b64_e32 v[9:10], 4, v[13:14]
	v_lshlrev_b64_e32 v[17:18], 2, v[13:14]
	v_mov_b32_e32 v11, 0
	v_mov_b32_e32 v12, 0
	s_mov_b32 s37, 0
	s_delay_alu instid0(VALU_DEP_4)
	v_add_co_u32 v15, vcc_lo, s40, v9
	s_wait_alu 0xfffd
	v_add_co_ci_u32_e64 v16, null, s41, v10, vcc_lo
	v_add_co_u32 v17, vcc_lo, s14, v17
	s_wait_alu 0xfffd
	v_add_co_ci_u32_e64 v18, null, s15, v18, vcc_lo
	v_dual_mov_b32 v9, v11 :: v_dual_mov_b32 v10, v12
.LBB37_11:                              ;   Parent Loop BB37_9 Depth=1
                                        ; =>  This Inner Loop Header: Depth=2
	global_load_b32 v27, v[17:18], off
	global_load_b128 v[23:26], v[15:16], off offset:-8
	v_add_co_u32 v17, s11, 0x400, v17
	s_wait_alu 0xf1ff
	v_add_co_ci_u32_e64 v18, null, 0, v18, s11
	s_wait_loadcnt 0x1
	v_subrev_nc_u32_e32 v27, s34, v27
	s_wait_loadcnt 0x0
	v_xor_b32_e32 v31, 0x80000000, v26
	s_delay_alu instid0(VALU_DEP_2) | instskip(NEXT) | instid1(VALU_DEP_2)
	v_ashrrev_i32_e32 v28, 31, v27
	v_cndmask_b32_e64 v26, v26, v31, s2
	s_delay_alu instid0(VALU_DEP_2) | instskip(NEXT) | instid1(VALU_DEP_2)
	v_lshlrev_b64_e32 v[27:28], 4, v[27:28]
	v_mul_f64_e64 v[31:32], v[25:26], -v[7:8]
	v_mul_f64_e32 v[25:26], v[5:6], v[25:26]
	s_delay_alu instid0(VALU_DEP_3) | instskip(SKIP_1) | instid1(VALU_DEP_4)
	v_add_co_u32 v27, vcc_lo, s18, v27
	s_wait_alu 0xfffd
	v_add_co_ci_u32_e64 v28, null, s19, v28, vcc_lo
	v_add_co_u32 v13, vcc_lo, 0x100, v13
	s_wait_alu 0xfffd
	v_add_co_ci_u32_e64 v14, null, 0, v14, vcc_lo
	global_load_b128 v[27:30], v[27:28], off
	v_add_co_u32 v15, vcc_lo, 0x1000, v15
	s_wait_alu 0xfffd
	v_add_co_ci_u32_e64 v16, null, 0, v16, vcc_lo
	v_cmp_le_i64_e32 vcc_lo, s[44:45], v[13:14]
	s_or_b32 s37, vcc_lo, s37
	v_fma_f64 v[31:32], v[5:6], v[23:24], v[31:32]
	v_fma_f64 v[23:24], v[7:8], v[23:24], v[25:26]
	s_wait_loadcnt 0x0
	s_delay_alu instid0(VALU_DEP_2) | instskip(NEXT) | instid1(VALU_DEP_2)
	v_fma_f64 v[9:10], v[31:32], v[27:28], v[9:10]
	v_fma_f64 v[11:12], v[23:24], v[27:28], v[11:12]
	s_delay_alu instid0(VALU_DEP_2) | instskip(NEXT) | instid1(VALU_DEP_2)
	v_fma_f64 v[9:10], -v[23:24], v[29:30], v[9:10]
	v_fma_f64 v[11:12], v[31:32], v[29:30], v[11:12]
	s_and_not1_b32 exec_lo, exec_lo, s37
	s_cbranch_execnz .LBB37_11
; %bb.12:                               ;   in Loop: Header=BB37_9 Depth=1
	s_or_b32 exec_lo, exec_lo, s37
.LBB37_13:                              ;   in Loop: Header=BB37_9 Depth=1
	s_delay_alu instid0(SALU_CYCLE_1)
	s_or_b32 exec_lo, exec_lo, s33
	ds_store_b128 v22, v[9:12]
	s_wait_dscnt 0x0
	s_barrier_signal -1
	s_barrier_wait -1
	global_inv scope:SCOPE_SE
	s_and_saveexec_b32 s11, s3
	s_cbranch_execz .LBB37_15
; %bb.14:                               ;   in Loop: Header=BB37_9 Depth=1
	ds_load_b128 v[9:12], v22 offset:2048
	ds_load_b128 v[13:16], v22
	s_wait_dscnt 0x0
	v_add_f64_e32 v[9:10], v[9:10], v[13:14]
	v_add_f64_e32 v[11:12], v[11:12], v[15:16]
	ds_store_b128 v22, v[9:12]
.LBB37_15:                              ;   in Loop: Header=BB37_9 Depth=1
	s_wait_alu 0xfffe
	s_or_b32 exec_lo, exec_lo, s11
	s_wait_loadcnt_dscnt 0x0
	s_barrier_signal -1
	s_barrier_wait -1
	global_inv scope:SCOPE_SE
	s_and_saveexec_b32 s11, s4
	s_cbranch_execz .LBB37_17
; %bb.16:                               ;   in Loop: Header=BB37_9 Depth=1
	ds_load_b128 v[9:12], v22 offset:1024
	ds_load_b128 v[13:16], v22
	s_wait_dscnt 0x0
	v_add_f64_e32 v[9:10], v[9:10], v[13:14]
	v_add_f64_e32 v[11:12], v[11:12], v[15:16]
	ds_store_b128 v22, v[9:12]
.LBB37_17:                              ;   in Loop: Header=BB37_9 Depth=1
	s_wait_alu 0xfffe
	s_or_b32 exec_lo, exec_lo, s11
	s_wait_loadcnt_dscnt 0x0
	;; [unrolled: 16-line block ×6, first 2 shown]
	s_barrier_signal -1
	s_barrier_wait -1
	global_inv scope:SCOPE_SE
	s_and_saveexec_b32 s11, s9
	s_cbranch_execz .LBB37_27
; %bb.26:                               ;   in Loop: Header=BB37_9 Depth=1
	ds_load_b128 v[9:12], v22
	ds_load_b128 v[13:16], v22 offset:32
	s_wait_dscnt 0x0
	v_add_f64_e32 v[9:10], v[13:14], v[9:10]
	v_add_f64_e32 v[11:12], v[15:16], v[11:12]
	ds_store_b128 v22, v[9:12]
.LBB37_27:                              ;   in Loop: Header=BB37_9 Depth=1
	s_wait_alu 0xfffe
	s_or_b32 exec_lo, exec_lo, s11
	s_wait_loadcnt_dscnt 0x0
	s_barrier_signal -1
	s_barrier_wait -1
	global_inv scope:SCOPE_SE
	s_and_saveexec_b32 s11, s10
	s_cbranch_execz .LBB37_29
; %bb.28:                               ;   in Loop: Header=BB37_9 Depth=1
	ds_load_b128 v[9:12], v19
	ds_load_b128 v[13:16], v19 offset:16
	s_wait_dscnt 0x0
	v_add_f64_e32 v[9:10], v[13:14], v[9:10]
	v_add_f64_e32 v[11:12], v[15:16], v[11:12]
	ds_store_b128 v19, v[9:12]
.LBB37_29:                              ;   in Loop: Header=BB37_9 Depth=1
	s_wait_alu 0xfffe
	s_or_b32 exec_lo, exec_lo, s11
	s_wait_loadcnt_dscnt 0x0
	s_barrier_signal -1
	s_barrier_wait -1
	global_inv scope:SCOPE_SE
	s_and_saveexec_b32 s11, s10
	s_cbranch_execz .LBB37_8
; %bb.30:                               ;   in Loop: Header=BB37_9 Depth=1
	ds_load_b128 v[9:12], v19
	s_and_saveexec_b32 s33, s27
	s_cbranch_execz .LBB37_7
; %bb.31:                               ;   in Loop: Header=BB37_9 Depth=1
	s_lshl_b64 s[44:45], s[42:43], 4
	s_wait_alu 0xfffe
	s_add_nc_u64 s[44:45], s[24:25], s[44:45]
	global_load_b128 v[13:16], v19, s[44:45]
	s_wait_loadcnt_dscnt 0x0
	v_fma_f64 v[9:10], v[1:2], v[13:14], v[9:10]
	v_fma_f64 v[11:12], v[3:4], v[13:14], v[11:12]
	s_delay_alu instid0(VALU_DEP_2) | instskip(NEXT) | instid1(VALU_DEP_2)
	v_fma_f64 v[9:10], -v[3:4], v[15:16], v[9:10]
	v_fma_f64 v[11:12], v[1:2], v[15:16], v[11:12]
	s_branch .LBB37_7
.LBB37_32:
	s_mov_b32 s3, 0
.LBB37_33:
	s_wait_alu 0xfffe
	s_and_not1_b32 vcc_lo, exec_lo, s3
	s_wait_alu 0xfffe
	s_cbranch_vccnz .LBB37_72
; %bb.34:
	s_load_b64 s[6:7], s[0:1], 0x18
	v_mov_b32_e32 v13, 0
	v_mov_b32_e32 v9, 0
	v_dual_mov_b32 v10, 0 :: v_dual_mov_b32 v11, 0
	v_or_b32_e32 v14, s26, v0
	v_mov_b32_e32 v12, 0
	s_sub_co_i32 s8, s36, s26
	s_mov_b32 s35, 0
	s_mov_b32 s3, exec_lo
	s_wait_kmcnt 0x0
	s_add_nc_u64 s[4:5], s[6:7], s[38:39]
	global_load_b32 v19, v13, s[4:5]
	v_cmpx_eq_u32_e32 0, v14
	s_cbranch_execz .LBB37_38
; %bb.35:
	s_lshl_b64 s[10:11], s[20:21], 4
	s_wait_loadcnt_dscnt 0x100
	v_add_f64_e32 v[9:10], -1.0, v[1:2]
	s_wait_alu 0xfffe
	s_add_nc_u64 s[10:11], s[24:25], s[10:11]
	s_mov_b32 s9, exec_lo
	global_load_b128 v[11:14], v13, s[10:11]
	v_mbcnt_lo_u32_b32 v17, s9, 0
	s_mov_b32 s10, exec_lo
	s_wait_loadcnt 0x0
	s_wait_storecnt 0x0
	global_inv scope:SCOPE_DEV
	v_mul_f64_e64 v[15:16], v[13:14], -v[3:4]
	v_mul_f64_e32 v[13:14], v[9:10], v[13:14]
	v_cmpx_eq_u32_e32 0, v17
	s_cbranch_execz .LBB37_37
; %bb.36:
	s_bcnt1_i32_b32 s11, s9
	s_ashr_i32 s9, s8, 31
	s_wait_alu 0xfffe
	s_and_b32 s11, s11, 1
	s_wait_alu 0xfffe
	v_dual_mov_b32 v17, 0 :: v_dual_mov_b32 v18, s11
	s_lshl_b64 s[36:37], s[8:9], 2
	s_delay_alu instid0(SALU_CYCLE_1)
	s_add_nc_u64 s[36:37], s[6:7], s[36:37]
	global_atomic_xor_b32 v17, v18, s[36:37] scope:SCOPE_DEV
.LBB37_37:
	s_wait_alu 0xfffe
	s_or_b32 exec_lo, exec_lo, s10
	s_delay_alu instid0(VALU_DEP_3) | instskip(NEXT) | instid1(VALU_DEP_3)
	v_fma_f64 v[9:10], v[9:10], v[11:12], v[15:16]
	v_fma_f64 v[11:12], v[3:4], v[11:12], v[13:14]
.LBB37_38:
	s_wait_alu 0xfffe
	s_or_b32 exec_lo, exec_lo, s3
	s_load_b64 s[10:11], s[28:29], 0x8
	s_ashr_i32 s27, s26, 31
	s_sub_nc_u64 s[38:39], s[30:31], s[34:35]
	s_wait_alu 0xfffe
	s_mul_u64 s[36:37], s[26:27], 0xc00
	s_mov_b32 s9, exec_lo
	s_add_nc_u64 s[36:37], s[38:39], s[36:37]
	s_delay_alu instid0(SALU_CYCLE_1)
	v_add_co_u32 v13, s3, s36, v0
	s_wait_alu 0xf1ff
	v_add_co_ci_u32_e64 v14, null, s37, 0, s3
	s_wait_kmcnt 0x0
	s_sub_nc_u64 s[10:11], s[10:11], s[34:35]
	s_wait_alu 0xfffe
	s_delay_alu instid0(VALU_DEP_1)
	v_cmpx_gt_i64_e64 s[10:11], v[13:14]
	s_cbranch_execz .LBB37_42
; %bb.39:
	v_lshlrev_b64_e32 v[15:16], 4, v[13:14]
	v_lshlrev_b64_e32 v[17:18], 2, v[13:14]
	s_add_nc_u64 s[36:37], s[36:37], 0xc00
	s_mov_b32 s27, 0
	s_wait_alu 0xfffe
	v_cmp_lt_i64_e64 s3, s[36:37], s[10:11]
	v_add_co_u32 v15, vcc_lo, s16, v15
	s_wait_alu 0xfffd
	v_add_co_ci_u32_e64 v16, null, s17, v16, vcc_lo
	s_and_b32 s3, s3, exec_lo
	v_add_co_u32 v15, vcc_lo, v15, 8
	s_wait_alu 0xfffd
	v_add_co_ci_u32_e64 v16, null, 0, v16, vcc_lo
	v_add_co_u32 v17, vcc_lo, s14, v17
	s_wait_alu 0xfffd
	v_add_co_ci_u32_e64 v18, null, s15, v18, vcc_lo
	s_cselect_b32 s11, s37, s11
	s_cselect_b32 s10, s36, s10
.LBB37_40:                              ; =>This Inner Loop Header: Depth=1
	global_load_b32 v24, v[17:18], off
	global_load_b128 v[20:23], v[15:16], off offset:-8
	v_add_co_u32 v17, s3, 0x400, v17
	s_wait_alu 0xf1fe
	v_add_co_ci_u32_e64 v18, null, 0, v18, s3
	s_wait_loadcnt 0x1
	v_subrev_nc_u32_e32 v24, s34, v24
	s_wait_loadcnt 0x0
	v_xor_b32_e32 v28, 0x80000000, v23
	s_delay_alu instid0(VALU_DEP_2) | instskip(NEXT) | instid1(VALU_DEP_2)
	v_ashrrev_i32_e32 v25, 31, v24
	v_cndmask_b32_e64 v23, v23, v28, s2
	s_delay_alu instid0(VALU_DEP_2) | instskip(NEXT) | instid1(VALU_DEP_2)
	v_lshlrev_b64_e32 v[24:25], 4, v[24:25]
	v_mul_f64_e64 v[28:29], v[22:23], -v[7:8]
	v_mul_f64_e32 v[22:23], v[5:6], v[22:23]
	s_delay_alu instid0(VALU_DEP_3) | instskip(SKIP_1) | instid1(VALU_DEP_4)
	v_add_co_u32 v24, vcc_lo, s18, v24
	s_wait_alu 0xfffd
	v_add_co_ci_u32_e64 v25, null, s19, v25, vcc_lo
	v_add_co_u32 v13, vcc_lo, 0x100, v13
	s_wait_alu 0xfffd
	v_add_co_ci_u32_e64 v14, null, 0, v14, vcc_lo
	global_load_b128 v[24:27], v[24:25], off
	v_add_co_u32 v15, vcc_lo, 0x1000, v15
	s_wait_alu 0xfffd
	v_add_co_ci_u32_e64 v16, null, 0, v16, vcc_lo
	v_cmp_le_i64_e32 vcc_lo, s[10:11], v[13:14]
	s_or_b32 s27, vcc_lo, s27
	v_fma_f64 v[28:29], v[5:6], v[20:21], v[28:29]
	v_fma_f64 v[20:21], v[7:8], v[20:21], v[22:23]
	s_wait_loadcnt 0x0
	s_delay_alu instid0(VALU_DEP_2) | instskip(NEXT) | instid1(VALU_DEP_2)
	v_fma_f64 v[9:10], v[28:29], v[24:25], v[9:10]
	v_fma_f64 v[11:12], v[20:21], v[24:25], v[11:12]
	s_delay_alu instid0(VALU_DEP_2) | instskip(NEXT) | instid1(VALU_DEP_2)
	v_fma_f64 v[9:10], -v[20:21], v[26:27], v[9:10]
	v_fma_f64 v[11:12], v[28:29], v[26:27], v[11:12]
	s_wait_alu 0xfffe
	s_and_not1_b32 exec_lo, exec_lo, s27
	s_cbranch_execnz .LBB37_40
; %bb.41:
	s_or_b32 exec_lo, exec_lo, s27
.LBB37_42:
	s_delay_alu instid0(SALU_CYCLE_1)
	s_or_b32 exec_lo, exec_lo, s9
	v_lshlrev_b32_e32 v13, 4, v0
	s_mov_b32 s3, exec_lo
	ds_store_b128 v13, v[9:12]
	s_wait_storecnt 0x0
	s_wait_loadcnt_dscnt 0x0
	s_barrier_signal -1
	s_barrier_wait -1
	global_inv scope:SCOPE_SE
	v_cmpx_gt_u32_e32 0x80, v0
	s_cbranch_execz .LBB37_44
; %bb.43:
	ds_load_b128 v[9:12], v13 offset:2048
	ds_load_b128 v[14:17], v13
	s_wait_dscnt 0x0
	v_add_f64_e32 v[9:10], v[9:10], v[14:15]
	v_add_f64_e32 v[11:12], v[11:12], v[16:17]
	ds_store_b128 v13, v[9:12]
.LBB37_44:
	s_wait_alu 0xfffe
	s_or_b32 exec_lo, exec_lo, s3
	s_delay_alu instid0(SALU_CYCLE_1)
	s_mov_b32 s3, exec_lo
	s_wait_loadcnt_dscnt 0x0
	s_barrier_signal -1
	s_barrier_wait -1
	global_inv scope:SCOPE_SE
	v_cmpx_gt_u32_e32 64, v0
	s_cbranch_execz .LBB37_46
; %bb.45:
	ds_load_b128 v[9:12], v13 offset:1024
	ds_load_b128 v[14:17], v13
	s_wait_dscnt 0x0
	v_add_f64_e32 v[9:10], v[9:10], v[14:15]
	v_add_f64_e32 v[11:12], v[11:12], v[16:17]
	ds_store_b128 v13, v[9:12]
.LBB37_46:
	s_wait_alu 0xfffe
	s_or_b32 exec_lo, exec_lo, s3
	s_delay_alu instid0(SALU_CYCLE_1)
	s_mov_b32 s3, exec_lo
	;; [unrolled: 18-line block ×6, first 2 shown]
	s_wait_loadcnt_dscnt 0x0
	s_barrier_signal -1
	s_barrier_wait -1
	global_inv scope:SCOPE_SE
	v_cmpx_gt_u32_e32 2, v0
	s_cbranch_execz .LBB37_56
; %bb.55:
	ds_load_b128 v[9:12], v13
	ds_load_b128 v[14:17], v13 offset:32
	s_wait_dscnt 0x0
	v_add_f64_e32 v[9:10], v[14:15], v[9:10]
	v_add_f64_e32 v[11:12], v[16:17], v[11:12]
	ds_store_b128 v13, v[9:12]
.LBB37_56:
	s_wait_alu 0xfffe
	s_or_b32 exec_lo, exec_lo, s3
	v_cmp_eq_u32_e32 vcc_lo, 0, v0
	s_wait_loadcnt_dscnt 0x0
	s_barrier_signal -1
	s_barrier_wait -1
	global_inv scope:SCOPE_SE
	s_and_saveexec_b32 s3, vcc_lo
	s_cbranch_execz .LBB37_58
; %bb.57:
	v_mov_b32_e32 v17, 0
	ds_load_b128 v[9:12], v17
	ds_load_b128 v[13:16], v17 offset:16
	s_wait_dscnt 0x0
	v_add_f64_e32 v[9:10], v[13:14], v[9:10]
	v_add_f64_e32 v[11:12], v[15:16], v[11:12]
	ds_store_b128 v17, v[9:12]
.LBB37_58:
	s_wait_alu 0xfffe
	s_or_b32 exec_lo, exec_lo, s3
	s_wait_loadcnt_dscnt 0x0
	s_barrier_signal -1
	s_barrier_wait -1
	global_inv scope:SCOPE_SE
	s_and_saveexec_b32 s3, vcc_lo
	s_cbranch_execz .LBB37_71
; %bb.59:
	s_cmp_eq_u32 s26, 0
	s_cbranch_scc1 .LBB37_65
; %bb.60:
	s_ashr_i32 s9, s8, 31
	v_mov_b32_e32 v9, 0
	s_wait_alu 0xfffe
	s_lshl_b64 s[8:9], s[8:9], 2
	s_wait_alu 0xfffe
	s_add_nc_u64 s[6:7], s[6:7], s[8:9]
	s_branch .LBB37_62
.LBB37_61:                              ;   in Loop: Header=BB37_62 Depth=1
	s_wait_alu 0xfffe
	s_or_b32 exec_lo, exec_lo, s8
	s_wait_loadcnt 0x0
	v_readfirstlane_b32 s8, v10
	s_wait_alu 0xf1ff
	s_delay_alu instid0(VALU_DEP_1)
	v_cmp_eq_u32_e32 vcc_lo, s8, v19
	s_cbranch_vccz .LBB37_64
.LBB37_62:                              ; =>This Inner Loop Header: Depth=1
	v_mbcnt_lo_u32_b32 v10, exec_lo, 0
	s_delay_alu instid0(VALU_DEP_1)
	v_cmp_eq_u32_e32 vcc_lo, 0, v10
                                        ; implicit-def: $vgpr10
	s_and_saveexec_b32 s8, vcc_lo
	s_cbranch_execz .LBB37_61
; %bb.63:                               ;   in Loop: Header=BB37_62 Depth=1
	global_load_b32 v10, v9, s[6:7] scope:SCOPE_DEV
	s_branch .LBB37_61
.LBB37_64:
	v_mov_b32_e32 v9, 0
	global_load_u16 v10, v9, s[4:5]
	s_wait_loadcnt 0x0
	v_xor_b32_e32 v10, 1, v10
	global_store_b16 v9, v10, s[4:5]
.LBB37_65:
	v_mov_b32_e32 v17, 0
	s_mov_b32 s7, exec_lo
	s_lshl_b64 s[4:5], s[20:21], 4
	v_mbcnt_lo_u32_b32 v13, s7, 0
	s_add_nc_u64 s[4:5], s[24:25], s[4:5]
	ds_load_b128 v[9:12], v17
	s_mov_b32 s6, exec_lo
	v_cmpx_eq_u32_e32 0, v13
	s_cbranch_execz .LBB37_68
; %bb.66:
	global_load_b64 v[15:16], v17, s[4:5]
	s_bcnt1_i32_b32 s7, s7
	s_wait_alu 0xfffe
	v_cvt_f64_u32_e32 v[13:14], s7
	s_mov_b32 s7, 0
	s_wait_dscnt 0x0
	s_delay_alu instid0(VALU_DEP_1)
	v_mul_f64_e32 v[9:10], v[9:10], v[13:14]
.LBB37_67:                              ; =>This Inner Loop Header: Depth=1
	s_wait_loadcnt 0x0
	s_delay_alu instid0(VALU_DEP_1)
	v_add_f64_e32 v[13:14], v[15:16], v[9:10]
	global_atomic_cmpswap_b64 v[13:14], v17, v[13:16], s[4:5] th:TH_ATOMIC_RETURN scope:SCOPE_DEV
	s_wait_loadcnt 0x0
	v_cmp_eq_u64_e32 vcc_lo, v[13:14], v[15:16]
	v_dual_mov_b32 v16, v14 :: v_dual_mov_b32 v15, v13
	s_wait_alu 0xfffe
	s_or_b32 s7, vcc_lo, s7
	s_wait_alu 0xfffe
	s_and_not1_b32 exec_lo, exec_lo, s7
	s_cbranch_execnz .LBB37_67
.LBB37_68:
	s_wait_alu 0xfffe
	s_or_b32 exec_lo, exec_lo, s6
	s_delay_alu instid0(SALU_CYCLE_1) | instskip(SKIP_4) | instid1(VALU_DEP_1)
	s_mov_b32 s7, exec_lo
	s_mov_b32 s6, 0
	s_wait_dscnt 0x0
	s_wait_alu 0xfffe
	v_mbcnt_lo_u32_b32 v9, s7, 0
	v_cmp_eq_u32_e32 vcc_lo, 0, v9
	s_and_b32 s8, exec_lo, vcc_lo
	s_wait_alu 0xfffe
	s_mov_b32 exec_lo, s8
	s_cbranch_execz .LBB37_71
; %bb.69:
	v_mov_b32_e32 v15, 0
	s_bcnt1_i32_b32 s7, s7
	s_wait_alu 0xfffe
	v_cvt_f64_u32_e32 v[9:10], s7
	global_load_b64 v[13:14], v15, s[4:5] offset:8
	v_mul_f64_e32 v[9:10], v[11:12], v[9:10]
.LBB37_70:                              ; =>This Inner Loop Header: Depth=1
	s_wait_loadcnt 0x0
	s_delay_alu instid0(VALU_DEP_1)
	v_add_f64_e32 v[11:12], v[13:14], v[9:10]
	global_atomic_cmpswap_b64 v[11:12], v15, v[11:14], s[4:5] offset:8 th:TH_ATOMIC_RETURN scope:SCOPE_DEV
	s_wait_loadcnt 0x0
	v_cmp_eq_u64_e32 vcc_lo, v[11:12], v[13:14]
	v_dual_mov_b32 v14, v12 :: v_dual_mov_b32 v13, v11
	s_or_b32 s6, vcc_lo, s6
	s_wait_alu 0xfffe
	s_and_not1_b32 exec_lo, exec_lo, s6
	s_cbranch_execnz .LBB37_70
.LBB37_71:
	s_wait_alu 0xfffe
	s_or_b32 exec_lo, exec_lo, s3
.LBB37_72:
	s_mov_b32 s3, 0
.LBB37_73:
	s_wait_alu 0xfffe
	s_and_not1_b32 vcc_lo, exec_lo, s3
	s_wait_alu 0xfffe
	s_cbranch_vccnz .LBB37_117
; %bb.74:
	s_load_b64 s[0:1], s[0:1], 0x8
	v_sub_co_u32 v9, s3, v0, s34
	s_wait_alu 0xf1ff
	v_sub_co_ci_u32_e64 v10, null, 0, 0, s3
	s_mov_b32 s35, 0
	s_wait_kmcnt 0x0
	v_add_co_u32 v9, vcc_lo, s30, v9
	s_wait_alu 0xfffd
	v_add_co_ci_u32_e64 v10, null, s31, v10, vcc_lo
	s_delay_alu instid0(VALU_DEP_2) | instskip(SKIP_1) | instid1(VALU_DEP_2)
	v_add_co_u32 v11, vcc_lo, 0x300, v9
	s_wait_alu 0xfffd
	v_add_co_ci_u32_e64 v12, null, 0, v10, vcc_lo
	s_delay_alu instid0(VALU_DEP_1)
	v_cmp_le_i64_e32 vcc_lo, s[0:1], v[11:12]
	s_and_saveexec_b32 s0, vcc_lo
	s_wait_alu 0xfffe
	s_xor_b32 s1, exec_lo, s0
	s_cbranch_execz .LBB37_79
; %bb.75:
	s_lshl_b64 s[4:5], s[22:23], 3
	s_mov_b32 s3, exec_lo
	s_add_nc_u64 s[4:5], s[12:13], s[4:5]
	s_load_b64 s[4:5], s[4:5], 0x0
	s_wait_kmcnt 0x0
	s_sub_nc_u64 s[4:5], s[4:5], s[34:35]
	s_delay_alu instid0(SALU_CYCLE_1)
	v_cmpx_gt_i64_e64 s[4:5], v[9:10]
	s_cbranch_execz .LBB37_78
; %bb.76:
	v_lshlrev_b64_e32 v[11:12], 4, v[9:10]
	v_lshlrev_b64_e32 v[13:14], 2, v[9:10]
	v_lshlrev_b32_e32 v15, 4, v0
	s_mov_b32 s6, 0
	s_delay_alu instid0(VALU_DEP_3) | instskip(SKIP_2) | instid1(VALU_DEP_2)
	v_add_co_u32 v11, vcc_lo, s16, v11
	s_wait_alu 0xfffd
	v_add_co_ci_u32_e64 v12, null, s17, v12, vcc_lo
	v_add_co_u32 v11, vcc_lo, v11, 8
	s_wait_alu 0xfffd
	s_delay_alu instid0(VALU_DEP_2)
	v_add_co_ci_u32_e64 v12, null, 0, v12, vcc_lo
	v_add_co_u32 v13, vcc_lo, s14, v13
	s_wait_alu 0xfffd
	v_add_co_ci_u32_e64 v14, null, s15, v14, vcc_lo
.LBB37_77:                              ; =>This Inner Loop Header: Depth=1
	global_load_b32 v20, v[13:14], off
	global_load_b128 v[16:19], v[11:12], off offset:-8
	s_wait_loadcnt 0x1
	v_subrev_nc_u32_e32 v20, s34, v20
	s_wait_loadcnt 0x0
	v_xor_b32_e32 v24, 0x80000000, v19
	s_delay_alu instid0(VALU_DEP_2) | instskip(NEXT) | instid1(VALU_DEP_2)
	v_ashrrev_i32_e32 v21, 31, v20
	v_cndmask_b32_e64 v19, v19, v24, s2
	s_delay_alu instid0(VALU_DEP_2) | instskip(NEXT) | instid1(VALU_DEP_2)
	v_lshlrev_b64_e32 v[20:21], 4, v[20:21]
	v_mul_f64_e32 v[24:25], v[5:6], v[18:19]
	v_mul_f64_e64 v[18:19], v[18:19], -v[7:8]
	s_delay_alu instid0(VALU_DEP_3) | instskip(SKIP_1) | instid1(VALU_DEP_4)
	v_add_co_u32 v20, vcc_lo, s18, v20
	s_wait_alu 0xfffd
	v_add_co_ci_u32_e64 v21, null, s19, v21, vcc_lo
	v_add_co_u32 v9, vcc_lo, 0x100, v9
	s_wait_alu 0xfffd
	v_add_co_ci_u32_e64 v10, null, 0, v10, vcc_lo
	global_load_b128 v[20:23], v[20:21], off
	v_add_co_u32 v11, vcc_lo, 0x1000, v11
	v_cmp_le_i64_e64 s0, s[4:5], v[9:10]
	s_wait_alu 0xfffd
	v_add_co_ci_u32_e64 v12, null, 0, v12, vcc_lo
	v_add_co_u32 v13, vcc_lo, 0x400, v13
	s_wait_alu 0xfffd
	v_add_co_ci_u32_e64 v14, null, 0, v14, vcc_lo
	s_wait_alu 0xfffe
	s_or_b32 s6, s0, s6
	v_fma_f64 v[24:25], v[7:8], v[16:17], v[24:25]
	v_fma_f64 v[16:17], v[5:6], v[16:17], v[18:19]
	s_wait_loadcnt 0x0
	s_delay_alu instid0(VALU_DEP_2) | instskip(NEXT) | instid1(VALU_DEP_2)
	v_mul_f64_e64 v[18:19], v[22:23], -v[24:25]
	v_mul_f64_e32 v[22:23], v[22:23], v[16:17]
	s_delay_alu instid0(VALU_DEP_2) | instskip(NEXT) | instid1(VALU_DEP_2)
	v_fma_f64 v[16:17], v[16:17], v[20:21], v[18:19]
	v_fma_f64 v[18:19], v[24:25], v[20:21], v[22:23]
	ds_store_b128 v15, v[16:19]
	v_add_nc_u32_e32 v15, 0x1000, v15
	s_wait_alu 0xfffe
	s_and_not1_b32 exec_lo, exec_lo, s6
	s_cbranch_execnz .LBB37_77
.LBB37_78:
	s_or_b32 exec_lo, exec_lo, s3
                                        ; implicit-def: $vgpr9_vgpr10
                                        ; implicit-def: $vgpr7_vgpr8
.LBB37_79:
	s_wait_alu 0xfffe
	s_or_saveexec_b32 s0, s1
	v_lshlrev_b32_e32 v15, 4, v0
	s_wait_alu 0xfffe
	s_xor_b32 exec_lo, exec_lo, s0
	s_cbranch_execz .LBB37_81
; %bb.80:
	v_lshlrev_b64_e32 v[11:12], 2, v[9:10]
	v_lshlrev_b64_e32 v[9:10], 4, v[9:10]
	s_delay_alu instid0(VALU_DEP_2) | instskip(SKIP_1) | instid1(VALU_DEP_3)
	v_add_co_u32 v11, vcc_lo, s14, v11
	s_wait_alu 0xfffd
	v_add_co_ci_u32_e64 v12, null, s15, v12, vcc_lo
	s_delay_alu instid0(VALU_DEP_3)
	v_add_co_u32 v13, vcc_lo, s16, v9
	s_wait_alu 0xfffd
	v_add_co_ci_u32_e64 v14, null, s17, v10, vcc_lo
	s_clause 0x3
	global_load_b32 v28, v[11:12], off
	global_load_b32 v29, v[11:12], off offset:1024
	global_load_b32 v30, v[11:12], off offset:2048
	;; [unrolled: 1-line block ×3, first 2 shown]
	s_clause 0x3
	global_load_b128 v[9:12], v[13:14], off
	global_load_b128 v[16:19], v[13:14], off offset:4096
	global_load_b128 v[20:23], v[13:14], off offset:8192
	;; [unrolled: 1-line block ×3, first 2 shown]
	s_wait_loadcnt 0x7
	v_subrev_nc_u32_e32 v13, s34, v28
	s_wait_loadcnt 0x6
	v_subrev_nc_u32_e32 v28, s34, v29
	;; [unrolled: 2-line block ×4, first 2 shown]
	v_ashrrev_i32_e32 v14, 31, v13
	v_ashrrev_i32_e32 v29, 31, v28
	;; [unrolled: 1-line block ×3, first 2 shown]
	s_delay_alu instid0(VALU_DEP_4)
	v_ashrrev_i32_e32 v33, 31, v32
	s_wait_loadcnt 0x1
	v_xor_b32_e32 v44, 0x80000000, v23
	v_lshlrev_b64_e32 v[13:14], 4, v[13:14]
	v_lshlrev_b64_e32 v[28:29], 4, v[28:29]
	v_lshlrev_b64_e32 v[30:31], 4, v[30:31]
	v_lshlrev_b64_e32 v[32:33], 4, v[32:33]
	s_wait_loadcnt 0x0
	v_xor_b32_e32 v45, 0x80000000, v27
	v_cndmask_b32_e64 v23, v23, v44, s2
	v_add_co_u32 v13, vcc_lo, s18, v13
	s_wait_alu 0xfffd
	v_add_co_ci_u32_e64 v14, null, s19, v14, vcc_lo
	v_add_co_u32 v34, vcc_lo, s18, v28
	s_wait_alu 0xfffd
	v_add_co_ci_u32_e64 v35, null, s19, v29, vcc_lo
	;; [unrolled: 3-line block ×3, first 2 shown]
	global_load_b128 v[28:31], v[13:14], off
	v_add_co_u32 v13, vcc_lo, s18, v32
	s_wait_alu 0xfffd
	v_add_co_ci_u32_e64 v14, null, s19, v33, vcc_lo
	s_clause 0x2
	global_load_b128 v[32:35], v[34:35], off
	global_load_b128 v[36:39], v[36:37], off
	;; [unrolled: 1-line block ×3, first 2 shown]
	v_xor_b32_e32 v13, 0x80000000, v12
	v_xor_b32_e32 v14, 0x80000000, v19
	v_cndmask_b32_e64 v27, v27, v45, s2
	v_mul_f64_e32 v[46:47], v[5:6], v[22:23]
	v_mul_f64_e64 v[22:23], v[22:23], -v[7:8]
	v_cndmask_b32_e64 v12, v12, v13, s2
	v_cndmask_b32_e64 v19, v19, v14, s2
	v_mul_f64_e32 v[48:49], v[5:6], v[26:27]
	v_mul_f64_e64 v[26:27], v[26:27], -v[7:8]
	s_delay_alu instid0(VALU_DEP_4) | instskip(SKIP_3) | instid1(VALU_DEP_4)
	v_mul_f64_e32 v[13:14], v[5:6], v[11:12]
	v_mul_f64_e64 v[11:12], v[11:12], -v[7:8]
	v_mul_f64_e32 v[44:45], v[5:6], v[18:19]
	v_mul_f64_e64 v[18:19], v[18:19], -v[7:8]
	v_fma_f64 v[13:14], v[7:8], v[9:10], v[13:14]
	s_delay_alu instid0(VALU_DEP_4) | instskip(NEXT) | instid1(VALU_DEP_4)
	v_fma_f64 v[9:10], v[5:6], v[9:10], v[11:12]
	v_fma_f64 v[11:12], v[7:8], v[16:17], v[44:45]
	s_delay_alu instid0(VALU_DEP_4)
	v_fma_f64 v[16:17], v[5:6], v[16:17], v[18:19]
	v_fma_f64 v[18:19], v[7:8], v[20:21], v[46:47]
	;; [unrolled: 1-line block ×5, first 2 shown]
	s_wait_loadcnt 0x3
	v_mul_f64_e64 v[5:6], v[30:31], -v[13:14]
	v_mul_f64_e32 v[7:8], v[30:31], v[9:10]
	s_wait_loadcnt 0x2
	v_mul_f64_e64 v[26:27], v[34:35], -v[11:12]
	v_mul_f64_e32 v[30:31], v[34:35], v[16:17]
	;; [unrolled: 3-line block ×4, first 2 shown]
	v_fma_f64 v[5:6], v[9:10], v[28:29], v[5:6]
	v_fma_f64 v[7:8], v[13:14], v[28:29], v[7:8]
	;; [unrolled: 1-line block ×8, first 2 shown]
	ds_store_b128 v15, v[5:8]
	ds_store_b128 v15, v[9:12] offset:4096
	ds_store_b128 v15, v[16:19] offset:8192
	;; [unrolled: 1-line block ×3, first 2 shown]
.LBB37_81:
	s_or_b32 exec_lo, exec_lo, s0
	s_cmp_lt_i32 s26, 2
	s_mov_b32 s0, -1
	s_wait_storecnt 0x0
	s_wait_loadcnt_dscnt 0x0
	s_barrier_signal -1
	s_barrier_wait -1
	global_inv scope:SCOPE_SE
	s_cbranch_scc0 .LBB37_92
; %bb.82:
	v_add_co_u32 v13, s0, s20, v0
	s_wait_alu 0xf1fe
	v_add_co_ci_u32_e64 v14, null, s21, 0, s0
	s_mov_b32 s1, exec_lo
	v_cmpx_gt_i64_e64 s[22:23], v[13:14]
	s_cbranch_execz .LBB37_91
; %bb.83:
	v_cmp_neq_f64_e32 vcc_lo, 0, v[1:2]
	v_cmp_neq_f64_e64 s0, 0, v[3:4]
	s_lshl_b32 s4, s30, 4
	s_mov_b32 s2, 0
	s_wait_alu 0xfffe
	s_sub_co_i32 s4, 0, s4
	s_or_b32 s3, vcc_lo, s0
	s_branch .LBB37_85
.LBB37_84:                              ;   in Loop: Header=BB37_85 Depth=1
	s_wait_alu 0xfffe
	s_or_b32 exec_lo, exec_lo, s0
	v_add_co_u32 v13, vcc_lo, 0x100, v13
	s_wait_alu 0xfffd
	v_add_co_ci_u32_e64 v14, null, 0, v14, vcc_lo
	v_add_co_u32 v9, s0, s24, v9
	s_wait_alu 0xf1ff
	v_add_co_ci_u32_e64 v10, null, s25, v10, s0
	s_delay_alu instid0(VALU_DEP_3)
	v_cmp_le_i64_e32 vcc_lo, s[22:23], v[13:14]
	global_store_b128 v[9:10], v[5:8], off
	s_or_b32 s2, vcc_lo, s2
	s_wait_alu 0xfffe
	s_and_not1_b32 exec_lo, exec_lo, s2
	s_cbranch_execz .LBB37_91
.LBB37_85:                              ; =>This Loop Header: Depth=1
                                        ;     Child Loop BB37_87 Depth 2
	v_lshlrev_b64_e32 v[5:6], 3, v[13:14]
	v_mov_b32_e32 v7, 0
	v_mov_b32_e32 v8, 0
	s_mov_b32 s0, exec_lo
	s_delay_alu instid0(VALU_DEP_3)
	v_add_co_u32 v5, vcc_lo, s12, v5
	s_wait_alu 0xfffd
	v_add_co_ci_u32_e64 v6, null, s13, v6, vcc_lo
	global_load_b128 v[9:12], v[5:6], off
	v_mov_b32_e32 v5, 0
	v_mov_b32_e32 v6, 0
	s_wait_loadcnt 0x0
	v_subrev_nc_u32_e32 v10, s30, v9
	v_subrev_nc_u32_e32 v11, s30, v11
	s_delay_alu instid0(VALU_DEP_1)
	v_cmpx_lt_i32_e64 v10, v11
	s_cbranch_execz .LBB37_89
; %bb.86:                               ;   in Loop: Header=BB37_85 Depth=1
	v_mov_b32_e32 v7, 0
	v_mov_b32_e32 v8, 0
	s_wait_alu 0xfffe
	v_lshl_add_u32 v9, v9, 4, s4
	s_delay_alu instid0(VALU_DEP_3)
	v_mov_b32_e32 v5, v7
	s_mov_b32 s5, 0
	v_mov_b32_e32 v6, v8
.LBB37_87:                              ;   Parent Loop BB37_85 Depth=1
                                        ; =>  This Inner Loop Header: Depth=2
	ds_load_b128 v[16:19], v9
	v_add_nc_u32_e32 v10, 1, v10
	v_add_nc_u32_e32 v9, 16, v9
	s_delay_alu instid0(VALU_DEP_2)
	v_cmp_ge_i32_e32 vcc_lo, v10, v11
	s_wait_alu 0xfffe
	s_or_b32 s5, vcc_lo, s5
	s_wait_dscnt 0x0
	v_add_f64_e32 v[5:6], v[5:6], v[16:17]
	v_add_f64_e32 v[7:8], v[7:8], v[18:19]
	s_wait_alu 0xfffe
	s_and_not1_b32 exec_lo, exec_lo, s5
	s_cbranch_execnz .LBB37_87
; %bb.88:                               ;   in Loop: Header=BB37_85 Depth=1
	s_or_b32 exec_lo, exec_lo, s5
.LBB37_89:                              ;   in Loop: Header=BB37_85 Depth=1
	s_wait_alu 0xfffe
	s_or_b32 exec_lo, exec_lo, s0
	v_lshlrev_b64_e32 v[9:10], 4, v[13:14]
	s_and_saveexec_b32 s0, s3
	s_cbranch_execz .LBB37_84
; %bb.90:                               ;   in Loop: Header=BB37_85 Depth=1
	s_delay_alu instid0(VALU_DEP_1) | instskip(SKIP_1) | instid1(VALU_DEP_2)
	v_add_co_u32 v11, vcc_lo, s24, v9
	s_wait_alu 0xfffd
	v_add_co_ci_u32_e64 v12, null, s25, v10, vcc_lo
	global_load_b128 v[16:19], v[11:12], off
	s_wait_loadcnt 0x0
	v_fma_f64 v[5:6], v[1:2], v[16:17], v[5:6]
	v_fma_f64 v[7:8], v[3:4], v[16:17], v[7:8]
	s_delay_alu instid0(VALU_DEP_2) | instskip(NEXT) | instid1(VALU_DEP_2)
	v_fma_f64 v[5:6], -v[3:4], v[18:19], v[5:6]
	v_fma_f64 v[7:8], v[1:2], v[18:19], v[7:8]
	s_branch .LBB37_84
.LBB37_91:
	s_wait_alu 0xfffe
	s_or_b32 exec_lo, exec_lo, s1
	s_mov_b32 s0, 0
.LBB37_92:
	s_wait_alu 0xfffe
	s_and_not1_b32 vcc_lo, exec_lo, s0
	s_wait_alu 0xfffe
	s_cbranch_vccnz .LBB37_117
; %bb.93:
	s_clz_i32_u32 s0, s26
	s_mov_b32 s1, exec_lo
	s_wait_alu 0xfffe
	s_xor_b32 s0, s0, 31
	s_wait_alu 0xfffe
	v_lshrrev_b32_e32 v11, s0, v0
	s_delay_alu instid0(VALU_DEP_1)
	v_add_co_u32 v9, s0, s20, v11
	s_wait_alu 0xf1ff
	v_add_co_ci_u32_e64 v10, null, s21, 0, s0
	s_add_co_i32 s0, s26, -1
	s_wait_alu 0xfffe
	v_dual_mov_b32 v5, 0 :: v_dual_and_b32 v0, s0, v0
	v_mov_b32_e32 v6, 0
	v_cmp_le_i64_e32 vcc_lo, s[22:23], v[9:10]
	s_delay_alu instid0(VALU_DEP_2)
	v_dual_mov_b32 v8, v6 :: v_dual_mov_b32 v7, v5
	v_cmpx_gt_i64_e64 s[22:23], v[9:10]
	s_cbranch_execz .LBB37_99
; %bb.94:
	v_lshlrev_b32_e32 v5, 3, v11
	v_mov_b32_e32 v7, 0
	v_mov_b32_e32 v8, 0
	s_mov_b32 s2, exec_lo
	s_clause 0x1
	global_load_b32 v6, v5, s[28:29]
	global_load_b32 v5, v5, s[28:29] offset:8
	s_wait_loadcnt 0x1
	v_subrev_nc_u32_e32 v6, s30, v6
	s_wait_loadcnt 0x0
	v_subrev_nc_u32_e32 v11, s30, v5
	s_delay_alu instid0(VALU_DEP_2) | instskip(SKIP_1) | instid1(VALU_DEP_2)
	v_dual_mov_b32 v5, 0 :: v_dual_add_nc_u32 v12, v0, v6
	v_mov_b32_e32 v6, 0
	v_cmpx_lt_i32_e64 v12, v11
	s_cbranch_execz .LBB37_98
; %bb.95:
	v_mov_b32_e32 v7, 0
	v_dual_mov_b32 v8, 0 :: v_dual_lshlrev_b32 v13, 4, v12
	s_delay_alu instid0(VALU_DEP_2) | instskip(SKIP_2) | instid1(VALU_DEP_2)
	v_mov_b32_e32 v5, v7
	s_lshl_b32 s4, s26, 4
	s_mov_b32 s3, 0
	v_mov_b32_e32 v6, v8
.LBB37_96:                              ; =>This Inner Loop Header: Depth=1
	ds_load_b128 v[16:19], v13
	v_add_nc_u32_e32 v12, s26, v12
	s_wait_alu 0xfffe
	v_add_nc_u32_e32 v13, s4, v13
	s_delay_alu instid0(VALU_DEP_2)
	v_cmp_ge_i32_e64 s0, v12, v11
	s_or_b32 s3, s0, s3
	s_wait_dscnt 0x0
	v_add_f64_e32 v[5:6], v[5:6], v[16:17]
	v_add_f64_e32 v[7:8], v[7:8], v[18:19]
	s_wait_alu 0xfffe
	s_and_not1_b32 exec_lo, exec_lo, s3
	s_cbranch_execnz .LBB37_96
; %bb.97:
	s_or_b32 exec_lo, exec_lo, s3
.LBB37_98:
	s_wait_alu 0xfffe
	s_or_b32 exec_lo, exec_lo, s2
.LBB37_99:
	s_delay_alu instid0(SALU_CYCLE_1)
	s_or_b32 exec_lo, exec_lo, s1
	s_cmp_lt_u32 s26, 0x81
	s_wait_loadcnt 0x0
	s_wait_storecnt 0x0
	s_barrier_signal -1
	s_barrier_wait -1
	global_inv scope:SCOPE_SE
	ds_store_b128 v15, v[5:8]
	s_wait_loadcnt_dscnt 0x0
	s_barrier_signal -1
	s_barrier_wait -1
	global_inv scope:SCOPE_SE
	s_cbranch_scc1 .LBB37_101
; %bb.100:
	ds_load_b128 v[11:14], v15 offset:2048
	s_wait_loadcnt_dscnt 0x0
	s_barrier_signal -1
	s_barrier_wait -1
	global_inv scope:SCOPE_SE
	v_add_f64_e32 v[5:6], v[5:6], v[11:12]
	v_add_f64_e32 v[7:8], v[7:8], v[13:14]
	ds_store_b128 v15, v[5:8]
.LBB37_101:
	s_cmp_lt_u32 s26, 0x41
	s_wait_loadcnt_dscnt 0x0
	s_barrier_signal -1
	s_barrier_wait -1
	global_inv scope:SCOPE_SE
	s_cbranch_scc1 .LBB37_103
; %bb.102:
	ds_load_b128 v[11:14], v15 offset:1024
	s_wait_loadcnt_dscnt 0x0
	s_barrier_signal -1
	s_barrier_wait -1
	global_inv scope:SCOPE_SE
	v_add_f64_e32 v[5:6], v[5:6], v[11:12]
	v_add_f64_e32 v[7:8], v[7:8], v[13:14]
	ds_store_b128 v15, v[5:8]
.LBB37_103:
	s_cmp_lt_u32 s26, 33
	;; [unrolled: 16-line block ×5, first 2 shown]
	s_wait_loadcnt_dscnt 0x0
	s_barrier_signal -1
	s_barrier_wait -1
	global_inv scope:SCOPE_SE
	s_cbranch_scc1 .LBB37_111
; %bb.110:
	ds_load_b128 v[11:14], v15 offset:64
	s_wait_loadcnt_dscnt 0x0
	s_barrier_signal -1
	s_barrier_wait -1
	global_inv scope:SCOPE_SE
	v_add_f64_e32 v[5:6], v[5:6], v[11:12]
	v_add_f64_e32 v[7:8], v[7:8], v[13:14]
	ds_store_b128 v15, v[5:8]
.LBB37_111:
	s_cmp_eq_u32 s26, 2
	s_wait_loadcnt_dscnt 0x0
	s_barrier_signal -1
	s_barrier_wait -1
	global_inv scope:SCOPE_SE
	s_cbranch_scc1 .LBB37_113
; %bb.112:
	ds_load_b128 v[11:14], v15 offset:32
	s_wait_loadcnt_dscnt 0x0
	s_barrier_signal -1
	s_barrier_wait -1
	global_inv scope:SCOPE_SE
	v_add_f64_e32 v[5:6], v[5:6], v[11:12]
	v_add_f64_e32 v[7:8], v[7:8], v[13:14]
	ds_store_b128 v15, v[5:8]
.LBB37_113:
	s_wait_loadcnt_dscnt 0x0
	s_barrier_signal -1
	s_barrier_wait -1
	global_inv scope:SCOPE_SE
	ds_load_b128 v[11:14], v15 offset:16
	v_cmp_eq_u32_e64 s0, 0, v0
	s_xor_b32 s1, vcc_lo, -1
	s_wait_loadcnt_dscnt 0x0
	s_barrier_signal -1
	s_barrier_wait -1
	s_wait_alu 0xfffe
	s_and_b32 s0, s0, s1
	global_inv scope:SCOPE_SE
	v_add_f64_e32 v[5:6], v[5:6], v[11:12]
	v_add_f64_e32 v[7:8], v[7:8], v[13:14]
	ds_store_b128 v15, v[5:8]
	s_wait_alu 0xfffe
	s_and_b32 exec_lo, exec_lo, s0
	s_cbranch_execz .LBB37_117
; %bb.114:
	v_cmp_neq_f64_e32 vcc_lo, 0, v[1:2]
	v_cmp_neq_f64_e64 s0, 0, v[3:4]
	v_lshlrev_b64_e32 v[9:10], 4, v[9:10]
	s_or_b32 s1, vcc_lo, s0
	s_wait_alu 0xfffe
	s_and_saveexec_b32 s0, s1
	s_cbranch_execz .LBB37_116
; %bb.115:
	s_delay_alu instid0(VALU_DEP_1)
	v_add_co_u32 v11, vcc_lo, s24, v9
	s_wait_alu 0xfffd
	v_add_co_ci_u32_e64 v12, null, s25, v10, vcc_lo
	global_load_b128 v[11:14], v[11:12], off
	s_wait_loadcnt 0x0
	v_fma_f64 v[5:6], v[1:2], v[11:12], v[5:6]
	v_fma_f64 v[7:8], v[3:4], v[11:12], v[7:8]
	s_delay_alu instid0(VALU_DEP_2) | instskip(NEXT) | instid1(VALU_DEP_2)
	v_fma_f64 v[5:6], -v[3:4], v[13:14], v[5:6]
	v_fma_f64 v[7:8], v[1:2], v[13:14], v[7:8]
.LBB37_116:
	s_wait_alu 0xfffe
	s_or_b32 exec_lo, exec_lo, s0
	v_add_co_u32 v0, vcc_lo, s24, v9
	s_wait_alu 0xfffd
	v_add_co_ci_u32_e64 v1, null, s25, v10, vcc_lo
	global_store_b128 v[0:1], v[5:8], off
.LBB37_117:
	s_endpgm
	.section	.rodata,"a",@progbits
	.p2align	6, 0x0
	.amdhsa_kernel _ZN9rocsparseL22csrmvn_adaptive_kernelIli21rocsparse_complex_numIdES2_S2_S2_EEvbT_PKS3_PjPKT0_NS_24const_host_device_scalarIT4_EES5_S9_PKT1_PKT2_SC_PT3_21rocsparse_index_base_b
		.amdhsa_group_segment_fixed_size 16384
		.amdhsa_private_segment_fixed_size 0
		.amdhsa_kernarg_size 120
		.amdhsa_user_sgpr_count 2
		.amdhsa_user_sgpr_dispatch_ptr 0
		.amdhsa_user_sgpr_queue_ptr 0
		.amdhsa_user_sgpr_kernarg_segment_ptr 1
		.amdhsa_user_sgpr_dispatch_id 0
		.amdhsa_user_sgpr_private_segment_size 0
		.amdhsa_wavefront_size32 1
		.amdhsa_uses_dynamic_stack 0
		.amdhsa_enable_private_segment 0
		.amdhsa_system_sgpr_workgroup_id_x 1
		.amdhsa_system_sgpr_workgroup_id_y 0
		.amdhsa_system_sgpr_workgroup_id_z 0
		.amdhsa_system_sgpr_workgroup_info 0
		.amdhsa_system_vgpr_workitem_id 0
		.amdhsa_next_free_vgpr 50
		.amdhsa_next_free_sgpr 48
		.amdhsa_reserve_vcc 1
		.amdhsa_float_round_mode_32 0
		.amdhsa_float_round_mode_16_64 0
		.amdhsa_float_denorm_mode_32 3
		.amdhsa_float_denorm_mode_16_64 3
		.amdhsa_fp16_overflow 0
		.amdhsa_workgroup_processor_mode 1
		.amdhsa_memory_ordered 1
		.amdhsa_forward_progress 1
		.amdhsa_inst_pref_size 52
		.amdhsa_round_robin_scheduling 0
		.amdhsa_exception_fp_ieee_invalid_op 0
		.amdhsa_exception_fp_denorm_src 0
		.amdhsa_exception_fp_ieee_div_zero 0
		.amdhsa_exception_fp_ieee_overflow 0
		.amdhsa_exception_fp_ieee_underflow 0
		.amdhsa_exception_fp_ieee_inexact 0
		.amdhsa_exception_int_div_zero 0
	.end_amdhsa_kernel
	.section	.text._ZN9rocsparseL22csrmvn_adaptive_kernelIli21rocsparse_complex_numIdES2_S2_S2_EEvbT_PKS3_PjPKT0_NS_24const_host_device_scalarIT4_EES5_S9_PKT1_PKT2_SC_PT3_21rocsparse_index_base_b,"axG",@progbits,_ZN9rocsparseL22csrmvn_adaptive_kernelIli21rocsparse_complex_numIdES2_S2_S2_EEvbT_PKS3_PjPKT0_NS_24const_host_device_scalarIT4_EES5_S9_PKT1_PKT2_SC_PT3_21rocsparse_index_base_b,comdat
.Lfunc_end37:
	.size	_ZN9rocsparseL22csrmvn_adaptive_kernelIli21rocsparse_complex_numIdES2_S2_S2_EEvbT_PKS3_PjPKT0_NS_24const_host_device_scalarIT4_EES5_S9_PKT1_PKT2_SC_PT3_21rocsparse_index_base_b, .Lfunc_end37-_ZN9rocsparseL22csrmvn_adaptive_kernelIli21rocsparse_complex_numIdES2_S2_S2_EEvbT_PKS3_PjPKT0_NS_24const_host_device_scalarIT4_EES5_S9_PKT1_PKT2_SC_PT3_21rocsparse_index_base_b
                                        ; -- End function
	.set _ZN9rocsparseL22csrmvn_adaptive_kernelIli21rocsparse_complex_numIdES2_S2_S2_EEvbT_PKS3_PjPKT0_NS_24const_host_device_scalarIT4_EES5_S9_PKT1_PKT2_SC_PT3_21rocsparse_index_base_b.num_vgpr, 50
	.set _ZN9rocsparseL22csrmvn_adaptive_kernelIli21rocsparse_complex_numIdES2_S2_S2_EEvbT_PKS3_PjPKT0_NS_24const_host_device_scalarIT4_EES5_S9_PKT1_PKT2_SC_PT3_21rocsparse_index_base_b.num_agpr, 0
	.set _ZN9rocsparseL22csrmvn_adaptive_kernelIli21rocsparse_complex_numIdES2_S2_S2_EEvbT_PKS3_PjPKT0_NS_24const_host_device_scalarIT4_EES5_S9_PKT1_PKT2_SC_PT3_21rocsparse_index_base_b.numbered_sgpr, 48
	.set _ZN9rocsparseL22csrmvn_adaptive_kernelIli21rocsparse_complex_numIdES2_S2_S2_EEvbT_PKS3_PjPKT0_NS_24const_host_device_scalarIT4_EES5_S9_PKT1_PKT2_SC_PT3_21rocsparse_index_base_b.num_named_barrier, 0
	.set _ZN9rocsparseL22csrmvn_adaptive_kernelIli21rocsparse_complex_numIdES2_S2_S2_EEvbT_PKS3_PjPKT0_NS_24const_host_device_scalarIT4_EES5_S9_PKT1_PKT2_SC_PT3_21rocsparse_index_base_b.private_seg_size, 0
	.set _ZN9rocsparseL22csrmvn_adaptive_kernelIli21rocsparse_complex_numIdES2_S2_S2_EEvbT_PKS3_PjPKT0_NS_24const_host_device_scalarIT4_EES5_S9_PKT1_PKT2_SC_PT3_21rocsparse_index_base_b.uses_vcc, 1
	.set _ZN9rocsparseL22csrmvn_adaptive_kernelIli21rocsparse_complex_numIdES2_S2_S2_EEvbT_PKS3_PjPKT0_NS_24const_host_device_scalarIT4_EES5_S9_PKT1_PKT2_SC_PT3_21rocsparse_index_base_b.uses_flat_scratch, 0
	.set _ZN9rocsparseL22csrmvn_adaptive_kernelIli21rocsparse_complex_numIdES2_S2_S2_EEvbT_PKS3_PjPKT0_NS_24const_host_device_scalarIT4_EES5_S9_PKT1_PKT2_SC_PT3_21rocsparse_index_base_b.has_dyn_sized_stack, 0
	.set _ZN9rocsparseL22csrmvn_adaptive_kernelIli21rocsparse_complex_numIdES2_S2_S2_EEvbT_PKS3_PjPKT0_NS_24const_host_device_scalarIT4_EES5_S9_PKT1_PKT2_SC_PT3_21rocsparse_index_base_b.has_recursion, 0
	.set _ZN9rocsparseL22csrmvn_adaptive_kernelIli21rocsparse_complex_numIdES2_S2_S2_EEvbT_PKS3_PjPKT0_NS_24const_host_device_scalarIT4_EES5_S9_PKT1_PKT2_SC_PT3_21rocsparse_index_base_b.has_indirect_call, 0
	.section	.AMDGPU.csdata,"",@progbits
; Kernel info:
; codeLenInByte = 6628
; TotalNumSgprs: 50
; NumVgprs: 50
; ScratchSize: 0
; MemoryBound: 0
; FloatMode: 240
; IeeeMode: 1
; LDSByteSize: 16384 bytes/workgroup (compile time only)
; SGPRBlocks: 0
; VGPRBlocks: 6
; NumSGPRsForWavesPerEU: 50
; NumVGPRsForWavesPerEU: 50
; Occupancy: 16
; WaveLimiterHint : 1
; COMPUTE_PGM_RSRC2:SCRATCH_EN: 0
; COMPUTE_PGM_RSRC2:USER_SGPR: 2
; COMPUTE_PGM_RSRC2:TRAP_HANDLER: 0
; COMPUTE_PGM_RSRC2:TGID_X_EN: 1
; COMPUTE_PGM_RSRC2:TGID_Y_EN: 0
; COMPUTE_PGM_RSRC2:TGID_Z_EN: 0
; COMPUTE_PGM_RSRC2:TIDIG_COMP_CNT: 0
	.section	.text._ZN9rocsparseL27csrmvn_symm_adaptive_kernelIli21rocsparse_complex_numIdES2_S2_S2_EEvbT_S3_PKS3_NS_24const_host_device_scalarIT4_EES5_PKT0_PKT1_PKT2_S8_PT3_21rocsparse_index_base_b,"axG",@progbits,_ZN9rocsparseL27csrmvn_symm_adaptive_kernelIli21rocsparse_complex_numIdES2_S2_S2_EEvbT_S3_PKS3_NS_24const_host_device_scalarIT4_EES5_PKT0_PKT1_PKT2_S8_PT3_21rocsparse_index_base_b,comdat
	.globl	_ZN9rocsparseL27csrmvn_symm_adaptive_kernelIli21rocsparse_complex_numIdES2_S2_S2_EEvbT_S3_PKS3_NS_24const_host_device_scalarIT4_EES5_PKT0_PKT1_PKT2_S8_PT3_21rocsparse_index_base_b ; -- Begin function _ZN9rocsparseL27csrmvn_symm_adaptive_kernelIli21rocsparse_complex_numIdES2_S2_S2_EEvbT_S3_PKS3_NS_24const_host_device_scalarIT4_EES5_PKT0_PKT1_PKT2_S8_PT3_21rocsparse_index_base_b
	.p2align	8
	.type	_ZN9rocsparseL27csrmvn_symm_adaptive_kernelIli21rocsparse_complex_numIdES2_S2_S2_EEvbT_S3_PKS3_NS_24const_host_device_scalarIT4_EES5_PKT0_PKT1_PKT2_S8_PT3_21rocsparse_index_base_b,@function
_ZN9rocsparseL27csrmvn_symm_adaptive_kernelIli21rocsparse_complex_numIdES2_S2_S2_EEvbT_S3_PKS3_NS_24const_host_device_scalarIT4_EES5_PKT0_PKT1_PKT2_S8_PT3_21rocsparse_index_base_b: ; @_ZN9rocsparseL27csrmvn_symm_adaptive_kernelIli21rocsparse_complex_numIdES2_S2_S2_EEvbT_S3_PKS3_NS_24const_host_device_scalarIT4_EES5_PKT0_PKT1_PKT2_S8_PT3_21rocsparse_index_base_b
; %bb.0:
	s_clause 0x1
	s_load_b64 s[26:27], s[0:1], 0x68
	s_load_b64 s[4:5], s[0:1], 0x20
	s_add_nc_u64 s[6:7], s[0:1], 32
	s_wait_kmcnt 0x0
	s_bitcmp1_b32 s27, 0
	s_cselect_b32 s3, -1, 0
	s_delay_alu instid0(SALU_CYCLE_1) | instskip(SKIP_2) | instid1(SALU_CYCLE_1)
	s_and_b32 s2, s3, exec_lo
	s_cselect_b32 s2, s6, s4
	s_cselect_b32 s4, s7, s5
	v_dual_mov_b32 v1, s2 :: v_dual_mov_b32 v2, s4
	flat_load_b128 v[2:5], v[1:2]
	s_wait_loadcnt_dscnt 0x0
	v_cmp_eq_f64_e32 vcc_lo, 0, v[2:3]
	v_cmp_eq_f64_e64 s2, 0, v[4:5]
	s_and_b32 s5, vcc_lo, s2
	s_mov_b32 s2, -1
	s_wait_alu 0xfffe
	s_and_saveexec_b32 s4, s5
	s_cbranch_execz .LBB38_2
; %bb.1:
	s_load_b64 s[6:7], s[0:1], 0x50
	s_add_nc_u64 s[8:9], s[0:1], 0x50
	s_and_b32 s2, s3, exec_lo
	s_wait_kmcnt 0x0
	s_cselect_b32 s2, s8, s6
	s_cselect_b32 s3, s9, s7
	s_wait_alu 0xfffe
	v_dual_mov_b32 v6, s2 :: v_dual_mov_b32 v7, s3
	flat_load_b128 v[6:9], v[6:7]
	s_wait_loadcnt_dscnt 0x0
	v_cmp_neq_f64_e32 vcc_lo, 1.0, v[6:7]
	v_cmp_neq_f64_e64 s2, 0, v[8:9]
	s_or_b32 s2, vcc_lo, s2
	s_wait_alu 0xfffe
	s_or_not1_b32 s2, s2, exec_lo
.LBB38_2:
	s_wait_alu 0xfffe
	s_or_b32 exec_lo, exec_lo, s4
	s_and_saveexec_b32 s3, s2
	s_cbranch_execz .LBB38_199
; %bb.3:
	s_clause 0x1
	s_load_b32 s2, s[0:1], 0x0
	s_load_b64 s[10:11], s[0:1], 0x18
	s_mov_b32 s27, 0
	s_mov_b32 s8, ttmp9
	s_mov_b32 s7, s27
	s_mov_b32 s4, s27
	s_mov_b32 s5, s27
	s_mov_b32 s6, s27
	v_dual_mov_b32 v9, s7 :: v_dual_lshlrev_b32 v26, 4, v0
	s_wait_alu 0xfffe
	v_dual_mov_b32 v8, s6 :: v_dual_mov_b32 v7, s5
	v_mov_b32_e32 v6, s4
	ds_store_b128 v26, v[6:9]
	ds_store_b128 v26, v[6:9] offset:4096
	ds_store_b128 v26, v[6:9] offset:8192
	;; [unrolled: 1-line block ×3, first 2 shown]
	s_wait_dscnt 0x0
	s_barrier_signal -1
	s_wait_kmcnt 0x0
	s_bitcmp1_b32 s2, 0
	s_barrier_wait -1
	s_cselect_b32 s2, -1, 0
	s_ashr_i32 s9, ttmp9, 31
	global_inv scope:SCOPE_SE
	s_lshl_b64 s[4:5], s[8:9], 3
	s_wait_alu 0xfffe
	s_add_nc_u64 s[4:5], s[10:11], s[4:5]
	s_load_b128 s[20:23], s[4:5], 0x0
	s_clause 0x1
	s_load_b64 s[10:11], s[0:1], 0x60
	s_load_b256 s[12:19], s[0:1], 0x30
	s_wait_kmcnt 0x0
	s_sub_nc_u64 s[24:25], s[22:23], s[20:21]
	s_delay_alu instid0(SALU_CYCLE_1)
	v_cmp_gt_i64_e64 s3, s[24:25], 2
	s_and_b32 vcc_lo, exec_lo, s3
	s_mov_b32 s3, -1
	s_cbranch_vccnz .LBB38_47
; %bb.4:
	v_cmp_le_i64_e64 s3, s[22:23], s[20:21]
	v_sub_co_u32 v1, s4, v0, s26
	v_mov_b32_e32 v17, 0
	s_wait_alu 0xf1ff
	v_sub_co_ci_u32_e64 v16, null, 0, 0, s4
	s_wait_alu 0xfffe
	s_and_b32 vcc_lo, exec_lo, s3
	s_cbranch_vccnz .LBB38_34
; %bb.5:
	v_cmp_gt_u32_e64 s3, 0x100, v0
	v_cmp_gt_u32_e64 s4, 64, v0
	;; [unrolled: 1-line block ×4, first 2 shown]
	v_cmp_eq_u32_e64 s7, 0, v0
	s_add_nc_u64 s[28:29], s[16:17], 8
	s_mov_b64 s[30:31], s[20:21]
	s_branch .LBB38_7
.LBB38_6:                               ;   in Loop: Header=BB38_7 Depth=1
	s_or_b32 exec_lo, exec_lo, s33
	s_add_nc_u64 s[30:31], s[30:31], 1
	s_wait_alu 0xfffe
	v_cmp_ge_i64_e64 s8, s[30:31], s[22:23]
	s_and_b32 vcc_lo, exec_lo, s8
	s_wait_alu 0xfffe
	s_cbranch_vccnz .LBB38_34
.LBB38_7:                               ; =>This Loop Header: Depth=1
                                        ;     Child Loop BB38_9 Depth 2
                                        ;     Child Loop BB38_23 Depth 2
	;; [unrolled: 1-line block ×5, first 2 shown]
	s_lshl_b64 s[8:9], s[30:31], 3
	v_mov_b32_e32 v8, 0
	s_wait_alu 0xfffe
	s_add_nc_u64 s[8:9], s[12:13], s[8:9]
	v_dual_mov_b32 v9, 0 :: v_dual_mov_b32 v6, 0
	s_load_b128 s[36:39], s[8:9], 0x0
	v_mov_b32_e32 v7, 0
	s_mov_b32 s9, exec_lo
	s_wait_kmcnt 0x0
	v_add_co_u32 v10, vcc_lo, s36, v1
	s_wait_alu 0xfffd
	v_add_co_ci_u32_e64 v11, null, s37, v16, vcc_lo
	s_sub_nc_u64 s[34:35], s[38:39], s[26:27]
	s_wait_alu 0xfffe
	v_cmpx_gt_i64_e64 s[34:35], v[10:11]
	s_cbranch_execz .LBB38_11
; %bb.8:                                ;   in Loop: Header=BB38_7 Depth=1
	v_lshlrev_b64_e32 v[6:7], 2, v[10:11]
	v_lshlrev_b64_e32 v[14:15], 4, v[10:11]
	v_mov_b32_e32 v8, 0
	v_mov_b32_e32 v9, 0
	s_mov_b32 s33, 0
	s_delay_alu instid0(VALU_DEP_4)
	v_add_co_u32 v12, vcc_lo, s14, v6
	s_wait_alu 0xfffd
	v_add_co_ci_u32_e64 v13, null, s15, v7, vcc_lo
	v_add_co_u32 v14, vcc_lo, s28, v14
	s_wait_alu 0xfffd
	v_add_co_ci_u32_e64 v15, null, s29, v15, vcc_lo
	v_dual_mov_b32 v6, v8 :: v_dual_mov_b32 v7, v9
.LBB38_9:                               ;   Parent Loop BB38_7 Depth=1
                                        ; =>  This Inner Loop Header: Depth=2
	global_load_b32 v18, v[12:13], off
	s_wait_loadcnt 0x0
	v_subrev_nc_u32_e32 v18, s26, v18
	s_delay_alu instid0(VALU_DEP_1) | instskip(NEXT) | instid1(VALU_DEP_1)
	v_ashrrev_i32_e32 v19, 31, v18
	v_lshlrev_b64_e32 v[22:23], 4, v[18:19]
	global_load_b128 v[18:21], v[14:15], off offset:-8
	v_add_co_u32 v14, s8, 0x1000, v14
	s_wait_alu 0xf1ff
	v_add_co_ci_u32_e64 v15, null, 0, v15, s8
	v_add_co_u32 v22, vcc_lo, s18, v22
	s_wait_alu 0xfffd
	v_add_co_ci_u32_e64 v23, null, s19, v23, vcc_lo
	v_add_co_u32 v10, vcc_lo, 0x100, v10
	s_wait_alu 0xfffd
	v_add_co_ci_u32_e64 v11, null, 0, v11, vcc_lo
	global_load_b128 v[22:25], v[22:23], off
	v_add_co_u32 v12, vcc_lo, 0x400, v12
	s_wait_alu 0xfffd
	v_add_co_ci_u32_e64 v13, null, 0, v13, vcc_lo
	v_cmp_le_i64_e32 vcc_lo, s[34:35], v[10:11]
	s_or_b32 s33, vcc_lo, s33
	s_wait_loadcnt 0x1
	v_xor_b32_e32 v27, 0x80000000, v21
	s_delay_alu instid0(VALU_DEP_1) | instskip(SKIP_2) | instid1(VALU_DEP_2)
	v_cndmask_b32_e64 v21, v21, v27, s2
	s_wait_loadcnt 0x0
	v_fma_f64 v[6:7], v[18:19], v[22:23], v[6:7]
	v_fma_f64 v[8:9], v[20:21], v[22:23], v[8:9]
	s_delay_alu instid0(VALU_DEP_2) | instskip(NEXT) | instid1(VALU_DEP_2)
	v_fma_f64 v[6:7], -v[20:21], v[24:25], v[6:7]
	v_fma_f64 v[8:9], v[18:19], v[24:25], v[8:9]
	s_and_not1_b32 exec_lo, exec_lo, s33
	s_cbranch_execnz .LBB38_9
; %bb.10:                               ;   in Loop: Header=BB38_7 Depth=1
	s_or_b32 exec_lo, exec_lo, s33
.LBB38_11:                              ;   in Loop: Header=BB38_7 Depth=1
	s_delay_alu instid0(SALU_CYCLE_1)
	s_or_b32 exec_lo, exec_lo, s9
	ds_store_b128 v26, v[6:9]
	s_wait_loadcnt_dscnt 0x0
	s_barrier_signal -1
	s_barrier_wait -1
	global_inv scope:SCOPE_SE
	s_and_saveexec_b32 s8, s3
	s_cbranch_execz .LBB38_13
; %bb.12:                               ;   in Loop: Header=BB38_7 Depth=1
	ds_load_b128 v[6:9], v26 offset:4096
	ds_load_b128 v[10:13], v26 offset:8192
	ds_load_b128 v[18:21], v26 offset:12288
	ds_load_b128 v[22:25], v26
	s_wait_dscnt 0x2
	v_add_f64_e32 v[6:7], v[10:11], v[6:7]
	v_add_f64_e32 v[8:9], v[12:13], v[8:9]
	s_wait_dscnt 0x1
	s_delay_alu instid0(VALU_DEP_2) | instskip(NEXT) | instid1(VALU_DEP_2)
	v_add_f64_e32 v[6:7], v[6:7], v[18:19]
	v_add_f64_e32 v[8:9], v[8:9], v[20:21]
	s_wait_dscnt 0x0
	s_delay_alu instid0(VALU_DEP_2) | instskip(NEXT) | instid1(VALU_DEP_2)
	v_add_f64_e32 v[6:7], v[6:7], v[22:23]
	v_add_f64_e32 v[8:9], v[8:9], v[24:25]
	ds_store_b128 v26, v[6:9]
.LBB38_13:                              ;   in Loop: Header=BB38_7 Depth=1
	s_wait_alu 0xfffe
	s_or_b32 exec_lo, exec_lo, s8
	s_wait_loadcnt_dscnt 0x0
	s_barrier_signal -1
	s_barrier_wait -1
	global_inv scope:SCOPE_SE
	s_and_saveexec_b32 s8, s4
	s_cbranch_execz .LBB38_15
; %bb.14:                               ;   in Loop: Header=BB38_7 Depth=1
	ds_load_b128 v[6:9], v26 offset:1024
	ds_load_b128 v[10:13], v26 offset:2048
	ds_load_b128 v[18:21], v26 offset:3072
	ds_load_b128 v[22:25], v26
	s_wait_dscnt 0x2
	v_add_f64_e32 v[6:7], v[10:11], v[6:7]
	v_add_f64_e32 v[8:9], v[12:13], v[8:9]
	s_wait_dscnt 0x1
	s_delay_alu instid0(VALU_DEP_2) | instskip(NEXT) | instid1(VALU_DEP_2)
	v_add_f64_e32 v[6:7], v[6:7], v[18:19]
	v_add_f64_e32 v[8:9], v[8:9], v[20:21]
	s_wait_dscnt 0x0
	s_delay_alu instid0(VALU_DEP_2) | instskip(NEXT) | instid1(VALU_DEP_2)
	v_add_f64_e32 v[6:7], v[6:7], v[22:23]
	v_add_f64_e32 v[8:9], v[8:9], v[24:25]
	ds_store_b128 v26, v[6:9]
.LBB38_15:                              ;   in Loop: Header=BB38_7 Depth=1
	s_wait_alu 0xfffe
	s_or_b32 exec_lo, exec_lo, s8
	;; [unrolled: 26-line block ×5, first 2 shown]
	s_wait_loadcnt_dscnt 0x0
	s_barrier_signal -1
	s_barrier_wait -1
	global_inv scope:SCOPE_SE
	s_and_saveexec_b32 s33, s7
	s_cbranch_execz .LBB38_6
; %bb.22:                               ;   in Loop: Header=BB38_7 Depth=1
	ds_load_b128 v[6:9], v17
	v_mov_b32_e32 v14, 0
	v_bfrev_b32_e32 v15, 1
	s_mov_b32 s8, exec_lo
	s_wait_dscnt 0x0
	v_mul_f64_e64 v[10:11], v[8:9], -v[4:5]
	s_delay_alu instid0(VALU_DEP_1)
	v_fma_f64 v[10:11], v[2:3], v[6:7], v[10:11]
.LBB38_23:                              ;   Parent Loop BB38_7 Depth=1
                                        ; =>  This Inner Loop Header: Depth=2
	s_wait_alu 0xfffe
	s_ctz_i32_b32 s9, s8
	s_wait_alu 0xfffe
	s_delay_alu instid0(VALU_DEP_1) | instskip(NEXT) | instid1(VALU_DEP_2)
	v_readlane_b32 s35, v11, s9
	v_readlane_b32 s34, v10, s9
	s_lshl_b32 s9, 1, s9
	s_wait_alu 0xfffe
	s_and_not1_b32 s8, s8, s9
	v_add_f64_e32 v[14:15], s[34:35], v[14:15]
	s_wait_alu 0xfffe
	s_cmp_lg_u32 s8, 0
	s_cbranch_scc1 .LBB38_23
; %bb.24:                               ;   in Loop: Header=BB38_7 Depth=1
	v_mbcnt_lo_u32_b32 v10, exec_lo, 0
	s_lshl_b64 s[8:9], s[30:31], 4
	s_mov_b32 s34, exec_lo
	s_wait_alu 0xfffe
	s_add_nc_u64 s[8:9], s[10:11], s[8:9]
	v_cmpx_eq_u32_e32 0, v10
	s_xor_b32 s34, exec_lo, s34
	s_cbranch_execz .LBB38_28
; %bb.25:                               ;   in Loop: Header=BB38_7 Depth=1
	global_load_b64 v[12:13], v17, s[8:9]
	s_mov_b32 s35, 0
.LBB38_26:                              ;   Parent Loop BB38_7 Depth=1
                                        ; =>  This Inner Loop Header: Depth=2
	s_wait_loadcnt 0x0
	v_add_f64_e32 v[10:11], v[12:13], v[14:15]
	global_atomic_cmpswap_b64 v[10:11], v17, v[10:13], s[8:9] th:TH_ATOMIC_RETURN scope:SCOPE_DEV
	s_wait_loadcnt 0x0
	v_cmp_eq_u64_e32 vcc_lo, v[10:11], v[12:13]
	v_dual_mov_b32 v13, v11 :: v_dual_mov_b32 v12, v10
	s_wait_alu 0xfffe
	s_or_b32 s35, vcc_lo, s35
	s_wait_alu 0xfffe
	s_and_not1_b32 exec_lo, exec_lo, s35
	s_cbranch_execnz .LBB38_26
; %bb.27:                               ;   in Loop: Header=BB38_7 Depth=1
	s_or_b32 exec_lo, exec_lo, s35
.LBB38_28:                              ;   in Loop: Header=BB38_7 Depth=1
	s_wait_alu 0xfffe
	s_or_b32 exec_lo, exec_lo, s34
	v_mul_f64_e32 v[8:9], v[2:3], v[8:9]
	v_mov_b32_e32 v10, 0
	v_bfrev_b32_e32 v11, 1
	s_mov_b32 s34, exec_lo
	s_delay_alu instid0(VALU_DEP_3)
	v_fma_f64 v[6:7], v[4:5], v[6:7], v[8:9]
.LBB38_29:                              ;   Parent Loop BB38_7 Depth=1
                                        ; =>  This Inner Loop Header: Depth=2
	s_wait_alu 0xfffe
	s_ctz_i32_b32 s35, s34
	s_wait_alu 0xfffe
	s_delay_alu instid0(VALU_DEP_1) | instskip(NEXT) | instid1(VALU_DEP_2)
	v_readlane_b32 s37, v7, s35
	v_readlane_b32 s36, v6, s35
	s_lshl_b32 s35, 1, s35
	s_wait_alu 0xfffe
	s_and_not1_b32 s34, s34, s35
	v_add_f64_e32 v[10:11], s[36:37], v[10:11]
	s_wait_alu 0xfffe
	s_cmp_lg_u32 s34, 0
	s_cbranch_scc1 .LBB38_29
; %bb.30:                               ;   in Loop: Header=BB38_7 Depth=1
	v_mbcnt_lo_u32_b32 v6, exec_lo, 0
	s_mov_b32 s34, exec_lo
	s_delay_alu instid0(VALU_DEP_1)
	v_cmpx_eq_u32_e32 0, v6
	s_wait_alu 0xfffe
	s_xor_b32 s34, exec_lo, s34
	s_cbranch_execz .LBB38_6
; %bb.31:                               ;   in Loop: Header=BB38_7 Depth=1
	global_load_b64 v[8:9], v17, s[8:9] offset:8
	s_mov_b32 s34, 0
.LBB38_32:                              ;   Parent Loop BB38_7 Depth=1
                                        ; =>  This Inner Loop Header: Depth=2
	s_wait_loadcnt 0x0
	v_add_f64_e32 v[6:7], v[8:9], v[10:11]
	global_atomic_cmpswap_b64 v[6:7], v17, v[6:9], s[8:9] offset:8 th:TH_ATOMIC_RETURN scope:SCOPE_DEV
	s_wait_loadcnt 0x0
	v_cmp_eq_u64_e32 vcc_lo, v[6:7], v[8:9]
	v_dual_mov_b32 v9, v7 :: v_dual_mov_b32 v8, v6
	s_wait_alu 0xfffe
	s_or_b32 s34, vcc_lo, s34
	s_wait_alu 0xfffe
	s_and_not1_b32 exec_lo, exec_lo, s34
	s_cbranch_execnz .LBB38_32
; %bb.33:                               ;   in Loop: Header=BB38_7 Depth=1
	s_or_b32 exec_lo, exec_lo, s34
	s_branch .LBB38_6
.LBB38_34:
	s_lshl_b64 s[4:5], s[20:21], 3
	s_lshl_b64 s[6:7], s[22:23], 3
	s_wait_alu 0xfffe
	s_add_nc_u64 s[4:5], s[12:13], s[4:5]
	s_add_nc_u64 s[6:7], s[12:13], s[6:7]
	s_clause 0x1
	s_load_b64 s[4:5], s[4:5], 0x0
	s_load_b64 s[6:7], s[6:7], 0x0
	s_mov_b32 s8, exec_lo
	s_wait_kmcnt 0x0
	v_add_co_u32 v14, vcc_lo, s4, v1
	s_wait_alu 0xfffd
	v_add_co_ci_u32_e64 v15, null, s5, v16, vcc_lo
	s_sub_nc_u64 s[4:5], s[6:7], s[26:27]
	s_wait_alu 0xfffe
	v_cmpx_gt_i64_e64 s[4:5], v[14:15]
	s_cbranch_execz .LBB38_46
; %bb.35:
	s_add_nc_u64 s[6:7], s[22:23], -1
	s_add_nc_u64 s[28:29], s[22:23], -2
	s_wait_alu 0xfffe
	v_cmp_lt_i64_e64 s3, s[20:21], s[6:7]
	s_cmp_lg_u64 s[20:21], s[28:29]
	s_mov_b32 s27, 0
	s_cselect_b32 s9, -1, 0
	s_wait_alu 0xfffe
	s_and_b32 s9, s3, s9
	s_branch .LBB38_37
.LBB38_36:                              ;   in Loop: Header=BB38_37 Depth=1
	s_wait_alu 0xfffe
	s_or_b32 exec_lo, exec_lo, s3
	v_add_co_u32 v14, vcc_lo, 0x100, v14
	s_wait_alu 0xfffd
	v_add_co_ci_u32_e64 v15, null, 0, v15, vcc_lo
	s_delay_alu instid0(VALU_DEP_1)
	v_cmp_le_i64_e32 vcc_lo, s[4:5], v[14:15]
	s_or_b32 s27, vcc_lo, s27
	s_wait_alu 0xfffe
	s_and_not1_b32 exec_lo, exec_lo, s27
	s_cbranch_execz .LBB38_46
.LBB38_37:                              ; =>This Loop Header: Depth=1
                                        ;     Child Loop BB38_39 Depth 2
                                        ;     Child Loop BB38_43 Depth 2
	;; [unrolled: 1-line block ×3, first 2 shown]
	v_dual_mov_b32 v6, s20 :: v_dual_mov_b32 v7, s21
	v_dual_mov_b32 v9, s7 :: v_dual_mov_b32 v8, s6
	s_wait_alu 0xfffe
	s_and_not1_b32 vcc_lo, exec_lo, s9
	s_wait_alu 0xfffe
	s_cbranch_vccnz .LBB38_41
; %bb.38:                               ;   in Loop: Header=BB38_37 Depth=1
	v_dual_mov_b32 v6, s20 :: v_dual_mov_b32 v7, s21
	v_dual_mov_b32 v9, s7 :: v_dual_mov_b32 v8, s6
	s_mov_b32 s28, 0
.LBB38_39:                              ;   Parent Loop BB38_37 Depth=1
                                        ; =>  This Inner Loop Header: Depth=2
	s_delay_alu instid0(VALU_DEP_1) | instskip(SKIP_1) | instid1(VALU_DEP_2)
	v_add_co_u32 v1, vcc_lo, v8, v6
	s_wait_alu 0xfffd
	v_add_co_ci_u32_e64 v11, null, v9, v7, vcc_lo
	s_delay_alu instid0(VALU_DEP_1) | instskip(NEXT) | instid1(VALU_DEP_1)
	v_lshrrev_b32_e32 v10, 31, v11
	v_add_co_u32 v10, vcc_lo, v1, v10
	s_wait_alu 0xfffd
	v_add_co_ci_u32_e64 v11, null, 0, v11, vcc_lo
	s_delay_alu instid0(VALU_DEP_1) | instskip(NEXT) | instid1(VALU_DEP_1)
	v_ashrrev_i64 v[10:11], 1, v[10:11]
	v_lshlrev_b64_e32 v[12:13], 3, v[10:11]
	s_delay_alu instid0(VALU_DEP_1) | instskip(SKIP_1) | instid1(VALU_DEP_2)
	v_add_co_u32 v12, vcc_lo, s12, v12
	s_wait_alu 0xfffd
	v_add_co_ci_u32_e64 v13, null, s13, v13, vcc_lo
	global_load_b64 v[12:13], v[12:13], off
	s_wait_loadcnt 0x0
	v_sub_co_u32 v12, vcc_lo, v12, s26
	s_wait_alu 0xfffd
	v_subrev_co_ci_u32_e64 v13, null, 0, v13, vcc_lo
	s_delay_alu instid0(VALU_DEP_1) | instskip(SKIP_3) | instid1(VALU_DEP_2)
	v_cmp_lt_i64_e32 vcc_lo, v[14:15], v[12:13]
	s_wait_alu 0xfffd
	v_dual_cndmask_b32 v9, v9, v11 :: v_dual_cndmask_b32 v8, v8, v10
	v_dual_cndmask_b32 v7, v11, v7 :: v_dual_cndmask_b32 v6, v10, v6
	v_add_co_u32 v10, vcc_lo, v8, -1
	s_wait_alu 0xfffd
	s_delay_alu instid0(VALU_DEP_3) | instskip(NEXT) | instid1(VALU_DEP_3)
	v_add_co_ci_u32_e64 v11, null, -1, v9, vcc_lo
	v_cmp_ge_i64_e32 vcc_lo, v[6:7], v[8:9]
	s_delay_alu instid0(VALU_DEP_2)
	v_cmp_eq_u64_e64 s3, v[6:7], v[10:11]
	s_or_b32 s3, vcc_lo, s3
	s_wait_alu 0xfffe
	s_and_b32 s3, exec_lo, s3
	s_wait_alu 0xfffe
	s_or_b32 s28, s3, s28
	s_wait_alu 0xfffe
	s_and_not1_b32 exec_lo, exec_lo, s28
	s_cbranch_execnz .LBB38_39
; %bb.40:                               ;   in Loop: Header=BB38_37 Depth=1
	s_or_b32 exec_lo, exec_lo, s28
.LBB38_41:                              ;   in Loop: Header=BB38_37 Depth=1
	v_lshlrev_b64_e32 v[10:11], 3, v[8:9]
	v_lshlrev_b64_e32 v[12:13], 2, v[14:15]
	s_mov_b32 s3, exec_lo
	s_delay_alu instid0(VALU_DEP_2) | instskip(SKIP_1) | instid1(VALU_DEP_3)
	v_add_co_u32 v10, vcc_lo, s12, v10
	s_wait_alu 0xfffd
	v_add_co_ci_u32_e64 v11, null, s13, v11, vcc_lo
	s_delay_alu instid0(VALU_DEP_3)
	v_add_co_u32 v12, vcc_lo, s14, v12
	s_wait_alu 0xfffd
	v_add_co_ci_u32_e64 v13, null, s15, v13, vcc_lo
	global_load_b64 v[10:11], v[10:11], off
	global_load_b32 v1, v[12:13], off
	s_wait_loadcnt 0x1
	v_sub_co_u32 v10, vcc_lo, v10, s26
	s_wait_alu 0xfffd
	v_subrev_co_ci_u32_e64 v11, null, 0, v11, vcc_lo
	s_delay_alu instid0(VALU_DEP_1) | instskip(SKIP_2) | instid1(VALU_DEP_1)
	v_cmp_lt_i64_e32 vcc_lo, v[14:15], v[10:11]
	s_wait_loadcnt 0x0
	v_subrev_nc_u32_e32 v10, s26, v1
	v_ashrrev_i32_e32 v11, 31, v10
	s_wait_alu 0xfffd
	v_dual_cndmask_b32 v7, v9, v7 :: v_dual_cndmask_b32 v6, v8, v6
	s_delay_alu instid0(VALU_DEP_1)
	v_cmpx_ne_u64_e64 v[6:7], v[10:11]
	s_cbranch_execz .LBB38_36
; %bb.42:                               ;   in Loop: Header=BB38_37 Depth=1
	v_lshlrev_b64_e32 v[8:9], 4, v[14:15]
	v_lshlrev_b64_e32 v[6:7], 4, v[6:7]
	v_lshlrev_b64_e32 v[10:11], 4, v[10:11]
	s_mov_b32 s28, 0
	s_delay_alu instid0(VALU_DEP_3)
	v_add_co_u32 v8, vcc_lo, s16, v8
	s_wait_alu 0xfffd
	v_add_co_ci_u32_e64 v9, null, s17, v9, vcc_lo
	v_add_co_u32 v6, vcc_lo, s18, v6
	s_wait_alu 0xfffd
	v_add_co_ci_u32_e64 v7, null, s19, v7, vcc_lo
	global_load_b128 v[20:23], v[8:9], off
	v_add_co_u32 v16, vcc_lo, s10, v10
	global_load_b128 v[6:9], v[6:7], off
	s_wait_alu 0xfffd
	v_add_co_ci_u32_e64 v17, null, s11, v11, vcc_lo
	global_load_b64 v[12:13], v[16:17], off
	s_wait_loadcnt 0x2
	v_xor_b32_e32 v1, 0x80000000, v23
	s_delay_alu instid0(VALU_DEP_1) | instskip(NEXT) | instid1(VALU_DEP_1)
	v_cndmask_b32_e64 v23, v23, v1, s2
	v_mul_f64_e32 v[10:11], v[2:3], v[22:23]
	v_mul_f64_e64 v[22:23], v[22:23], -v[4:5]
	s_delay_alu instid0(VALU_DEP_2) | instskip(NEXT) | instid1(VALU_DEP_2)
	v_fma_f64 v[18:19], v[4:5], v[20:21], v[10:11]
	v_fma_f64 v[20:21], v[2:3], v[20:21], v[22:23]
	s_wait_loadcnt 0x1
	s_delay_alu instid0(VALU_DEP_2) | instskip(NEXT) | instid1(VALU_DEP_1)
	v_mul_f64_e64 v[10:11], v[8:9], -v[18:19]
	v_fma_f64 v[22:23], v[20:21], v[6:7], v[10:11]
.LBB38_43:                              ;   Parent Loop BB38_37 Depth=1
                                        ; =>  This Inner Loop Header: Depth=2
	s_wait_loadcnt 0x0
	s_delay_alu instid0(VALU_DEP_1)
	v_add_f64_e32 v[10:11], v[12:13], v[22:23]
	global_atomic_cmpswap_b64 v[10:11], v[16:17], v[10:13], off th:TH_ATOMIC_RETURN scope:SCOPE_DEV
	s_wait_loadcnt 0x0
	v_cmp_eq_u64_e32 vcc_lo, v[10:11], v[12:13]
	v_dual_mov_b32 v13, v11 :: v_dual_mov_b32 v12, v10
	s_wait_alu 0xfffe
	s_or_b32 s28, vcc_lo, s28
	s_wait_alu 0xfffe
	s_and_not1_b32 exec_lo, exec_lo, s28
	s_cbranch_execnz .LBB38_43
; %bb.44:                               ;   in Loop: Header=BB38_37 Depth=1
	s_or_b32 exec_lo, exec_lo, s28
	global_load_b64 v[10:11], v[16:17], off offset:8
	v_mul_f64_e32 v[8:9], v[8:9], v[20:21]
	s_mov_b32 s28, 0
	s_delay_alu instid0(VALU_DEP_1)
	v_fma_f64 v[6:7], v[18:19], v[6:7], v[8:9]
.LBB38_45:                              ;   Parent Loop BB38_37 Depth=1
                                        ; =>  This Inner Loop Header: Depth=2
	s_wait_loadcnt 0x0
	s_delay_alu instid0(VALU_DEP_1)
	v_add_f64_e32 v[8:9], v[10:11], v[6:7]
	global_atomic_cmpswap_b64 v[8:9], v[16:17], v[8:11], off offset:8 th:TH_ATOMIC_RETURN scope:SCOPE_DEV
	s_wait_loadcnt 0x0
	v_cmp_eq_u64_e32 vcc_lo, v[8:9], v[10:11]
	v_dual_mov_b32 v11, v9 :: v_dual_mov_b32 v10, v8
	s_wait_alu 0xfffe
	s_or_b32 s28, vcc_lo, s28
	s_wait_alu 0xfffe
	s_and_not1_b32 exec_lo, exec_lo, s28
	s_cbranch_execnz .LBB38_45
	s_branch .LBB38_36
.LBB38_46:
	s_or_b32 exec_lo, exec_lo, s8
	s_mov_b32 s3, 0
.LBB38_47:
	s_wait_alu 0xfffe
	s_and_b32 vcc_lo, exec_lo, s3
	s_wait_alu 0xfffe
	s_cbranch_vccz .LBB38_199
; %bb.48:
	s_load_b32 s3, s[0:1], 0x7c
	s_mov_b32 s27, 0
	s_mov_b64 s[34:35], 0
	s_wait_alu 0xfffe
	s_mov_b32 s29, s27
	s_wait_kmcnt 0x0
	s_and_b32 s28, s3, 0xffff
	s_wait_alu 0xfffe
	v_cmp_lt_u64_e64 s3, s[28:29], s[24:25]
	s_and_b32 vcc_lo, exec_lo, s3
	s_wait_alu 0xfffe
	s_cbranch_vccnz .LBB38_50
; %bb.49:
	v_cvt_f32_u32_e32 v1, s24
	s_sub_co_i32 s4, 0, s24
	s_delay_alu instid0(VALU_DEP_1) | instskip(NEXT) | instid1(TRANS32_DEP_1)
	v_rcp_iflag_f32_e32 v1, v1
	v_mul_f32_e32 v1, 0x4f7ffffe, v1
	s_delay_alu instid0(VALU_DEP_1) | instskip(NEXT) | instid1(VALU_DEP_1)
	v_cvt_u32_f32_e32 v1, v1
	v_readfirstlane_b32 s3, v1
	s_wait_alu 0xfffe
	s_mul_i32 s4, s4, s3
	s_wait_alu 0xfffe
	s_mul_hi_u32 s4, s3, s4
	s_wait_alu 0xfffe
	s_add_co_i32 s3, s3, s4
	s_wait_alu 0xfffe
	s_mul_hi_u32 s3, s28, s3
	s_wait_alu 0xfffe
	s_mul_i32 s4, s3, s24
	s_add_co_i32 s5, s3, 1
	s_wait_alu 0xfffe
	s_sub_co_i32 s4, s28, s4
	s_wait_alu 0xfffe
	s_sub_co_i32 s6, s4, s24
	s_cmp_ge_u32 s4, s24
	s_cselect_b32 s3, s5, s3
	s_wait_alu 0xfffe
	s_cselect_b32 s4, s6, s4
	s_add_co_i32 s5, s3, 1
	s_wait_alu 0xfffe
	s_cmp_ge_u32 s4, s24
	s_cselect_b32 s34, s5, s3
.LBB38_50:
	s_lshl_b64 s[4:5], s[20:21], 3
	s_wait_alu 0xfffe
	s_add_nc_u64 s[30:31], s[12:13], s[4:5]
	s_load_b64 s[8:9], s[30:31], 0x0
	s_load_b128 s[4:7], s[0:1], 0x8
	v_sub_co_u32 v1, s0, v0, s26
	s_delay_alu instid0(VALU_DEP_1) | instskip(SKIP_1) | instid1(VALU_DEP_2)
	v_sub_co_ci_u32_e64 v6, null, 0, 0, s0
	s_wait_kmcnt 0x0
	v_add_co_u32 v14, vcc_lo, s8, v1
	s_wait_alu 0xfffd
	s_delay_alu instid0(VALU_DEP_2) | instskip(SKIP_1) | instid1(VALU_DEP_3)
	v_add_co_ci_u32_e64 v15, null, s9, v6, vcc_lo
	v_mov_b32_e32 v1, 0
	v_add_co_u32 v16, vcc_lo, 0x300, v14
	s_wait_alu 0xfffd
	s_delay_alu instid0(VALU_DEP_3) | instskip(NEXT) | instid1(VALU_DEP_1)
	v_add_co_ci_u32_e64 v17, null, 0, v15, vcc_lo
	v_cmp_le_i64_e32 vcc_lo, s[4:5], v[16:17]
	s_and_saveexec_b32 s0, vcc_lo
	s_wait_alu 0xfffe
	s_xor_b32 s3, exec_lo, s0
	s_cbranch_execnz .LBB38_53
; %bb.51:
	s_wait_alu 0xfffe
	s_and_not1_saveexec_b32 s1, s3
	s_cbranch_execnz .LBB38_57
.LBB38_52:
	s_wait_alu 0xfffe
	s_or_b32 exec_lo, exec_lo, s1
	s_delay_alu instid0(SALU_CYCLE_1)
	s_mov_b32 s1, exec_lo
	v_cmpx_gt_i64_e64 s[6:7], v[0:1]
	s_cbranch_execnz .LBB38_58
	s_branch .LBB38_60
.LBB38_53:
	s_lshl_b64 s[0:1], s[22:23], 3
	s_mov_b32 s29, exec_lo
	s_wait_alu 0xfffe
	s_add_nc_u64 s[0:1], s[12:13], s[0:1]
	s_load_b64 s[0:1], s[0:1], 0x0
	s_wait_kmcnt 0x0
	s_sub_nc_u64 s[4:5], s[0:1], s[8:9]
	s_wait_alu 0xfffe
	v_cmpx_gt_i64_e64 s[4:5], v[0:1]
	s_cbranch_execz .LBB38_56
; %bb.54:
	v_lshlrev_b64_e32 v[6:7], 4, v[14:15]
	v_dual_mov_b32 v10, v26 :: v_dual_mov_b32 v9, v1
	v_mov_b32_e32 v8, v0
	s_mov_b32 s33, 0
	s_delay_alu instid0(VALU_DEP_3) | instskip(SKIP_2) | instid1(VALU_DEP_2)
	v_add_co_u32 v6, s0, s16, v6
	s_wait_alu 0xf1ff
	v_add_co_ci_u32_e64 v7, null, s17, v7, s0
	v_add_co_u32 v6, s0, v6, 8
	s_wait_alu 0xf1ff
	s_delay_alu instid0(VALU_DEP_2)
	v_add_co_ci_u32_e64 v7, null, 0, v7, s0
.LBB38_55:                              ; =>This Inner Loop Header: Depth=1
	global_load_b128 v[18:21], v[6:7], off offset:-8
	v_add_co_u32 v8, s0, 0x100, v8
	s_wait_alu 0xf1ff
	v_add_co_ci_u32_e64 v9, null, 0, v9, s0
	v_add_co_u32 v6, s0, 0x1000, v6
	s_wait_alu 0xf1ff
	v_add_co_ci_u32_e64 v7, null, 0, v7, s0
	s_delay_alu instid0(VALU_DEP_3) | instskip(SKIP_3) | instid1(VALU_DEP_1)
	v_cmp_le_i64_e64 s1, s[4:5], v[8:9]
	s_or_b32 s33, s1, s33
	s_wait_loadcnt 0x0
	v_xor_b32_e32 v11, 0x80000000, v21
	v_cndmask_b32_e64 v21, v21, v11, s2
	s_delay_alu instid0(VALU_DEP_1) | instskip(SKIP_1) | instid1(VALU_DEP_2)
	v_mul_f64_e64 v[11:12], v[20:21], -v[4:5]
	v_mul_f64_e32 v[22:23], v[2:3], v[20:21]
	v_fma_f64 v[20:21], v[2:3], v[18:19], v[11:12]
	s_delay_alu instid0(VALU_DEP_2)
	v_fma_f64 v[22:23], v[4:5], v[18:19], v[22:23]
	ds_store_b128 v10, v[20:23]
	v_add_nc_u32_e32 v10, 0x1000, v10
	s_and_not1_b32 exec_lo, exec_lo, s33
	s_cbranch_execnz .LBB38_55
.LBB38_56:
	s_or_b32 exec_lo, exec_lo, s29
                                        ; implicit-def: $vgpr4_vgpr5
	s_and_not1_saveexec_b32 s1, s3
	s_cbranch_execz .LBB38_52
.LBB38_57:
	v_lshlrev_b64_e32 v[6:7], 4, v[14:15]
	s_delay_alu instid0(VALU_DEP_1) | instskip(SKIP_1) | instid1(VALU_DEP_2)
	v_add_co_u32 v22, s0, s16, v6
	s_wait_alu 0xf1ff
	v_add_co_ci_u32_e64 v23, null, s17, v7, s0
	s_clause 0x3
	global_load_b128 v[6:9], v[22:23], off
	global_load_b128 v[10:13], v[22:23], off offset:4096
	global_load_b128 v[18:21], v[22:23], off offset:8192
	;; [unrolled: 1-line block ×3, first 2 shown]
	s_wait_loadcnt 0x3
	v_xor_b32_e32 v27, 0x80000000, v9
	s_wait_loadcnt 0x2
	v_xor_b32_e32 v28, 0x80000000, v13
	;; [unrolled: 2-line block ×4, first 2 shown]
	v_cndmask_b32_e64 v9, v9, v27, s2
	v_cndmask_b32_e64 v13, v13, v28, s2
	;; [unrolled: 1-line block ×3, first 2 shown]
	s_delay_alu instid0(VALU_DEP_4) | instskip(NEXT) | instid1(VALU_DEP_4)
	v_cndmask_b32_e64 v25, v25, v30, s2
	v_mul_f64_e64 v[27:28], v[8:9], -v[4:5]
	v_mul_f64_e32 v[8:9], v[2:3], v[8:9]
	v_mul_f64_e64 v[31:32], v[12:13], -v[4:5]
	v_mul_f64_e32 v[12:13], v[2:3], v[12:13]
	;; [unrolled: 2-line block ×4, first 2 shown]
	v_fma_f64 v[27:28], v[2:3], v[6:7], v[27:28]
	v_fma_f64 v[29:30], v[4:5], v[6:7], v[8:9]
	;; [unrolled: 1-line block ×8, first 2 shown]
	ds_store_b128 v26, v[27:30]
	ds_store_b128 v26, v[6:9] offset:4096
	ds_store_b128 v26, v[10:13] offset:8192
	;; [unrolled: 1-line block ×3, first 2 shown]
	s_wait_alu 0xfffe
	s_or_b32 exec_lo, exec_lo, s1
	s_delay_alu instid0(SALU_CYCLE_1)
	s_mov_b32 s1, exec_lo
	v_cmpx_gt_i64_e64 s[6:7], v[0:1]
	s_cbranch_execz .LBB38_60
.LBB38_58:
	s_mov_b32 s2, 0
	v_lshl_add_u32 v8, v0, 4, 0x4000
	s_wait_alu 0xfffe
	s_mov_b32 s3, s2
	s_mov_b32 s4, s2
	;; [unrolled: 1-line block ×3, first 2 shown]
	s_wait_alu 0xfffe
	v_dual_mov_b32 v2, s2 :: v_dual_mov_b32 v3, s3
	v_dual_mov_b32 v4, s4 :: v_dual_mov_b32 v5, s5
	;; [unrolled: 1-line block ×3, first 2 shown]
.LBB38_59:                              ; =>This Inner Loop Header: Depth=1
	s_delay_alu instid0(VALU_DEP_1) | instskip(SKIP_1) | instid1(VALU_DEP_2)
	v_add_co_u32 v6, s0, 0x100, v6
	s_wait_alu 0xf1ff
	v_add_co_ci_u32_e64 v7, null, 0, v7, s0
	ds_store_2addr_b64 v8, v[2:3], v[4:5] offset1:1
	v_add_nc_u32_e32 v8, 0x1000, v8
	v_cmp_le_i64_e64 s0, s[6:7], v[6:7]
	s_or_b32 s2, s0, s2
	s_wait_alu 0xfffe
	s_and_not1_b32 exec_lo, exec_lo, s2
	s_cbranch_execnz .LBB38_59
.LBB38_60:
	s_wait_alu 0xfffe
	s_or_b32 exec_lo, exec_lo, s1
	v_cmp_ge_i64_e64 s2, s[22:23], s[6:7]
	s_sub_nc_u64 s[0:1], s[22:23], s[6:7]
	s_wait_loadcnt_dscnt 0x0
	s_barrier_signal -1
	s_barrier_wait -1
	global_inv scope:SCOPE_SE
	s_and_b32 s2, s2, exec_lo
	s_wait_alu 0xfffe
	s_cselect_b32 s3, s1, 0
	s_cselect_b32 s2, s0, 0
	s_and_saveexec_b32 s0, vcc_lo
	s_wait_alu 0xfffe
	s_xor_b32 s29, exec_lo, s0
	s_cbranch_execz .LBB38_85
; %bb.61:
	s_lshl_b64 s[0:1], s[22:23], 3
	s_mov_b32 s33, exec_lo
	s_wait_alu 0xfffe
	s_add_nc_u64 s[0:1], s[12:13], s[0:1]
	s_load_b64 s[0:1], s[0:1], 0x0
	s_wait_kmcnt 0x0
	s_sub_nc_u64 s[4:5], s[0:1], s[8:9]
	s_wait_alu 0xfffe
	v_cmpx_gt_i64_e64 s[4:5], v[0:1]
	s_cbranch_execz .LBB38_84
; %bb.62:
	s_add_nc_u64 s[16:17], s[22:23], -2
	s_sub_nc_u64 s[36:37], s[0:1], s[26:27]
	s_wait_alu 0xfffe
	s_cmp_lg_u64 s[20:21], s[16:17]
	s_add_nc_u64 s[16:17], s[22:23], -1
	s_cselect_b32 s35, -1, 0
	s_mov_b64 s[38:39], 0
	s_mov_b32 s1, 0
	s_branch .LBB38_65
.LBB38_63:                              ;   in Loop: Header=BB38_65 Depth=1
	s_wait_alu 0xfffe
	s_or_b32 exec_lo, exec_lo, s0
.LBB38_64:                              ;   in Loop: Header=BB38_65 Depth=1
	s_delay_alu instid0(SALU_CYCLE_1) | instskip(SKIP_2) | instid1(VALU_DEP_1)
	s_or_b32 exec_lo, exec_lo, s40
	v_lshlrev_b64_e32 v[6:7], 4, v[16:17]
	s_add_nc_u64 s[38:39], s[38:39], 0x100
	v_add_co_u32 v6, vcc_lo, s18, v6
	s_wait_alu 0xfffd
	s_delay_alu instid0(VALU_DEP_2) | instskip(SKIP_4) | instid1(VALU_DEP_2)
	v_add_co_ci_u32_e64 v7, null, s19, v7, vcc_lo
	global_load_b128 v[6:9], v[6:7], off
	s_wait_loadcnt 0x0
	v_mul_f64_e32 v[10:11], v[8:9], v[18:19]
	v_mul_f64_e32 v[8:9], v[8:9], v[2:3]
	v_fma_f64 v[2:3], v[2:3], v[6:7], v[10:11]
	s_delay_alu instid0(VALU_DEP_2) | instskip(SKIP_4) | instid1(VALU_DEP_1)
	v_fma_f64 v[4:5], v[4:5], v[6:7], v[8:9]
	s_wait_alu 0xfffe
	v_add_co_u32 v6, s0, s38, v0
	s_wait_alu 0xf1ff
	v_add_co_ci_u32_e64 v7, null, s39, 0, s0
	v_cmp_le_i64_e32 vcc_lo, s[4:5], v[6:7]
	v_lshlrev_b32_e32 v6, 4, v24
	s_or_b32 s1, vcc_lo, s1
	ds_store_b128 v6, v[2:5]
	s_wait_alu 0xfffe
	s_and_not1_b32 exec_lo, exec_lo, s1
	s_cbranch_execz .LBB38_84
.LBB38_65:                              ; =>This Loop Header: Depth=1
                                        ;     Child Loop BB38_67 Depth 2
                                        ;     Child Loop BB38_74 Depth 2
	;; [unrolled: 1-line block ×5, first 2 shown]
	v_add_co_u32 v2, vcc_lo, s38, v14
	s_wait_alu 0xfffd
	v_add_co_ci_u32_e64 v3, null, s39, v15, vcc_lo
	v_dual_mov_b32 v4, s20 :: v_dual_mov_b32 v5, s21
	s_wait_alu 0xfffe
	v_dual_mov_b32 v6, s16 :: v_dual_mov_b32 v7, s17
	s_and_not1_b32 vcc_lo, exec_lo, s35
	s_wait_alu 0xfffe
	s_cbranch_vccnz .LBB38_69
; %bb.66:                               ;   in Loop: Header=BB38_65 Depth=1
	v_dual_mov_b32 v4, s20 :: v_dual_mov_b32 v5, s21
	v_dual_mov_b32 v6, s16 :: v_dual_mov_b32 v7, s17
	s_mov_b32 s40, 0
.LBB38_67:                              ;   Parent Loop BB38_65 Depth=1
                                        ; =>  This Inner Loop Header: Depth=2
	s_delay_alu instid0(VALU_DEP_1) | instskip(SKIP_1) | instid1(VALU_DEP_2)
	v_add_co_u32 v8, vcc_lo, v6, v4
	s_wait_alu 0xfffd
	v_add_co_ci_u32_e64 v9, null, v7, v5, vcc_lo
	s_delay_alu instid0(VALU_DEP_1) | instskip(NEXT) | instid1(VALU_DEP_1)
	v_lshrrev_b32_e32 v10, 31, v9
	v_add_co_u32 v8, vcc_lo, v8, v10
	s_wait_alu 0xfffd
	v_add_co_ci_u32_e64 v9, null, 0, v9, vcc_lo
	s_delay_alu instid0(VALU_DEP_1) | instskip(NEXT) | instid1(VALU_DEP_1)
	v_ashrrev_i64 v[8:9], 1, v[8:9]
	v_lshlrev_b64_e32 v[10:11], 3, v[8:9]
	s_delay_alu instid0(VALU_DEP_1) | instskip(SKIP_1) | instid1(VALU_DEP_2)
	v_add_co_u32 v10, vcc_lo, s12, v10
	s_wait_alu 0xfffd
	v_add_co_ci_u32_e64 v11, null, s13, v11, vcc_lo
	global_load_b64 v[10:11], v[10:11], off
	s_wait_loadcnt 0x0
	v_sub_co_u32 v10, vcc_lo, v10, s26
	s_wait_alu 0xfffd
	v_subrev_co_ci_u32_e64 v11, null, 0, v11, vcc_lo
	s_delay_alu instid0(VALU_DEP_1) | instskip(SKIP_3) | instid1(VALU_DEP_2)
	v_cmp_lt_i64_e32 vcc_lo, v[2:3], v[10:11]
	s_wait_alu 0xfffd
	v_dual_cndmask_b32 v7, v7, v9 :: v_dual_cndmask_b32 v6, v6, v8
	v_dual_cndmask_b32 v5, v9, v5 :: v_dual_cndmask_b32 v4, v8, v4
	v_add_co_u32 v8, vcc_lo, v6, -1
	s_wait_alu 0xfffd
	s_delay_alu instid0(VALU_DEP_3) | instskip(NEXT) | instid1(VALU_DEP_3)
	v_add_co_ci_u32_e64 v9, null, -1, v7, vcc_lo
	v_cmp_ge_i64_e32 vcc_lo, v[4:5], v[6:7]
	s_delay_alu instid0(VALU_DEP_2)
	v_cmp_eq_u64_e64 s0, v[4:5], v[8:9]
	s_or_b32 s0, vcc_lo, s0
	s_wait_alu 0xfffe
	s_and_b32 s0, exec_lo, s0
	s_wait_alu 0xfffe
	s_or_b32 s40, s0, s40
	s_delay_alu instid0(SALU_CYCLE_1)
	s_and_not1_b32 exec_lo, exec_lo, s40
	s_cbranch_execnz .LBB38_67
; %bb.68:                               ;   in Loop: Header=BB38_65 Depth=1
	s_or_b32 exec_lo, exec_lo, s40
.LBB38_69:                              ;   in Loop: Header=BB38_65 Depth=1
	s_delay_alu instid0(VALU_DEP_1) | instskip(SKIP_3) | instid1(VALU_DEP_4)
	v_lshlrev_b64_e32 v[8:9], 3, v[6:7]
	v_lshlrev_b64_e32 v[10:11], 2, v[2:3]
	v_add_co_u32 v24, null, s38, v0
	v_cmp_le_i64_e64 s0, s[36:37], v[2:3]
                                        ; implicit-def: $vgpr18_vgpr19
	v_add_co_u32 v8, vcc_lo, s12, v8
	s_wait_alu 0xfffd
	v_add_co_ci_u32_e64 v9, null, s13, v9, vcc_lo
	v_add_co_u32 v10, vcc_lo, s14, v10
	s_wait_alu 0xfffd
	v_add_co_ci_u32_e64 v11, null, s15, v11, vcc_lo
	global_load_b64 v[8:9], v[8:9], off
	global_load_b32 v10, v[10:11], off
	s_wait_loadcnt 0x1
	v_sub_co_u32 v8, vcc_lo, v8, s26
	s_wait_alu 0xfffd
	v_subrev_co_ci_u32_e64 v9, null, 0, v9, vcc_lo
	s_wait_loadcnt 0x0
	v_subrev_nc_u32_e32 v16, s26, v10
	v_lshlrev_b32_e32 v10, 4, v24
	s_delay_alu instid0(VALU_DEP_3) | instskip(NEXT) | instid1(VALU_DEP_3)
	v_cmp_lt_i64_e32 vcc_lo, v[2:3], v[8:9]
	v_ashrrev_i32_e32 v17, 31, v16
	s_wait_alu 0xfffd
	v_dual_cndmask_b32 v7, v7, v5 :: v_dual_cndmask_b32 v6, v6, v4
                                        ; implicit-def: $vgpr2_vgpr3
	s_delay_alu instid0(VALU_DEP_1) | instskip(SKIP_3) | instid1(SALU_CYCLE_1)
	v_cmp_eq_u64_e32 vcc_lo, v[6:7], v[16:17]
	s_or_b32 s0, vcc_lo, s0
	s_wait_alu 0xfffe
	s_and_saveexec_b32 s40, s0
	s_xor_b32 s0, exec_lo, s40
	s_cbranch_execz .LBB38_71
; %bb.70:                               ;   in Loop: Header=BB38_65 Depth=1
	ds_load_b128 v[2:5], v10
                                        ; implicit-def: $vgpr6_vgpr7
                                        ; implicit-def: $vgpr10
	s_wait_dscnt 0x0
	v_xor_b32_e32 v19, 0x80000000, v5
	v_mov_b32_e32 v18, v4
.LBB38_71:                              ;   in Loop: Header=BB38_65 Depth=1
	s_wait_alu 0xfffe
	s_and_not1_saveexec_b32 s40, s0
	s_cbranch_execz .LBB38_64
; %bb.72:                               ;   in Loop: Header=BB38_65 Depth=1
	v_cmp_gt_i64_e32 vcc_lo, s[2:3], v[16:17]
	v_cmp_le_i64_e64 s0, s[22:23], v[16:17]
	v_lshlrev_b64_e32 v[6:7], 4, v[6:7]
                                        ; implicit-def: $vgpr2_vgpr3
                                        ; implicit-def: $vgpr18_vgpr19
	s_or_b32 s0, vcc_lo, s0
	s_wait_alu 0xfffe
	s_and_saveexec_b32 s41, s0
	s_delay_alu instid0(SALU_CYCLE_1)
	s_xor_b32 s0, exec_lo, s41
	s_cbranch_execz .LBB38_78
; %bb.73:                               ;   in Loop: Header=BB38_65 Depth=1
	v_add_co_u32 v2, vcc_lo, s18, v6
	s_wait_alu 0xfffd
	v_add_co_ci_u32_e64 v3, null, s19, v7, vcc_lo
	s_mov_b32 s41, 0
	global_load_b128 v[6:9], v[2:3], off
	v_lshlrev_b64_e32 v[2:3], 4, v[16:17]
	s_delay_alu instid0(VALU_DEP_1) | instskip(SKIP_1) | instid1(VALU_DEP_2)
	v_add_co_u32 v20, vcc_lo, s10, v2
	s_wait_alu 0xfffd
	v_add_co_ci_u32_e64 v21, null, s11, v3, vcc_lo
	ds_load_b128 v[2:5], v10
	global_load_b64 v[12:13], v[20:21], off
	s_wait_dscnt 0x0
	v_xor_b32_e32 v19, 0x80000000, v5
	v_mov_b32_e32 v18, v4
	s_wait_loadcnt 0x1
	v_mul_f64_e64 v[10:11], v[8:9], -v[4:5]
	s_delay_alu instid0(VALU_DEP_1)
	v_fma_f64 v[22:23], v[2:3], v[6:7], v[10:11]
.LBB38_74:                              ;   Parent Loop BB38_65 Depth=1
                                        ; =>  This Inner Loop Header: Depth=2
	s_wait_loadcnt 0x0
	s_delay_alu instid0(VALU_DEP_1)
	v_add_f64_e32 v[10:11], v[12:13], v[22:23]
	global_atomic_cmpswap_b64 v[10:11], v[20:21], v[10:13], off th:TH_ATOMIC_RETURN scope:SCOPE_DEV
	s_wait_loadcnt 0x0
	v_cmp_eq_u64_e32 vcc_lo, v[10:11], v[12:13]
	v_dual_mov_b32 v13, v11 :: v_dual_mov_b32 v12, v10
	s_or_b32 s41, vcc_lo, s41
	s_delay_alu instid0(SALU_CYCLE_1)
	s_and_not1_b32 exec_lo, exec_lo, s41
	s_cbranch_execnz .LBB38_74
; %bb.75:                               ;   in Loop: Header=BB38_65 Depth=1
	s_or_b32 exec_lo, exec_lo, s41
	global_load_b64 v[10:11], v[20:21], off offset:8
	v_mul_f64_e32 v[8:9], v[8:9], v[2:3]
	s_mov_b32 s41, 0
	s_delay_alu instid0(VALU_DEP_1)
	v_fma_f64 v[6:7], v[4:5], v[6:7], v[8:9]
.LBB38_76:                              ;   Parent Loop BB38_65 Depth=1
                                        ; =>  This Inner Loop Header: Depth=2
	s_wait_loadcnt 0x0
	s_delay_alu instid0(VALU_DEP_1)
	v_add_f64_e32 v[8:9], v[10:11], v[6:7]
	global_atomic_cmpswap_b64 v[8:9], v[20:21], v[8:11], off offset:8 th:TH_ATOMIC_RETURN scope:SCOPE_DEV
	s_wait_loadcnt 0x0
	v_cmp_eq_u64_e32 vcc_lo, v[8:9], v[10:11]
	v_dual_mov_b32 v11, v9 :: v_dual_mov_b32 v10, v8
	s_or_b32 s41, vcc_lo, s41
	s_delay_alu instid0(SALU_CYCLE_1)
	s_and_not1_b32 exec_lo, exec_lo, s41
	s_cbranch_execnz .LBB38_76
; %bb.77:                               ;   in Loop: Header=BB38_65 Depth=1
	s_or_b32 exec_lo, exec_lo, s41
                                        ; implicit-def: $vgpr6_vgpr7
                                        ; implicit-def: $vgpr10
.LBB38_78:                              ;   in Loop: Header=BB38_65 Depth=1
	s_wait_alu 0xfffe
	s_and_not1_saveexec_b32 s0, s0
	s_cbranch_execz .LBB38_63
; %bb.79:                               ;   in Loop: Header=BB38_65 Depth=1
	v_add_co_u32 v2, vcc_lo, s18, v6
	s_wait_alu 0xfffd
	v_add_co_ci_u32_e64 v3, null, s19, v7, vcc_lo
	v_subrev_nc_u32_e32 v12, s2, v16
	s_mov_b32 s41, 0
	global_load_b128 v[6:9], v[2:3], off
	ds_load_b128 v[2:5], v10
	v_lshl_add_u32 v20, v12, 4, 0x4000
	ds_load_b64 v[12:13], v20
	s_wait_dscnt 0x1
	v_xor_b32_e32 v19, 0x80000000, v5
	v_mov_b32_e32 v18, v4
	s_wait_loadcnt 0x0
	v_mul_f64_e64 v[10:11], v[8:9], -v[4:5]
	s_delay_alu instid0(VALU_DEP_1)
	v_fma_f64 v[10:11], v[2:3], v[6:7], v[10:11]
.LBB38_80:                              ;   Parent Loop BB38_65 Depth=1
                                        ; =>  This Inner Loop Header: Depth=2
	s_wait_dscnt 0x0
	s_delay_alu instid0(VALU_DEP_1)
	v_add_f64_e32 v[21:22], v[12:13], v[10:11]
	ds_cmpstore_rtn_b64 v[21:22], v20, v[21:22], v[12:13]
	s_wait_dscnt 0x0
	v_cmp_eq_u64_e32 vcc_lo, v[21:22], v[12:13]
	v_dual_mov_b32 v12, v21 :: v_dual_mov_b32 v13, v22
	s_or_b32 s41, vcc_lo, s41
	s_delay_alu instid0(SALU_CYCLE_1)
	s_and_not1_b32 exec_lo, exec_lo, s41
	s_cbranch_execnz .LBB38_80
; %bb.81:                               ;   in Loop: Header=BB38_65 Depth=1
	s_or_b32 exec_lo, exec_lo, s41
	v_mul_f64_e32 v[8:9], v[8:9], v[2:3]
	s_mov_b32 s41, 0
	s_delay_alu instid0(VALU_DEP_1)
	v_fma_f64 v[6:7], v[4:5], v[6:7], v[8:9]
	ds_load_b64 v[8:9], v20 offset:8
.LBB38_82:                              ;   Parent Loop BB38_65 Depth=1
                                        ; =>  This Inner Loop Header: Depth=2
	s_wait_dscnt 0x0
	v_add_f64_e32 v[10:11], v[8:9], v[6:7]
	ds_cmpstore_rtn_b64 v[10:11], v20, v[10:11], v[8:9] offset:8
	s_wait_dscnt 0x0
	v_cmp_eq_u64_e32 vcc_lo, v[10:11], v[8:9]
	v_dual_mov_b32 v8, v10 :: v_dual_mov_b32 v9, v11
	s_or_b32 s41, vcc_lo, s41
	s_delay_alu instid0(SALU_CYCLE_1)
	s_and_not1_b32 exec_lo, exec_lo, s41
	s_cbranch_execnz .LBB38_82
; %bb.83:                               ;   in Loop: Header=BB38_65 Depth=1
	s_or_b32 exec_lo, exec_lo, s41
	s_branch .LBB38_63
.LBB38_84:
	s_or_b32 exec_lo, exec_lo, s33
                                        ; implicit-def: $vgpr16_vgpr17
                                        ; implicit-def: $vgpr14
.LBB38_85:
	s_wait_alu 0xfffe
	s_and_not1_saveexec_b32 s1, s29
	s_cbranch_execz .LBB38_159
; %bb.86:
	s_add_nc_u64 s[4:5], s[22:23], -1
	s_add_nc_u64 s[36:37], s[22:23], -2
	v_dual_mov_b32 v2, s20 :: v_dual_mov_b32 v3, s21
	s_wait_alu 0xfffe
	v_dual_mov_b32 v4, s4 :: v_dual_mov_b32 v5, s5
	s_cmp_lg_u64 s[20:21], s[36:37]
	s_cselect_b32 s16, -1, 0
	s_cmp_eq_u64 s[20:21], s[36:37]
	s_cbranch_scc1 .LBB38_90
; %bb.87:
	v_dual_mov_b32 v2, s20 :: v_dual_mov_b32 v3, s21
	v_dual_mov_b32 v4, s4 :: v_dual_mov_b32 v5, s5
	s_mov_b32 s17, 0
.LBB38_88:                              ; =>This Inner Loop Header: Depth=1
	s_delay_alu instid0(VALU_DEP_1) | instskip(SKIP_1) | instid1(VALU_DEP_2)
	v_add_co_u32 v6, vcc_lo, v4, v2
	s_wait_alu 0xfffd
	v_add_co_ci_u32_e64 v7, null, v5, v3, vcc_lo
	s_delay_alu instid0(VALU_DEP_1) | instskip(NEXT) | instid1(VALU_DEP_1)
	v_lshrrev_b32_e32 v8, 31, v7
	v_add_co_u32 v6, vcc_lo, v6, v8
	s_wait_alu 0xfffd
	v_add_co_ci_u32_e64 v7, null, 0, v7, vcc_lo
	s_delay_alu instid0(VALU_DEP_1) | instskip(NEXT) | instid1(VALU_DEP_1)
	v_ashrrev_i64 v[6:7], 1, v[6:7]
	v_lshlrev_b64_e32 v[8:9], 3, v[6:7]
	s_delay_alu instid0(VALU_DEP_1) | instskip(SKIP_1) | instid1(VALU_DEP_2)
	v_add_co_u32 v8, vcc_lo, s12, v8
	s_wait_alu 0xfffd
	v_add_co_ci_u32_e64 v9, null, s13, v9, vcc_lo
	global_load_b64 v[8:9], v[8:9], off
	s_wait_loadcnt 0x0
	v_sub_co_u32 v8, vcc_lo, v8, s26
	s_wait_alu 0xfffd
	v_subrev_co_ci_u32_e64 v9, null, 0, v9, vcc_lo
	s_delay_alu instid0(VALU_DEP_1) | instskip(SKIP_3) | instid1(VALU_DEP_2)
	v_cmp_lt_i64_e32 vcc_lo, v[14:15], v[8:9]
	s_wait_alu 0xfffd
	v_dual_cndmask_b32 v5, v5, v7 :: v_dual_cndmask_b32 v4, v4, v6
	v_dual_cndmask_b32 v3, v7, v3 :: v_dual_cndmask_b32 v2, v6, v2
	v_add_co_u32 v6, vcc_lo, v4, -1
	s_wait_alu 0xfffd
	s_delay_alu instid0(VALU_DEP_3) | instskip(NEXT) | instid1(VALU_DEP_3)
	v_add_co_ci_u32_e64 v7, null, -1, v5, vcc_lo
	v_cmp_ge_i64_e32 vcc_lo, v[2:3], v[4:5]
	s_delay_alu instid0(VALU_DEP_2)
	v_cmp_eq_u64_e64 s0, v[2:3], v[6:7]
	s_or_b32 s0, vcc_lo, s0
	s_wait_alu 0xfffe
	s_and_b32 s0, exec_lo, s0
	s_wait_alu 0xfffe
	s_or_b32 s17, s0, s17
	s_wait_alu 0xfffe
	s_and_not1_b32 exec_lo, exec_lo, s17
	s_cbranch_execnz .LBB38_88
; %bb.89:
	s_or_b32 exec_lo, exec_lo, s17
.LBB38_90:
	v_lshlrev_b64_e32 v[6:7], 3, v[4:5]
	v_lshlrev_b64_e32 v[8:9], 2, v[14:15]
	s_mov_b32 s17, exec_lo
	s_delay_alu instid0(VALU_DEP_2) | instskip(SKIP_1) | instid1(VALU_DEP_3)
	v_add_co_u32 v6, vcc_lo, s12, v6
	s_wait_alu 0xfffd
	v_add_co_ci_u32_e64 v7, null, s13, v7, vcc_lo
	s_delay_alu instid0(VALU_DEP_3)
	v_add_co_u32 v18, vcc_lo, s14, v8
	s_wait_alu 0xfffd
	v_add_co_ci_u32_e64 v19, null, s15, v9, vcc_lo
	global_load_b64 v[6:7], v[6:7], off
	s_lshl_b64 s[14:15], s[22:23], 3
	global_load_b32 v8, v[18:19], off
	s_wait_alu 0xfffe
	s_add_nc_u64 s[14:15], s[12:13], s[14:15]
	s_wait_loadcnt 0x1
	v_sub_co_u32 v6, vcc_lo, v6, s26
	s_wait_alu 0xfffd
	v_subrev_co_ci_u32_e64 v7, null, 0, v7, vcc_lo
	s_wait_loadcnt 0x0
	v_subrev_nc_u32_e32 v20, s26, v8
	s_delay_alu instid0(VALU_DEP_2) | instskip(NEXT) | instid1(VALU_DEP_2)
	v_cmp_lt_i64_e32 vcc_lo, v[14:15], v[6:7]
	v_ashrrev_i32_e32 v21, 31, v20
	s_wait_alu 0xfffd
	v_dual_cndmask_b32 v3, v5, v3 :: v_dual_cndmask_b32 v2, v4, v2
	s_delay_alu instid0(VALU_DEP_1)
	v_cmpx_ne_u64_e64 v[2:3], v[20:21]
	s_cbranch_execz .LBB38_104
; %bb.91:
	s_load_b64 s[36:37], s[14:15], 0x0
	s_wait_kmcnt 0x0
	s_sub_nc_u64 s[36:37], s[36:37], s[26:27]
	s_wait_alu 0xfffe
	v_cmp_gt_i64_e32 vcc_lo, s[36:37], v[14:15]
	s_and_b32 exec_lo, exec_lo, vcc_lo
	s_cbranch_execz .LBB38_104
; %bb.92:
	v_cmp_gt_i64_e32 vcc_lo, s[2:3], v[20:21]
	v_cmp_le_i64_e64 s0, s[22:23], v[20:21]
	v_lshlrev_b64_e32 v[2:3], 4, v[2:3]
	s_or_b32 s0, vcc_lo, s0
	s_wait_alu 0xfffe
	s_and_saveexec_b32 s29, s0
	s_wait_alu 0xfffe
	s_xor_b32 s0, exec_lo, s29
	s_cbranch_execz .LBB38_98
; %bb.93:
	v_add_co_u32 v2, vcc_lo, s18, v2
	s_wait_alu 0xfffd
	v_add_co_ci_u32_e64 v3, null, s19, v3, vcc_lo
	v_lshlrev_b64_e32 v[6:7], 4, v[20:21]
	s_mov_b32 s29, 0
	global_load_b128 v[2:5], v[2:3], off
	v_add_co_u32 v22, vcc_lo, s10, v6
	s_wait_alu 0xfffd
	v_add_co_ci_u32_e64 v23, null, s11, v7, vcc_lo
	ds_load_b128 v[6:9], v26
	global_load_b64 v[12:13], v[22:23], off
	s_wait_loadcnt_dscnt 0x100
	v_mul_f64_e64 v[10:11], v[4:5], -v[8:9]
	s_delay_alu instid0(VALU_DEP_1)
	v_fma_f64 v[24:25], v[6:7], v[2:3], v[10:11]
.LBB38_94:                              ; =>This Inner Loop Header: Depth=1
	s_wait_loadcnt 0x0
	s_delay_alu instid0(VALU_DEP_1)
	v_add_f64_e32 v[10:11], v[12:13], v[24:25]
	global_atomic_cmpswap_b64 v[10:11], v[22:23], v[10:13], off th:TH_ATOMIC_RETURN scope:SCOPE_DEV
	s_wait_loadcnt 0x0
	v_cmp_eq_u64_e32 vcc_lo, v[10:11], v[12:13]
	v_dual_mov_b32 v13, v11 :: v_dual_mov_b32 v12, v10
	s_wait_alu 0xfffe
	s_or_b32 s29, vcc_lo, s29
	s_wait_alu 0xfffe
	s_and_not1_b32 exec_lo, exec_lo, s29
	s_cbranch_execnz .LBB38_94
; %bb.95:
	s_or_b32 exec_lo, exec_lo, s29
	global_load_b64 v[10:11], v[22:23], off offset:8
	v_mul_f64_e32 v[4:5], v[4:5], v[6:7]
	s_mov_b32 s29, 0
	s_delay_alu instid0(VALU_DEP_1)
	v_fma_f64 v[2:3], v[8:9], v[2:3], v[4:5]
.LBB38_96:                              ; =>This Inner Loop Header: Depth=1
	s_wait_loadcnt 0x0
	s_delay_alu instid0(VALU_DEP_1)
	v_add_f64_e32 v[8:9], v[10:11], v[2:3]
	global_atomic_cmpswap_b64 v[4:5], v[22:23], v[8:11], off offset:8 th:TH_ATOMIC_RETURN scope:SCOPE_DEV
	s_wait_loadcnt 0x0
	v_cmp_eq_u64_e32 vcc_lo, v[4:5], v[10:11]
	v_dual_mov_b32 v11, v5 :: v_dual_mov_b32 v10, v4
	s_wait_alu 0xfffe
	s_or_b32 s29, vcc_lo, s29
	s_wait_alu 0xfffe
	s_and_not1_b32 exec_lo, exec_lo, s29
	s_cbranch_execnz .LBB38_96
; %bb.97:
	s_or_b32 exec_lo, exec_lo, s29
                                        ; implicit-def: $vgpr2_vgpr3
.LBB38_98:
	s_wait_alu 0xfffe
	s_and_not1_saveexec_b32 s0, s0
	s_cbranch_execz .LBB38_104
; %bb.99:
	v_add_co_u32 v2, vcc_lo, s18, v2
	s_wait_alu 0xfffd
	v_add_co_ci_u32_e64 v3, null, s19, v3, vcc_lo
	ds_load_b128 v[6:9], v26
	v_subrev_nc_u32_e32 v12, s2, v20
	s_mov_b32 s0, 0
	global_load_b128 v[2:5], v[2:3], off
	v_lshl_add_u32 v22, v12, 4, 0x4000
	ds_load_b64 v[12:13], v22
	s_wait_loadcnt_dscnt 0x1
	v_mul_f64_e64 v[10:11], v[4:5], -v[8:9]
	s_delay_alu instid0(VALU_DEP_1)
	v_fma_f64 v[10:11], v[6:7], v[2:3], v[10:11]
.LBB38_100:                             ; =>This Inner Loop Header: Depth=1
	s_wait_dscnt 0x0
	s_delay_alu instid0(VALU_DEP_1)
	v_add_f64_e32 v[23:24], v[12:13], v[10:11]
	ds_cmpstore_rtn_b64 v[23:24], v22, v[23:24], v[12:13]
	s_wait_dscnt 0x0
	v_cmp_eq_u64_e32 vcc_lo, v[23:24], v[12:13]
	v_dual_mov_b32 v12, v23 :: v_dual_mov_b32 v13, v24
	s_wait_alu 0xfffe
	s_or_b32 s0, vcc_lo, s0
	s_wait_alu 0xfffe
	s_and_not1_b32 exec_lo, exec_lo, s0
	s_cbranch_execnz .LBB38_100
; %bb.101:
	s_or_b32 exec_lo, exec_lo, s0
	v_mul_f64_e32 v[4:5], v[4:5], v[6:7]
	s_mov_b32 s0, 0
	s_delay_alu instid0(VALU_DEP_1)
	v_fma_f64 v[2:3], v[8:9], v[2:3], v[4:5]
	ds_load_b64 v[4:5], v22 offset:8
.LBB38_102:                             ; =>This Inner Loop Header: Depth=1
	s_wait_dscnt 0x0
	v_add_f64_e32 v[6:7], v[4:5], v[2:3]
	ds_cmpstore_rtn_b64 v[6:7], v22, v[6:7], v[4:5] offset:8
	s_wait_dscnt 0x0
	v_cmp_eq_u64_e32 vcc_lo, v[6:7], v[4:5]
	v_dual_mov_b32 v4, v6 :: v_dual_mov_b32 v5, v7
	s_wait_alu 0xfffe
	s_or_b32 s0, vcc_lo, s0
	s_wait_alu 0xfffe
	s_and_not1_b32 exec_lo, exec_lo, s0
	s_cbranch_execnz .LBB38_102
; %bb.103:
	s_or_b32 exec_lo, exec_lo, s0
.LBB38_104:
	s_delay_alu instid0(SALU_CYCLE_1)
	s_or_b32 exec_lo, exec_lo, s17
	v_lshlrev_b64_e32 v[2:3], 4, v[20:21]
	ds_load_b128 v[6:9], v26
	v_cndmask_b32_e64 v27, 0, 1, s16
	v_add_co_u32 v2, vcc_lo, s18, v2
	s_wait_alu 0xfffd
	v_add_co_ci_u32_e64 v3, null, s19, v3, vcc_lo
	global_load_b128 v[2:5], v[2:3], off
	s_wait_loadcnt_dscnt 0x0
	v_mul_f64_e64 v[10:11], v[4:5], -v[8:9]
	v_mul_f64_e32 v[4:5], v[4:5], v[6:7]
	s_delay_alu instid0(VALU_DEP_2) | instskip(NEXT) | instid1(VALU_DEP_2)
	v_fma_f64 v[10:11], v[6:7], v[2:3], v[10:11]
	v_fma_f64 v[12:13], v[8:9], v[2:3], v[4:5]
	v_add_co_u32 v2, vcc_lo, 0x100, v14
	s_wait_alu 0xfffd
	v_add_co_ci_u32_e64 v3, null, 0, v15, vcc_lo
	v_dual_mov_b32 v4, s20 :: v_dual_mov_b32 v5, s21
	v_dual_mov_b32 v7, s5 :: v_dual_mov_b32 v6, s4
	s_and_not1_b32 vcc_lo, exec_lo, s16
	ds_store_b128 v26, v[10:13]
	s_wait_alu 0xfffe
	s_cbranch_vccnz .LBB38_108
; %bb.105:
	v_dual_mov_b32 v4, s20 :: v_dual_mov_b32 v5, s21
	v_dual_mov_b32 v7, s5 :: v_dual_mov_b32 v6, s4
	s_mov_b32 s16, 0
.LBB38_106:                             ; =>This Inner Loop Header: Depth=1
	s_delay_alu instid0(VALU_DEP_1) | instskip(SKIP_1) | instid1(VALU_DEP_2)
	v_add_co_u32 v8, vcc_lo, v6, v4
	s_wait_alu 0xfffd
	v_add_co_ci_u32_e64 v9, null, v7, v5, vcc_lo
	s_delay_alu instid0(VALU_DEP_1) | instskip(NEXT) | instid1(VALU_DEP_1)
	v_lshrrev_b32_e32 v10, 31, v9
	v_add_co_u32 v8, vcc_lo, v8, v10
	s_wait_alu 0xfffd
	v_add_co_ci_u32_e64 v9, null, 0, v9, vcc_lo
	s_delay_alu instid0(VALU_DEP_1) | instskip(NEXT) | instid1(VALU_DEP_1)
	v_ashrrev_i64 v[8:9], 1, v[8:9]
	v_lshlrev_b64_e32 v[10:11], 3, v[8:9]
	s_delay_alu instid0(VALU_DEP_1) | instskip(SKIP_1) | instid1(VALU_DEP_2)
	v_add_co_u32 v10, vcc_lo, s12, v10
	s_wait_alu 0xfffd
	v_add_co_ci_u32_e64 v11, null, s13, v11, vcc_lo
	global_load_b64 v[10:11], v[10:11], off
	s_wait_loadcnt 0x0
	v_sub_co_u32 v10, vcc_lo, v10, s26
	s_wait_alu 0xfffd
	v_subrev_co_ci_u32_e64 v11, null, 0, v11, vcc_lo
	s_delay_alu instid0(VALU_DEP_1) | instskip(SKIP_3) | instid1(VALU_DEP_2)
	v_cmp_lt_i64_e32 vcc_lo, v[2:3], v[10:11]
	s_wait_alu 0xfffd
	v_dual_cndmask_b32 v7, v7, v9 :: v_dual_cndmask_b32 v6, v6, v8
	v_dual_cndmask_b32 v5, v9, v5 :: v_dual_cndmask_b32 v4, v8, v4
	v_add_co_u32 v8, vcc_lo, v6, -1
	s_wait_alu 0xfffd
	s_delay_alu instid0(VALU_DEP_3) | instskip(NEXT) | instid1(VALU_DEP_3)
	v_add_co_ci_u32_e64 v9, null, -1, v7, vcc_lo
	v_cmp_ge_i64_e32 vcc_lo, v[4:5], v[6:7]
	s_delay_alu instid0(VALU_DEP_2)
	v_cmp_eq_u64_e64 s0, v[4:5], v[8:9]
	s_or_b32 s0, vcc_lo, s0
	s_wait_alu 0xfffe
	s_and_b32 s0, exec_lo, s0
	s_wait_alu 0xfffe
	s_or_b32 s16, s0, s16
	s_wait_alu 0xfffe
	s_and_not1_b32 exec_lo, exec_lo, s16
	s_cbranch_execnz .LBB38_106
; %bb.107:
	s_or_b32 exec_lo, exec_lo, s16
.LBB38_108:
	v_lshlrev_b64_e32 v[8:9], 3, v[6:7]
	s_mov_b32 s16, exec_lo
	s_delay_alu instid0(VALU_DEP_1) | instskip(SKIP_1) | instid1(VALU_DEP_2)
	v_add_co_u32 v8, vcc_lo, s12, v8
	s_wait_alu 0xfffd
	v_add_co_ci_u32_e64 v9, null, s13, v9, vcc_lo
	global_load_b64 v[8:9], v[8:9], off
	global_load_b32 v10, v[18:19], off offset:1024
	s_wait_loadcnt 0x1
	v_sub_co_u32 v8, vcc_lo, v8, s26
	s_wait_alu 0xfffd
	v_subrev_co_ci_u32_e64 v9, null, 0, v9, vcc_lo
	s_wait_loadcnt 0x0
	v_subrev_nc_u32_e32 v20, s26, v10
	s_delay_alu instid0(VALU_DEP_2) | instskip(NEXT) | instid1(VALU_DEP_2)
	v_cmp_lt_i64_e32 vcc_lo, v[2:3], v[8:9]
	v_ashrrev_i32_e32 v21, 31, v20
	s_wait_alu 0xfffd
	v_dual_cndmask_b32 v5, v7, v5 :: v_dual_cndmask_b32 v4, v6, v4
	s_delay_alu instid0(VALU_DEP_1)
	v_cmpx_ne_u64_e64 v[4:5], v[20:21]
	s_cbranch_execz .LBB38_122
; %bb.109:
	s_load_b64 s[36:37], s[14:15], 0x0
	s_wait_kmcnt 0x0
	s_sub_nc_u64 s[36:37], s[36:37], s[26:27]
	s_wait_alu 0xfffe
	v_cmp_gt_i64_e32 vcc_lo, s[36:37], v[2:3]
	s_and_b32 exec_lo, exec_lo, vcc_lo
	s_cbranch_execz .LBB38_122
; %bb.110:
	v_cmp_gt_i64_e32 vcc_lo, s[2:3], v[20:21]
	v_cmp_le_i64_e64 s0, s[22:23], v[20:21]
	v_lshlrev_b64_e32 v[2:3], 4, v[4:5]
	s_or_b32 s0, vcc_lo, s0
	s_wait_alu 0xfffe
	s_and_saveexec_b32 s17, s0
	s_wait_alu 0xfffe
	s_xor_b32 s0, exec_lo, s17
	s_cbranch_execz .LBB38_116
; %bb.111:
	v_add_co_u32 v2, vcc_lo, s18, v2
	s_wait_alu 0xfffd
	v_add_co_ci_u32_e64 v3, null, s19, v3, vcc_lo
	v_lshlrev_b64_e32 v[6:7], 4, v[20:21]
	s_mov_b32 s17, 0
	global_load_b128 v[2:5], v[2:3], off
	v_add_co_u32 v22, vcc_lo, s10, v6
	s_wait_alu 0xfffd
	v_add_co_ci_u32_e64 v23, null, s11, v7, vcc_lo
	ds_load_b128 v[6:9], v26 offset:4096
	global_load_b64 v[12:13], v[22:23], off
	s_wait_loadcnt_dscnt 0x100
	v_mul_f64_e64 v[10:11], v[4:5], -v[8:9]
	s_delay_alu instid0(VALU_DEP_1)
	v_fma_f64 v[24:25], v[6:7], v[2:3], v[10:11]
.LBB38_112:                             ; =>This Inner Loop Header: Depth=1
	s_wait_loadcnt 0x0
	s_delay_alu instid0(VALU_DEP_1)
	v_add_f64_e32 v[10:11], v[12:13], v[24:25]
	global_atomic_cmpswap_b64 v[10:11], v[22:23], v[10:13], off th:TH_ATOMIC_RETURN scope:SCOPE_DEV
	s_wait_loadcnt 0x0
	v_cmp_eq_u64_e32 vcc_lo, v[10:11], v[12:13]
	v_dual_mov_b32 v13, v11 :: v_dual_mov_b32 v12, v10
	s_wait_alu 0xfffe
	s_or_b32 s17, vcc_lo, s17
	s_wait_alu 0xfffe
	s_and_not1_b32 exec_lo, exec_lo, s17
	s_cbranch_execnz .LBB38_112
; %bb.113:
	s_or_b32 exec_lo, exec_lo, s17
	global_load_b64 v[10:11], v[22:23], off offset:8
	v_mul_f64_e32 v[4:5], v[4:5], v[6:7]
	s_mov_b32 s17, 0
	s_delay_alu instid0(VALU_DEP_1)
	v_fma_f64 v[2:3], v[8:9], v[2:3], v[4:5]
.LBB38_114:                             ; =>This Inner Loop Header: Depth=1
	s_wait_loadcnt 0x0
	s_delay_alu instid0(VALU_DEP_1)
	v_add_f64_e32 v[8:9], v[10:11], v[2:3]
	global_atomic_cmpswap_b64 v[4:5], v[22:23], v[8:11], off offset:8 th:TH_ATOMIC_RETURN scope:SCOPE_DEV
	s_wait_loadcnt 0x0
	v_cmp_eq_u64_e32 vcc_lo, v[4:5], v[10:11]
	v_dual_mov_b32 v11, v5 :: v_dual_mov_b32 v10, v4
	s_wait_alu 0xfffe
	s_or_b32 s17, vcc_lo, s17
	s_wait_alu 0xfffe
	s_and_not1_b32 exec_lo, exec_lo, s17
	s_cbranch_execnz .LBB38_114
; %bb.115:
	s_or_b32 exec_lo, exec_lo, s17
                                        ; implicit-def: $vgpr2_vgpr3
.LBB38_116:
	s_wait_alu 0xfffe
	s_and_not1_saveexec_b32 s0, s0
	s_cbranch_execz .LBB38_122
; %bb.117:
	v_add_co_u32 v2, vcc_lo, s18, v2
	s_wait_alu 0xfffd
	v_add_co_ci_u32_e64 v3, null, s19, v3, vcc_lo
	ds_load_b128 v[6:9], v26 offset:4096
	v_subrev_nc_u32_e32 v12, s2, v20
	s_mov_b32 s0, 0
	global_load_b128 v[2:5], v[2:3], off
	v_lshl_add_u32 v22, v12, 4, 0x4000
	ds_load_b64 v[12:13], v22
	s_wait_loadcnt_dscnt 0x1
	v_mul_f64_e64 v[10:11], v[4:5], -v[8:9]
	s_delay_alu instid0(VALU_DEP_1)
	v_fma_f64 v[10:11], v[6:7], v[2:3], v[10:11]
.LBB38_118:                             ; =>This Inner Loop Header: Depth=1
	s_wait_dscnt 0x0
	s_delay_alu instid0(VALU_DEP_1)
	v_add_f64_e32 v[23:24], v[12:13], v[10:11]
	ds_cmpstore_rtn_b64 v[23:24], v22, v[23:24], v[12:13]
	s_wait_dscnt 0x0
	v_cmp_eq_u64_e32 vcc_lo, v[23:24], v[12:13]
	v_dual_mov_b32 v12, v23 :: v_dual_mov_b32 v13, v24
	s_wait_alu 0xfffe
	s_or_b32 s0, vcc_lo, s0
	s_wait_alu 0xfffe
	s_and_not1_b32 exec_lo, exec_lo, s0
	s_cbranch_execnz .LBB38_118
; %bb.119:
	s_or_b32 exec_lo, exec_lo, s0
	v_mul_f64_e32 v[4:5], v[4:5], v[6:7]
	s_mov_b32 s0, 0
	s_delay_alu instid0(VALU_DEP_1)
	v_fma_f64 v[2:3], v[8:9], v[2:3], v[4:5]
	ds_load_b64 v[4:5], v22 offset:8
.LBB38_120:                             ; =>This Inner Loop Header: Depth=1
	s_wait_dscnt 0x0
	v_add_f64_e32 v[6:7], v[4:5], v[2:3]
	ds_cmpstore_rtn_b64 v[6:7], v22, v[6:7], v[4:5] offset:8
	s_wait_dscnt 0x0
	v_cmp_eq_u64_e32 vcc_lo, v[6:7], v[4:5]
	v_dual_mov_b32 v4, v6 :: v_dual_mov_b32 v5, v7
	s_wait_alu 0xfffe
	s_or_b32 s0, vcc_lo, s0
	s_wait_alu 0xfffe
	s_and_not1_b32 exec_lo, exec_lo, s0
	s_cbranch_execnz .LBB38_120
; %bb.121:
	s_or_b32 exec_lo, exec_lo, s0
.LBB38_122:
	s_wait_alu 0xfffe
	s_or_b32 exec_lo, exec_lo, s16
	v_lshlrev_b64_e32 v[2:3], 4, v[20:21]
	ds_load_b128 v[6:9], v26 offset:4096
	v_add_co_u32 v2, vcc_lo, s18, v2
	s_wait_alu 0xfffd
	v_add_co_ci_u32_e64 v3, null, s19, v3, vcc_lo
	v_cmp_ne_u32_e32 vcc_lo, 1, v27
	global_load_b128 v[2:5], v[2:3], off
	s_and_b32 vcc_lo, exec_lo, vcc_lo
	s_wait_loadcnt_dscnt 0x0
	v_mul_f64_e64 v[10:11], v[4:5], -v[8:9]
	v_mul_f64_e32 v[4:5], v[4:5], v[6:7]
	s_delay_alu instid0(VALU_DEP_2) | instskip(NEXT) | instid1(VALU_DEP_2)
	v_fma_f64 v[10:11], v[6:7], v[2:3], v[10:11]
	v_fma_f64 v[12:13], v[8:9], v[2:3], v[4:5]
	v_add_co_u32 v2, s0, 0x200, v14
	s_wait_alu 0xf1ff
	v_add_co_ci_u32_e64 v3, null, 0, v15, s0
	v_dual_mov_b32 v4, s20 :: v_dual_mov_b32 v5, s21
	v_dual_mov_b32 v7, s5 :: v_dual_mov_b32 v6, s4
	ds_store_b128 v26, v[10:13] offset:4096
	s_wait_alu 0xfffe
	s_cbranch_vccnz .LBB38_126
; %bb.123:
	v_dual_mov_b32 v4, s20 :: v_dual_mov_b32 v5, s21
	v_dual_mov_b32 v7, s5 :: v_dual_mov_b32 v6, s4
	s_mov_b32 s16, 0
.LBB38_124:                             ; =>This Inner Loop Header: Depth=1
	s_delay_alu instid0(VALU_DEP_1) | instskip(SKIP_1) | instid1(VALU_DEP_2)
	v_add_co_u32 v8, vcc_lo, v6, v4
	s_wait_alu 0xfffd
	v_add_co_ci_u32_e64 v9, null, v7, v5, vcc_lo
	s_delay_alu instid0(VALU_DEP_1) | instskip(NEXT) | instid1(VALU_DEP_1)
	v_lshrrev_b32_e32 v10, 31, v9
	v_add_co_u32 v8, vcc_lo, v8, v10
	s_wait_alu 0xfffd
	v_add_co_ci_u32_e64 v9, null, 0, v9, vcc_lo
	s_delay_alu instid0(VALU_DEP_1) | instskip(NEXT) | instid1(VALU_DEP_1)
	v_ashrrev_i64 v[8:9], 1, v[8:9]
	v_lshlrev_b64_e32 v[10:11], 3, v[8:9]
	s_delay_alu instid0(VALU_DEP_1) | instskip(SKIP_1) | instid1(VALU_DEP_2)
	v_add_co_u32 v10, vcc_lo, s12, v10
	s_wait_alu 0xfffd
	v_add_co_ci_u32_e64 v11, null, s13, v11, vcc_lo
	global_load_b64 v[10:11], v[10:11], off
	s_wait_loadcnt 0x0
	v_sub_co_u32 v10, vcc_lo, v10, s26
	s_wait_alu 0xfffd
	v_subrev_co_ci_u32_e64 v11, null, 0, v11, vcc_lo
	s_delay_alu instid0(VALU_DEP_1) | instskip(SKIP_3) | instid1(VALU_DEP_2)
	v_cmp_lt_i64_e32 vcc_lo, v[2:3], v[10:11]
	s_wait_alu 0xfffd
	v_dual_cndmask_b32 v7, v7, v9 :: v_dual_cndmask_b32 v6, v6, v8
	v_dual_cndmask_b32 v5, v9, v5 :: v_dual_cndmask_b32 v4, v8, v4
	v_add_co_u32 v8, vcc_lo, v6, -1
	s_wait_alu 0xfffd
	s_delay_alu instid0(VALU_DEP_3) | instskip(NEXT) | instid1(VALU_DEP_3)
	v_add_co_ci_u32_e64 v9, null, -1, v7, vcc_lo
	v_cmp_ge_i64_e32 vcc_lo, v[4:5], v[6:7]
	s_delay_alu instid0(VALU_DEP_2)
	v_cmp_eq_u64_e64 s0, v[4:5], v[8:9]
	s_or_b32 s0, vcc_lo, s0
	s_wait_alu 0xfffe
	s_and_b32 s0, exec_lo, s0
	s_wait_alu 0xfffe
	s_or_b32 s16, s0, s16
	s_wait_alu 0xfffe
	s_and_not1_b32 exec_lo, exec_lo, s16
	s_cbranch_execnz .LBB38_124
; %bb.125:
	s_or_b32 exec_lo, exec_lo, s16
.LBB38_126:
	v_lshlrev_b64_e32 v[8:9], 3, v[6:7]
	s_mov_b32 s16, exec_lo
	s_delay_alu instid0(VALU_DEP_1) | instskip(SKIP_1) | instid1(VALU_DEP_2)
	v_add_co_u32 v8, vcc_lo, s12, v8
	s_wait_alu 0xfffd
	v_add_co_ci_u32_e64 v9, null, s13, v9, vcc_lo
	global_load_b64 v[8:9], v[8:9], off
	global_load_b32 v10, v[18:19], off offset:2048
	s_wait_loadcnt 0x1
	v_sub_co_u32 v8, vcc_lo, v8, s26
	s_wait_alu 0xfffd
	v_subrev_co_ci_u32_e64 v9, null, 0, v9, vcc_lo
	s_wait_loadcnt 0x0
	v_subrev_nc_u32_e32 v14, s26, v10
	s_delay_alu instid0(VALU_DEP_2) | instskip(NEXT) | instid1(VALU_DEP_2)
	v_cmp_lt_i64_e32 vcc_lo, v[2:3], v[8:9]
	v_ashrrev_i32_e32 v15, 31, v14
	s_wait_alu 0xfffd
	v_dual_cndmask_b32 v5, v7, v5 :: v_dual_cndmask_b32 v4, v6, v4
	s_delay_alu instid0(VALU_DEP_1)
	v_cmpx_ne_u64_e64 v[4:5], v[14:15]
	s_cbranch_execz .LBB38_140
; %bb.127:
	s_load_b64 s[36:37], s[14:15], 0x0
	s_wait_kmcnt 0x0
	s_sub_nc_u64 s[36:37], s[36:37], s[26:27]
	s_wait_alu 0xfffe
	v_cmp_gt_i64_e32 vcc_lo, s[36:37], v[2:3]
	s_and_b32 exec_lo, exec_lo, vcc_lo
	s_cbranch_execz .LBB38_140
; %bb.128:
	v_cmp_gt_i64_e32 vcc_lo, s[2:3], v[14:15]
	v_cmp_le_i64_e64 s0, s[22:23], v[14:15]
	v_lshlrev_b64_e32 v[2:3], 4, v[4:5]
	s_or_b32 s0, vcc_lo, s0
	s_wait_alu 0xfffe
	s_and_saveexec_b32 s17, s0
	s_wait_alu 0xfffe
	s_xor_b32 s0, exec_lo, s17
	s_cbranch_execz .LBB38_134
; %bb.129:
	v_add_co_u32 v2, vcc_lo, s18, v2
	s_wait_alu 0xfffd
	v_add_co_ci_u32_e64 v3, null, s19, v3, vcc_lo
	v_lshlrev_b64_e32 v[6:7], 4, v[14:15]
	s_mov_b32 s17, 0
	global_load_b128 v[2:5], v[2:3], off
	v_add_co_u32 v20, vcc_lo, s10, v6
	s_wait_alu 0xfffd
	v_add_co_ci_u32_e64 v21, null, s11, v7, vcc_lo
	ds_load_b128 v[6:9], v26 offset:8192
	global_load_b64 v[12:13], v[20:21], off
	s_wait_loadcnt_dscnt 0x100
	v_mul_f64_e64 v[10:11], v[4:5], -v[8:9]
	s_delay_alu instid0(VALU_DEP_1)
	v_fma_f64 v[22:23], v[6:7], v[2:3], v[10:11]
.LBB38_130:                             ; =>This Inner Loop Header: Depth=1
	s_wait_loadcnt 0x0
	s_delay_alu instid0(VALU_DEP_1)
	v_add_f64_e32 v[10:11], v[12:13], v[22:23]
	global_atomic_cmpswap_b64 v[10:11], v[20:21], v[10:13], off th:TH_ATOMIC_RETURN scope:SCOPE_DEV
	s_wait_loadcnt 0x0
	v_cmp_eq_u64_e32 vcc_lo, v[10:11], v[12:13]
	v_dual_mov_b32 v13, v11 :: v_dual_mov_b32 v12, v10
	s_wait_alu 0xfffe
	s_or_b32 s17, vcc_lo, s17
	s_wait_alu 0xfffe
	s_and_not1_b32 exec_lo, exec_lo, s17
	s_cbranch_execnz .LBB38_130
; %bb.131:
	s_or_b32 exec_lo, exec_lo, s17
	global_load_b64 v[10:11], v[20:21], off offset:8
	v_mul_f64_e32 v[4:5], v[4:5], v[6:7]
	s_mov_b32 s17, 0
	s_delay_alu instid0(VALU_DEP_1)
	v_fma_f64 v[2:3], v[8:9], v[2:3], v[4:5]
.LBB38_132:                             ; =>This Inner Loop Header: Depth=1
	s_wait_loadcnt 0x0
	s_delay_alu instid0(VALU_DEP_1)
	v_add_f64_e32 v[8:9], v[10:11], v[2:3]
	global_atomic_cmpswap_b64 v[4:5], v[20:21], v[8:11], off offset:8 th:TH_ATOMIC_RETURN scope:SCOPE_DEV
	s_wait_loadcnt 0x0
	v_cmp_eq_u64_e32 vcc_lo, v[4:5], v[10:11]
	v_dual_mov_b32 v11, v5 :: v_dual_mov_b32 v10, v4
	s_wait_alu 0xfffe
	s_or_b32 s17, vcc_lo, s17
	s_wait_alu 0xfffe
	s_and_not1_b32 exec_lo, exec_lo, s17
	s_cbranch_execnz .LBB38_132
; %bb.133:
	s_or_b32 exec_lo, exec_lo, s17
                                        ; implicit-def: $vgpr2_vgpr3
.LBB38_134:
	s_wait_alu 0xfffe
	s_and_not1_saveexec_b32 s0, s0
	s_cbranch_execz .LBB38_140
; %bb.135:
	v_add_co_u32 v2, vcc_lo, s18, v2
	s_wait_alu 0xfffd
	v_add_co_ci_u32_e64 v3, null, s19, v3, vcc_lo
	ds_load_b128 v[6:9], v26 offset:8192
	v_subrev_nc_u32_e32 v12, s2, v14
	s_mov_b32 s0, 0
	global_load_b128 v[2:5], v[2:3], off
	v_lshl_add_u32 v20, v12, 4, 0x4000
	ds_load_b64 v[12:13], v20
	s_wait_loadcnt_dscnt 0x1
	v_mul_f64_e64 v[10:11], v[4:5], -v[8:9]
	s_delay_alu instid0(VALU_DEP_1)
	v_fma_f64 v[10:11], v[6:7], v[2:3], v[10:11]
.LBB38_136:                             ; =>This Inner Loop Header: Depth=1
	s_wait_dscnt 0x0
	s_delay_alu instid0(VALU_DEP_1)
	v_add_f64_e32 v[21:22], v[12:13], v[10:11]
	ds_cmpstore_rtn_b64 v[21:22], v20, v[21:22], v[12:13]
	s_wait_dscnt 0x0
	v_cmp_eq_u64_e32 vcc_lo, v[21:22], v[12:13]
	v_dual_mov_b32 v12, v21 :: v_dual_mov_b32 v13, v22
	s_wait_alu 0xfffe
	s_or_b32 s0, vcc_lo, s0
	s_wait_alu 0xfffe
	s_and_not1_b32 exec_lo, exec_lo, s0
	s_cbranch_execnz .LBB38_136
; %bb.137:
	s_or_b32 exec_lo, exec_lo, s0
	v_mul_f64_e32 v[4:5], v[4:5], v[6:7]
	s_mov_b32 s0, 0
	s_delay_alu instid0(VALU_DEP_1)
	v_fma_f64 v[2:3], v[8:9], v[2:3], v[4:5]
	ds_load_b64 v[4:5], v20 offset:8
.LBB38_138:                             ; =>This Inner Loop Header: Depth=1
	s_wait_dscnt 0x0
	v_add_f64_e32 v[6:7], v[4:5], v[2:3]
	ds_cmpstore_rtn_b64 v[6:7], v20, v[6:7], v[4:5] offset:8
	s_wait_dscnt 0x0
	v_cmp_eq_u64_e32 vcc_lo, v[6:7], v[4:5]
	v_dual_mov_b32 v4, v6 :: v_dual_mov_b32 v5, v7
	s_wait_alu 0xfffe
	s_or_b32 s0, vcc_lo, s0
	s_wait_alu 0xfffe
	s_and_not1_b32 exec_lo, exec_lo, s0
	s_cbranch_execnz .LBB38_138
; %bb.139:
	s_or_b32 exec_lo, exec_lo, s0
.LBB38_140:
	s_wait_alu 0xfffe
	s_or_b32 exec_lo, exec_lo, s16
	v_lshlrev_b64_e32 v[2:3], 4, v[14:15]
	ds_load_b128 v[6:9], v26 offset:8192
	v_add_co_u32 v2, vcc_lo, s18, v2
	s_wait_alu 0xfffd
	v_add_co_ci_u32_e64 v3, null, s19, v3, vcc_lo
	v_cmp_ne_u32_e32 vcc_lo, 1, v27
	global_load_b128 v[2:5], v[2:3], off
	s_and_b32 vcc_lo, exec_lo, vcc_lo
	s_wait_loadcnt_dscnt 0x0
	v_mul_f64_e64 v[10:11], v[4:5], -v[8:9]
	v_mul_f64_e32 v[4:5], v[4:5], v[6:7]
	s_delay_alu instid0(VALU_DEP_2) | instskip(NEXT) | instid1(VALU_DEP_2)
	v_fma_f64 v[6:7], v[6:7], v[2:3], v[10:11]
	v_fma_f64 v[8:9], v[8:9], v[2:3], v[4:5]
	v_dual_mov_b32 v2, s20 :: v_dual_mov_b32 v3, s21
	v_dual_mov_b32 v4, s4 :: v_dual_mov_b32 v5, s5
	ds_store_b128 v26, v[6:9] offset:8192
	s_wait_alu 0xfffe
	s_cbranch_vccnz .LBB38_144
; %bb.141:
	v_dual_mov_b32 v2, s20 :: v_dual_mov_b32 v3, s21
	v_dual_mov_b32 v4, s4 :: v_dual_mov_b32 v5, s5
	s_mov_b32 s4, 0
.LBB38_142:                             ; =>This Inner Loop Header: Depth=1
	s_delay_alu instid0(VALU_DEP_1) | instskip(SKIP_1) | instid1(VALU_DEP_2)
	v_add_co_u32 v6, vcc_lo, v4, v2
	s_wait_alu 0xfffd
	v_add_co_ci_u32_e64 v7, null, v5, v3, vcc_lo
	s_delay_alu instid0(VALU_DEP_1) | instskip(NEXT) | instid1(VALU_DEP_1)
	v_lshrrev_b32_e32 v8, 31, v7
	v_add_co_u32 v6, vcc_lo, v6, v8
	s_wait_alu 0xfffd
	v_add_co_ci_u32_e64 v7, null, 0, v7, vcc_lo
	s_delay_alu instid0(VALU_DEP_1) | instskip(NEXT) | instid1(VALU_DEP_1)
	v_ashrrev_i64 v[6:7], 1, v[6:7]
	v_lshlrev_b64_e32 v[8:9], 3, v[6:7]
	s_delay_alu instid0(VALU_DEP_1) | instskip(SKIP_1) | instid1(VALU_DEP_2)
	v_add_co_u32 v8, vcc_lo, s12, v8
	s_wait_alu 0xfffd
	v_add_co_ci_u32_e64 v9, null, s13, v9, vcc_lo
	global_load_b64 v[8:9], v[8:9], off
	s_wait_loadcnt 0x0
	v_sub_co_u32 v8, vcc_lo, v8, s26
	s_wait_alu 0xfffd
	v_subrev_co_ci_u32_e64 v9, null, 0, v9, vcc_lo
	s_delay_alu instid0(VALU_DEP_1) | instskip(SKIP_3) | instid1(VALU_DEP_2)
	v_cmp_lt_i64_e32 vcc_lo, v[16:17], v[8:9]
	s_wait_alu 0xfffd
	v_dual_cndmask_b32 v5, v5, v7 :: v_dual_cndmask_b32 v4, v4, v6
	v_dual_cndmask_b32 v3, v7, v3 :: v_dual_cndmask_b32 v2, v6, v2
	v_add_co_u32 v6, vcc_lo, v4, -1
	s_wait_alu 0xfffd
	s_delay_alu instid0(VALU_DEP_3) | instskip(NEXT) | instid1(VALU_DEP_3)
	v_add_co_ci_u32_e64 v7, null, -1, v5, vcc_lo
	v_cmp_ge_i64_e32 vcc_lo, v[2:3], v[4:5]
	s_delay_alu instid0(VALU_DEP_2)
	v_cmp_eq_u64_e64 s0, v[2:3], v[6:7]
	s_or_b32 s0, vcc_lo, s0
	s_wait_alu 0xfffe
	s_and_b32 s0, exec_lo, s0
	s_wait_alu 0xfffe
	s_or_b32 s4, s0, s4
	s_wait_alu 0xfffe
	s_and_not1_b32 exec_lo, exec_lo, s4
	s_cbranch_execnz .LBB38_142
; %bb.143:
	s_or_b32 exec_lo, exec_lo, s4
.LBB38_144:
	v_lshlrev_b64_e32 v[6:7], 3, v[4:5]
	s_mov_b32 s4, exec_lo
	s_delay_alu instid0(VALU_DEP_1) | instskip(SKIP_1) | instid1(VALU_DEP_2)
	v_add_co_u32 v6, vcc_lo, s12, v6
	s_wait_alu 0xfffd
	v_add_co_ci_u32_e64 v7, null, s13, v7, vcc_lo
	global_load_b64 v[6:7], v[6:7], off
	global_load_b32 v8, v[18:19], off offset:3072
	s_wait_loadcnt 0x1
	v_sub_co_u32 v6, vcc_lo, v6, s26
	s_wait_alu 0xfffd
	v_subrev_co_ci_u32_e64 v7, null, 0, v7, vcc_lo
	s_wait_loadcnt 0x0
	v_subrev_nc_u32_e32 v14, s26, v8
	s_delay_alu instid0(VALU_DEP_2) | instskip(NEXT) | instid1(VALU_DEP_2)
	v_cmp_lt_i64_e32 vcc_lo, v[16:17], v[6:7]
	v_ashrrev_i32_e32 v15, 31, v14
	s_wait_alu 0xfffd
	v_dual_cndmask_b32 v3, v5, v3 :: v_dual_cndmask_b32 v2, v4, v2
	s_delay_alu instid0(VALU_DEP_1)
	v_cmpx_ne_u64_e64 v[2:3], v[14:15]
	s_cbranch_execz .LBB38_158
; %bb.145:
	s_load_b64 s[14:15], s[14:15], 0x0
	s_wait_kmcnt 0x0
	s_sub_nc_u64 s[14:15], s[14:15], s[26:27]
	s_wait_alu 0xfffe
	v_cmp_gt_i64_e32 vcc_lo, s[14:15], v[16:17]
	s_and_b32 exec_lo, exec_lo, vcc_lo
	s_cbranch_execz .LBB38_158
; %bb.146:
	v_cmp_gt_i64_e32 vcc_lo, s[2:3], v[14:15]
	v_cmp_le_i64_e64 s0, s[22:23], v[14:15]
	v_lshlrev_b64_e32 v[2:3], 4, v[2:3]
	s_or_b32 s0, vcc_lo, s0
	s_wait_alu 0xfffe
	s_and_saveexec_b32 s5, s0
	s_wait_alu 0xfffe
	s_xor_b32 s0, exec_lo, s5
	s_cbranch_execz .LBB38_152
; %bb.147:
	v_add_co_u32 v2, vcc_lo, s18, v2
	s_wait_alu 0xfffd
	v_add_co_ci_u32_e64 v3, null, s19, v3, vcc_lo
	v_lshlrev_b64_e32 v[6:7], 4, v[14:15]
	s_mov_b32 s5, 0
	global_load_b128 v[2:5], v[2:3], off
	v_add_co_u32 v16, vcc_lo, s10, v6
	s_wait_alu 0xfffd
	v_add_co_ci_u32_e64 v17, null, s11, v7, vcc_lo
	ds_load_b128 v[6:9], v26 offset:12288
	global_load_b64 v[12:13], v[16:17], off
	s_wait_loadcnt_dscnt 0x100
	v_mul_f64_e64 v[10:11], v[4:5], -v[8:9]
	s_delay_alu instid0(VALU_DEP_1)
	v_fma_f64 v[18:19], v[6:7], v[2:3], v[10:11]
.LBB38_148:                             ; =>This Inner Loop Header: Depth=1
	s_wait_loadcnt 0x0
	s_delay_alu instid0(VALU_DEP_1)
	v_add_f64_e32 v[10:11], v[12:13], v[18:19]
	global_atomic_cmpswap_b64 v[10:11], v[16:17], v[10:13], off th:TH_ATOMIC_RETURN scope:SCOPE_DEV
	s_wait_loadcnt 0x0
	v_cmp_eq_u64_e32 vcc_lo, v[10:11], v[12:13]
	v_dual_mov_b32 v13, v11 :: v_dual_mov_b32 v12, v10
	s_wait_alu 0xfffe
	s_or_b32 s5, vcc_lo, s5
	s_wait_alu 0xfffe
	s_and_not1_b32 exec_lo, exec_lo, s5
	s_cbranch_execnz .LBB38_148
; %bb.149:
	s_or_b32 exec_lo, exec_lo, s5
	global_load_b64 v[10:11], v[16:17], off offset:8
	v_mul_f64_e32 v[4:5], v[4:5], v[6:7]
	s_mov_b32 s5, 0
	s_delay_alu instid0(VALU_DEP_1)
	v_fma_f64 v[2:3], v[8:9], v[2:3], v[4:5]
.LBB38_150:                             ; =>This Inner Loop Header: Depth=1
	s_wait_loadcnt 0x0
	s_delay_alu instid0(VALU_DEP_1)
	v_add_f64_e32 v[8:9], v[10:11], v[2:3]
	global_atomic_cmpswap_b64 v[4:5], v[16:17], v[8:11], off offset:8 th:TH_ATOMIC_RETURN scope:SCOPE_DEV
	s_wait_loadcnt 0x0
	v_cmp_eq_u64_e32 vcc_lo, v[4:5], v[10:11]
	v_dual_mov_b32 v11, v5 :: v_dual_mov_b32 v10, v4
	s_wait_alu 0xfffe
	s_or_b32 s5, vcc_lo, s5
	s_wait_alu 0xfffe
	s_and_not1_b32 exec_lo, exec_lo, s5
	s_cbranch_execnz .LBB38_150
; %bb.151:
	s_or_b32 exec_lo, exec_lo, s5
                                        ; implicit-def: $vgpr2_vgpr3
.LBB38_152:
	s_wait_alu 0xfffe
	s_and_not1_saveexec_b32 s0, s0
	s_cbranch_execz .LBB38_158
; %bb.153:
	v_add_co_u32 v2, vcc_lo, s18, v2
	s_wait_alu 0xfffd
	v_add_co_ci_u32_e64 v3, null, s19, v3, vcc_lo
	ds_load_b128 v[6:9], v26 offset:12288
	v_subrev_nc_u32_e32 v12, s2, v14
	s_mov_b32 s0, 0
	global_load_b128 v[2:5], v[2:3], off
	v_lshl_add_u32 v16, v12, 4, 0x4000
	ds_load_b64 v[12:13], v16
	s_wait_loadcnt_dscnt 0x1
	v_mul_f64_e64 v[10:11], v[4:5], -v[8:9]
	s_delay_alu instid0(VALU_DEP_1)
	v_fma_f64 v[10:11], v[6:7], v[2:3], v[10:11]
.LBB38_154:                             ; =>This Inner Loop Header: Depth=1
	s_wait_dscnt 0x0
	s_delay_alu instid0(VALU_DEP_1)
	v_add_f64_e32 v[17:18], v[12:13], v[10:11]
	ds_cmpstore_rtn_b64 v[17:18], v16, v[17:18], v[12:13]
	s_wait_dscnt 0x0
	v_cmp_eq_u64_e32 vcc_lo, v[17:18], v[12:13]
	v_dual_mov_b32 v12, v17 :: v_dual_mov_b32 v13, v18
	s_wait_alu 0xfffe
	s_or_b32 s0, vcc_lo, s0
	s_wait_alu 0xfffe
	s_and_not1_b32 exec_lo, exec_lo, s0
	s_cbranch_execnz .LBB38_154
; %bb.155:
	s_or_b32 exec_lo, exec_lo, s0
	v_mul_f64_e32 v[4:5], v[4:5], v[6:7]
	s_mov_b32 s0, 0
	s_delay_alu instid0(VALU_DEP_1)
	v_fma_f64 v[2:3], v[8:9], v[2:3], v[4:5]
	ds_load_b64 v[4:5], v16 offset:8
.LBB38_156:                             ; =>This Inner Loop Header: Depth=1
	s_wait_dscnt 0x0
	v_add_f64_e32 v[6:7], v[4:5], v[2:3]
	ds_cmpstore_rtn_b64 v[6:7], v16, v[6:7], v[4:5] offset:8
	s_wait_dscnt 0x0
	v_cmp_eq_u64_e32 vcc_lo, v[6:7], v[4:5]
	v_dual_mov_b32 v4, v6 :: v_dual_mov_b32 v5, v7
	s_wait_alu 0xfffe
	s_or_b32 s0, vcc_lo, s0
	s_wait_alu 0xfffe
	s_and_not1_b32 exec_lo, exec_lo, s0
	s_cbranch_execnz .LBB38_156
; %bb.157:
	s_or_b32 exec_lo, exec_lo, s0
.LBB38_158:
	s_wait_alu 0xfffe
	s_or_b32 exec_lo, exec_lo, s4
	v_lshlrev_b64_e32 v[2:3], 4, v[14:15]
	ds_load_b128 v[6:9], v26 offset:12288
	v_add_co_u32 v2, vcc_lo, s18, v2
	s_wait_alu 0xfffd
	v_add_co_ci_u32_e64 v3, null, s19, v3, vcc_lo
	global_load_b128 v[2:5], v[2:3], off
	s_wait_loadcnt_dscnt 0x0
	v_mul_f64_e64 v[10:11], v[4:5], -v[8:9]
	v_mul_f64_e32 v[12:13], v[4:5], v[6:7]
	s_delay_alu instid0(VALU_DEP_2) | instskip(NEXT) | instid1(VALU_DEP_2)
	v_fma_f64 v[4:5], v[6:7], v[2:3], v[10:11]
	v_fma_f64 v[6:7], v[8:9], v[2:3], v[12:13]
	ds_store_b128 v26, v[4:7] offset:12288
.LBB38_159:
	s_wait_alu 0xfffe
	s_or_b32 exec_lo, exec_lo, s1
	v_cmp_lt_i64_e64 s0, s[22:23], s[6:7]
	s_wait_loadcnt_dscnt 0x0
	s_barrier_signal -1
	s_barrier_wait -1
	global_inv scope:SCOPE_SE
	s_and_b32 s0, s0, exec_lo
	s_cselect_b32 s1, s23, s7
	s_cselect_b32 s0, s22, s6
	s_wait_alu 0xfffe
	s_sub_nc_u64 s[4:5], s[0:1], s[24:25]
	s_mov_b32 s1, exec_lo
	s_wait_alu 0xfffe
	v_cmpx_gt_i64_e64 s[4:5], v[0:1]
	s_cbranch_execz .LBB38_166
; %bb.160:
	v_dual_mov_b32 v11, v1 :: v_dual_mov_b32 v10, v0
	s_lshl_b64 s[2:3], s[2:3], 4
	s_mov_b32 s6, 0
	s_wait_alu 0xfffe
	s_add_nc_u64 s[2:3], s[10:11], s[2:3]
.LBB38_161:                             ; =>This Loop Header: Depth=1
                                        ;     Child Loop BB38_162 Depth 2
                                        ;     Child Loop BB38_164 Depth 2
	v_lshlrev_b64_e32 v[2:3], 4, v[10:11]
	s_mov_b32 s7, 0
	s_wait_alu 0xfffe
	s_delay_alu instid0(VALU_DEP_1) | instskip(SKIP_1) | instid1(VALU_DEP_2)
	v_add_co_u32 v12, vcc_lo, s2, v2
	s_wait_alu 0xfffd
	v_add_co_ci_u32_e64 v13, null, s3, v3, vcc_lo
	v_lshl_add_u32 v2, v10, 4, 0x4000
	global_load_b64 v[8:9], v[12:13], off
	ds_load_2addr_b64 v[2:5], v2 offset1:1
.LBB38_162:                             ;   Parent Loop BB38_161 Depth=1
                                        ; =>  This Inner Loop Header: Depth=2
	s_wait_loadcnt_dscnt 0x0
	v_add_f64_e32 v[6:7], v[8:9], v[2:3]
	global_atomic_cmpswap_b64 v[6:7], v[12:13], v[6:9], off th:TH_ATOMIC_RETURN scope:SCOPE_DEV
	s_wait_loadcnt 0x0
	v_cmp_eq_u64_e32 vcc_lo, v[6:7], v[8:9]
	v_dual_mov_b32 v9, v7 :: v_dual_mov_b32 v8, v6
	s_or_b32 s7, vcc_lo, s7
	s_wait_alu 0xfffe
	s_and_not1_b32 exec_lo, exec_lo, s7
	s_cbranch_execnz .LBB38_162
; %bb.163:                              ;   in Loop: Header=BB38_161 Depth=1
	s_or_b32 exec_lo, exec_lo, s7
	global_load_b64 v[8:9], v[12:13], off offset:8
	s_mov_b32 s7, 0
.LBB38_164:                             ;   Parent Loop BB38_161 Depth=1
                                        ; =>  This Inner Loop Header: Depth=2
	s_wait_loadcnt 0x0
	v_add_f64_e32 v[6:7], v[8:9], v[4:5]
	global_atomic_cmpswap_b64 v[2:3], v[12:13], v[6:9], off offset:8 th:TH_ATOMIC_RETURN scope:SCOPE_DEV
	s_wait_loadcnt 0x0
	v_cmp_eq_u64_e32 vcc_lo, v[2:3], v[8:9]
	v_dual_mov_b32 v9, v3 :: v_dual_mov_b32 v8, v2
	s_wait_alu 0xfffe
	s_or_b32 s7, vcc_lo, s7
	s_wait_alu 0xfffe
	s_and_not1_b32 exec_lo, exec_lo, s7
	s_cbranch_execnz .LBB38_164
; %bb.165:                              ;   in Loop: Header=BB38_161 Depth=1
	s_or_b32 exec_lo, exec_lo, s7
	v_add_co_u32 v10, vcc_lo, 0x100, v10
	s_wait_alu 0xfffd
	v_add_co_ci_u32_e64 v11, null, 0, v11, vcc_lo
	s_delay_alu instid0(VALU_DEP_1)
	v_cmp_le_i64_e32 vcc_lo, s[4:5], v[10:11]
	s_or_b32 s6, vcc_lo, s6
	s_wait_alu 0xfffe
	s_and_not1_b32 exec_lo, exec_lo, s6
	s_cbranch_execnz .LBB38_161
.LBB38_166:
	s_or_b32 exec_lo, exec_lo, s1
	s_add_co_i32 s1, s34, -1
	v_add_co_u32 v10, s3, s20, v0
	s_wait_alu 0xfffe
	s_ashr_i32 s2, s1, 1
	v_add_co_ci_u32_e64 v11, null, s21, 0, s3
	s_wait_alu 0xfffe
	s_or_b32 s1, s2, s1
	s_wait_loadcnt 0x0
	s_wait_alu 0xfffe
	s_ashr_i32 s2, s1, 2
	s_barrier_signal -1
	s_wait_alu 0xfffe
	s_or_b32 s1, s2, s1
	s_barrier_wait -1
	s_wait_alu 0xfffe
	s_ashr_i32 s2, s1, 4
	global_inv scope:SCOPE_SE
	s_wait_alu 0xfffe
	s_or_b32 s1, s2, s1
	s_wait_alu 0xfffe
	s_ashr_i32 s2, s1, 8
	s_wait_alu 0xfffe
	s_or_b32 s1, s2, s1
	s_wait_alu 0xfffe
	s_ashr_i32 s2, s1, 16
	s_wait_alu 0xfffe
	s_or_b32 s2, s2, s1
	s_mov_b32 s1, -1
	s_wait_alu 0xfffe
	s_add_co_i32 s2, s2, 1
	s_wait_alu 0xfffe
	s_ashr_i32 s2, s2, 1
	s_wait_alu 0xfffe
	s_cmp_gt_i32 s2, 1
	s_cbranch_scc1 .LBB38_179
; %bb.167:
	s_mov_b32 s1, exec_lo
	v_cmpx_gt_i64_e64 s[22:23], v[10:11]
	s_cbranch_execz .LBB38_178
; %bb.168:
	s_sub_co_i32 s0, s0, s22
	v_dual_mov_b32 v13, v11 :: v_dual_mov_b32 v12, v10
	s_lshl_b32 s5, s8, 4
	s_wait_alu 0xfffe
	s_lshl_b32 s0, s0, 4
	s_mov_b32 s3, 0
	s_wait_alu 0xfffe
	s_addk_co_i32 s0, 0x4000
	s_sub_co_i32 s5, 0, s5
.LBB38_169:                             ; =>This Loop Header: Depth=1
                                        ;     Child Loop BB38_171 Depth 2
                                        ;     Child Loop BB38_174 Depth 2
                                        ;     Child Loop BB38_176 Depth 2
	v_lshlrev_b64_e32 v[2:3], 3, v[12:13]
	v_mov_b32_e32 v14, 0
	v_dual_mov_b32 v15, 0 :: v_dual_mov_b32 v6, 0
	v_mov_b32_e32 v7, 0
	s_mov_b32 s6, exec_lo
	s_delay_alu instid0(VALU_DEP_4)
	v_add_co_u32 v2, vcc_lo, s12, v2
	s_wait_alu 0xfffd
	v_add_co_ci_u32_e64 v3, null, s13, v3, vcc_lo
	global_load_b128 v[2:5], v[2:3], off
	s_wait_loadcnt 0x0
	v_cmpx_lt_i64_e64 v[2:3], v[4:5]
	s_cbranch_execz .LBB38_173
; %bb.170:                              ;   in Loop: Header=BB38_169 Depth=1
	v_sub_co_u32 v4, vcc_lo, v4, s8
	s_wait_alu 0xfffd
	v_subrev_co_ci_u32_e64 v5, null, s9, v5, vcc_lo
	v_sub_co_u32 v8, vcc_lo, v2, s8
	v_mov_b32_e32 v14, 0
	v_dual_mov_b32 v15, 0 :: v_dual_mov_b32 v6, 0
	s_wait_alu 0xfffd
	v_subrev_co_ci_u32_e64 v9, null, s9, v3, vcc_lo
	v_mov_b32_e32 v7, 0
	s_wait_alu 0xfffe
	v_lshl_add_u32 v2, v2, 4, s5
	s_mov_b32 s7, 0
.LBB38_171:                             ;   Parent Loop BB38_169 Depth=1
                                        ; =>  This Inner Loop Header: Depth=2
	ds_load_b128 v[16:19], v2
	v_add_co_u32 v8, vcc_lo, v8, 1
	s_wait_alu 0xfffd
	v_add_co_ci_u32_e64 v9, null, 0, v9, vcc_lo
	v_add_nc_u32_e32 v2, 16, v2
	s_delay_alu instid0(VALU_DEP_2)
	v_cmp_ge_i64_e32 vcc_lo, v[8:9], v[4:5]
	s_wait_alu 0xfffe
	s_or_b32 s7, vcc_lo, s7
	s_wait_dscnt 0x0
	v_add_f64_e32 v[6:7], v[6:7], v[16:17]
	v_add_f64_e32 v[14:15], v[14:15], v[18:19]
	s_wait_alu 0xfffe
	s_and_not1_b32 exec_lo, exec_lo, s7
	s_cbranch_execnz .LBB38_171
; %bb.172:                              ;   in Loop: Header=BB38_169 Depth=1
	s_or_b32 exec_lo, exec_lo, s7
.LBB38_173:                             ;   in Loop: Header=BB38_169 Depth=1
	s_wait_alu 0xfffe
	s_or_b32 exec_lo, exec_lo, s6
	v_lshlrev_b64_e32 v[2:3], 4, v[12:13]
	s_mov_b32 s6, 0
	s_delay_alu instid0(VALU_DEP_1) | instskip(SKIP_1) | instid1(VALU_DEP_2)
	v_add_co_u32 v16, vcc_lo, s10, v2
	s_wait_alu 0xfffd
	v_add_co_ci_u32_e64 v17, null, s11, v3, vcc_lo
	v_lshl_add_u32 v2, v12, 4, s0
	global_load_b64 v[8:9], v[16:17], off
	ds_load_2addr_b64 v[2:5], v2 offset1:1
	s_wait_dscnt 0x0
	v_add_f64_e32 v[2:3], v[6:7], v[2:3]
.LBB38_174:                             ;   Parent Loop BB38_169 Depth=1
                                        ; =>  This Inner Loop Header: Depth=2
	s_wait_loadcnt 0x0
	s_delay_alu instid0(VALU_DEP_1)
	v_add_f64_e32 v[6:7], v[8:9], v[2:3]
	global_atomic_cmpswap_b64 v[6:7], v[16:17], v[6:9], off th:TH_ATOMIC_RETURN scope:SCOPE_DEV
	s_wait_loadcnt 0x0
	v_cmp_eq_u64_e32 vcc_lo, v[6:7], v[8:9]
	v_dual_mov_b32 v9, v7 :: v_dual_mov_b32 v8, v6
	s_wait_alu 0xfffe
	s_or_b32 s6, vcc_lo, s6
	s_wait_alu 0xfffe
	s_and_not1_b32 exec_lo, exec_lo, s6
	s_cbranch_execnz .LBB38_174
; %bb.175:                              ;   in Loop: Header=BB38_169 Depth=1
	s_or_b32 exec_lo, exec_lo, s6
	global_load_b64 v[6:7], v[16:17], off offset:8
	v_add_f64_e32 v[2:3], v[14:15], v[4:5]
	s_mov_b32 s6, 0
.LBB38_176:                             ;   Parent Loop BB38_169 Depth=1
                                        ; =>  This Inner Loop Header: Depth=2
	s_wait_loadcnt 0x0
	s_delay_alu instid0(VALU_DEP_1)
	v_add_f64_e32 v[4:5], v[6:7], v[2:3]
	global_atomic_cmpswap_b64 v[4:5], v[16:17], v[4:7], off offset:8 th:TH_ATOMIC_RETURN scope:SCOPE_DEV
	s_wait_loadcnt 0x0
	v_cmp_eq_u64_e32 vcc_lo, v[4:5], v[6:7]
	v_dual_mov_b32 v7, v5 :: v_dual_mov_b32 v6, v4
	s_wait_alu 0xfffe
	s_or_b32 s6, vcc_lo, s6
	s_wait_alu 0xfffe
	s_and_not1_b32 exec_lo, exec_lo, s6
	s_cbranch_execnz .LBB38_176
; %bb.177:                              ;   in Loop: Header=BB38_169 Depth=1
	s_or_b32 exec_lo, exec_lo, s6
	v_add_co_u32 v12, vcc_lo, v12, s28
	s_wait_alu 0xfffd
	v_add_co_ci_u32_e64 v13, null, 0, v13, vcc_lo
	s_delay_alu instid0(VALU_DEP_1)
	v_cmp_le_i64_e32 vcc_lo, s[22:23], v[12:13]
	s_or_b32 s3, vcc_lo, s3
	s_wait_alu 0xfffe
	s_and_not1_b32 exec_lo, exec_lo, s3
	s_cbranch_execnz .LBB38_169
.LBB38_178:
	s_wait_alu 0xfffe
	s_or_b32 exec_lo, exec_lo, s1
	s_mov_b32 s1, 0
.LBB38_179:
	s_wait_alu 0xfffe
	s_and_not1_b32 vcc_lo, exec_lo, s1
	s_wait_alu 0xfffe
	s_cbranch_vccnz .LBB38_199
; %bb.180:
	s_cvt_f32_u32 s0, s2
	s_sub_co_i32 s1, 0, s2
	s_wait_alu 0xfffe
	s_delay_alu instid0(SALU_CYCLE_1) | instskip(NEXT) | instid1(TRANS32_DEP_1)
	v_rcp_iflag_f32_e32 v2, s0
	v_readfirstlane_b32 s0, v2
	s_mul_f32 s0, s0, 0x4f7ffffe
	s_wait_alu 0xfffe
	s_delay_alu instid0(SALU_CYCLE_2) | instskip(SKIP_1) | instid1(SALU_CYCLE_2)
	s_cvt_u32_f32 s0, s0
	s_wait_alu 0xfffe
	s_mul_i32 s3, s1, s0
	s_wait_alu 0xfffe
	s_mul_hi_u32 s3, s0, s3
	s_wait_alu 0xfffe
	s_add_co_i32 s0, s0, s3
	s_mov_b32 s3, 0
	s_wait_alu 0xfffe
	v_mul_hi_u32 v2, v0, s0
	s_mov_b32 s0, exec_lo
	s_delay_alu instid0(VALU_DEP_1) | instskip(SKIP_1) | instid1(VALU_DEP_2)
	v_mul_lo_u32 v3, v2, s2
	v_add_nc_u32_e32 v4, 1, v2
	v_sub_nc_u32_e32 v3, v0, v3
	s_delay_alu instid0(VALU_DEP_1) | instskip(SKIP_3) | instid1(VALU_DEP_3)
	v_subrev_nc_u32_e32 v5, s2, v3
	v_cmp_le_u32_e32 vcc_lo, s2, v3
	s_wait_alu 0xfffd
	v_cndmask_b32_e32 v2, v2, v4, vcc_lo
	v_dual_cndmask_b32 v4, v3, v5 :: v_dual_mov_b32 v3, 0
	s_delay_alu instid0(VALU_DEP_2) | instskip(NEXT) | instid1(VALU_DEP_2)
	v_add_nc_u32_e32 v5, 1, v2
	v_cmp_le_u32_e32 vcc_lo, s2, v4
	s_wait_alu 0xfffd
	s_delay_alu instid0(VALU_DEP_2) | instskip(NEXT) | instid1(VALU_DEP_1)
	v_cndmask_b32_e32 v2, v2, v5, vcc_lo
	v_lshlrev_b64_e32 v[4:5], 3, v[2:3]
	s_delay_alu instid0(VALU_DEP_1) | instskip(SKIP_1) | instid1(VALU_DEP_2)
	v_add_co_u32 v4, vcc_lo, s30, v4
	s_wait_alu 0xfffd
	v_add_co_ci_u32_e64 v5, null, s31, v5, vcc_lo
	global_load_b128 v[6:9], v[4:5], off
	v_mov_b32_e32 v4, v3
	s_wait_loadcnt 0x0
	v_sub_co_u32 v6, vcc_lo, v6, s8
	s_wait_alu 0xfffd
	v_subrev_co_ci_u32_e64 v7, null, s9, v7, vcc_lo
	v_sub_co_u32 v15, vcc_lo, v8, s8
	s_wait_alu 0xfffd
	v_subrev_co_ci_u32_e64 v16, null, s9, v9, vcc_lo
                                        ; implicit-def: $vgpr8_vgpr9
	s_delay_alu instid0(VALU_DEP_2) | instskip(SKIP_1) | instid1(VALU_DEP_2)
	v_sub_co_u32 v12, vcc_lo, v15, v6
	s_wait_alu 0xfffd
	v_sub_co_ci_u32_e64 v5, null, v16, v7, vcc_lo
	s_delay_alu instid0(VALU_DEP_1)
	v_cmpx_ne_u64_e32 0, v[4:5]
	s_wait_alu 0xfffe
	s_xor_b32 s5, exec_lo, s0
	s_cbranch_execz .LBB38_182
; %bb.181:
	s_add_nc_u64 s[6:7], s[2:3], 0
	s_mov_b32 s15, s3
	s_wait_alu 0xfffe
	s_xor_b64 s[6:7], s[6:7], 0
	s_mov_b32 s19, s3
	s_wait_alu 0xfffe
	s_cvt_f32_u32 s0, s6
	s_cvt_f32_u32 s8, s7
	s_sub_nc_u64 s[12:13], 0, s[6:7]
	v_ashrrev_i32_e32 v14, 31, v5
	s_wait_alu 0xfffe
	s_fmamk_f32 s0, s8, 0x4f800000, s0
	s_delay_alu instid0(VALU_DEP_1) | instskip(SKIP_1) | instid1(SALU_CYCLE_1)
	v_add_co_u32 v4, vcc_lo, v12, v14
	s_wait_alu 0xfffe
	v_s_rcp_f32 s0, s0
	s_wait_alu 0xfffd
	v_add_co_ci_u32_e64 v5, null, v5, v14, vcc_lo
	v_xor_b32_e32 v17, v4, v14
	s_delay_alu instid0(VALU_DEP_2) | instskip(NEXT) | instid1(TRANS32_DEP_1)
	v_xor_b32_e32 v18, v5, v14
	s_mul_f32 s0, s0, 0x5f7ffffc
	s_wait_alu 0xfffe
	s_delay_alu instid0(SALU_CYCLE_2) | instskip(SKIP_1) | instid1(SALU_CYCLE_2)
	s_mul_f32 s8, s0, 0x2f800000
	s_wait_alu 0xfffe
	s_trunc_f32 s8, s8
	s_wait_alu 0xfffe
	s_delay_alu instid0(SALU_CYCLE_2) | instskip(SKIP_2) | instid1(SALU_CYCLE_1)
	s_fmamk_f32 s0, s8, 0xcf800000, s0
	s_cvt_u32_f32 s9, s8
	s_wait_alu 0xfffe
	s_cvt_u32_f32 s8, s0
	s_wait_alu 0xfffe
	s_delay_alu instid0(SALU_CYCLE_2)
	s_mul_u64 s[16:17], s[12:13], s[8:9]
	s_wait_alu 0xfffe
	s_mul_hi_u32 s21, s8, s17
	s_mul_i32 s20, s8, s17
	s_mul_hi_u32 s14, s8, s16
	s_mul_i32 s18, s9, s16
	s_wait_alu 0xfffe
	s_add_nc_u64 s[14:15], s[14:15], s[20:21]
	s_mul_hi_u32 s0, s9, s16
	s_mul_hi_u32 s22, s9, s17
	s_wait_alu 0xfffe
	s_add_co_u32 s14, s14, s18
	s_add_co_ci_u32 s18, s15, s0
	s_mul_i32 s16, s9, s17
	s_add_co_ci_u32 s17, s22, 0
	s_wait_alu 0xfffe
	s_add_nc_u64 s[14:15], s[18:19], s[16:17]
	s_mov_b32 s17, s3
	s_wait_alu 0xfffe
	s_add_co_u32 s8, s8, s14
	s_cselect_b32 s0, -1, 0
	s_wait_alu 0xfffe
	s_cmp_lg_u32 s0, 0
	s_add_co_ci_u32 s9, s9, s15
	s_mov_b32 s15, s3
	s_wait_alu 0xfffe
	s_mul_u64 s[12:13], s[12:13], s[8:9]
	s_wait_alu 0xfffe
	s_mul_hi_u32 s19, s8, s13
	s_mul_i32 s18, s8, s13
	s_mul_hi_u32 s16, s8, s12
	s_mul_i32 s3, s9, s12
	s_wait_alu 0xfffe
	s_add_nc_u64 s[16:17], s[16:17], s[18:19]
	s_mul_hi_u32 s0, s9, s12
	s_mul_hi_u32 s20, s9, s13
	s_wait_alu 0xfffe
	s_add_co_u32 s3, s16, s3
	s_add_co_ci_u32 s14, s17, s0
	s_mul_i32 s12, s9, s13
	s_add_co_ci_u32 s13, s20, 0
	s_wait_alu 0xfffe
	s_add_nc_u64 s[12:13], s[14:15], s[12:13]
	s_wait_alu 0xfffe
	s_add_co_u32 s0, s8, s12
	s_cselect_b32 s3, -1, 0
	s_wait_alu 0xfffe
	v_mul_hi_u32 v19, v17, s0
	s_cmp_lg_u32 s3, 0
	v_mad_co_u64_u32 v[8:9], null, v18, s0, 0
	s_add_co_ci_u32 s3, s9, s13
	s_wait_alu 0xfffe
	v_mad_co_u64_u32 v[4:5], null, v17, s3, 0
	v_mad_co_u64_u32 v[12:13], null, v18, s3, 0
	s_delay_alu instid0(VALU_DEP_2) | instskip(SKIP_1) | instid1(VALU_DEP_3)
	v_add_co_u32 v4, vcc_lo, v19, v4
	s_wait_alu 0xfffd
	v_add_co_ci_u32_e64 v5, null, 0, v5, vcc_lo
	s_delay_alu instid0(VALU_DEP_2) | instskip(SKIP_1) | instid1(VALU_DEP_2)
	v_add_co_u32 v4, vcc_lo, v4, v8
	s_wait_alu 0xfffd
	v_add_co_ci_u32_e32 v4, vcc_lo, v5, v9, vcc_lo
	s_wait_alu 0xfffd
	v_add_co_ci_u32_e32 v5, vcc_lo, 0, v13, vcc_lo
	s_delay_alu instid0(VALU_DEP_2) | instskip(SKIP_1) | instid1(VALU_DEP_2)
	v_add_co_u32 v8, vcc_lo, v4, v12
	s_wait_alu 0xfffd
	v_add_co_ci_u32_e64 v9, null, 0, v5, vcc_lo
	s_delay_alu instid0(VALU_DEP_2) | instskip(SKIP_1) | instid1(VALU_DEP_3)
	v_mul_lo_u32 v12, s7, v8
	v_mad_co_u64_u32 v[4:5], null, s6, v8, 0
	v_mul_lo_u32 v13, s6, v9
	s_delay_alu instid0(VALU_DEP_2) | instskip(NEXT) | instid1(VALU_DEP_2)
	v_sub_co_u32 v4, vcc_lo, v17, v4
	v_add3_u32 v5, v5, v13, v12
	v_add_co_u32 v13, s0, v8, 2
	s_wait_alu 0xf1ff
	v_add_co_ci_u32_e64 v17, null, 0, v9, s0
	s_delay_alu instid0(VALU_DEP_3) | instskip(SKIP_3) | instid1(VALU_DEP_3)
	v_sub_nc_u32_e32 v12, v18, v5
	v_sub_co_u32 v19, s0, v4, s6
	s_wait_alu 0xfffd
	v_sub_co_ci_u32_e64 v5, null, v18, v5, vcc_lo
	v_subrev_co_ci_u32_e64 v12, null, s7, v12, vcc_lo
	s_delay_alu instid0(VALU_DEP_3) | instskip(SKIP_1) | instid1(VALU_DEP_2)
	v_cmp_le_u32_e32 vcc_lo, s6, v19
	s_wait_alu 0xf1ff
	v_subrev_co_ci_u32_e64 v12, null, 0, v12, s0
	s_wait_alu 0xfffd
	v_cndmask_b32_e64 v18, 0, -1, vcc_lo
	v_cmp_eq_u32_e64 s0, s7, v5
	s_delay_alu instid0(VALU_DEP_3)
	v_cmp_le_u32_e32 vcc_lo, s7, v12
	s_wait_alu 0xfffd
	v_cndmask_b32_e64 v19, 0, -1, vcc_lo
	v_cmp_le_u32_e32 vcc_lo, s6, v4
	s_wait_alu 0xfffd
	v_cndmask_b32_e64 v4, 0, -1, vcc_lo
	;; [unrolled: 3-line block ×3, first 2 shown]
	v_cmp_eq_u32_e32 vcc_lo, s7, v12
	s_wait_alu 0xf1ff
	s_delay_alu instid0(VALU_DEP_2)
	v_cndmask_b32_e64 v4, v20, v4, s0
	s_wait_alu 0xfffd
	v_cndmask_b32_e32 v12, v19, v18, vcc_lo
	v_add_co_u32 v18, vcc_lo, v8, 1
	s_wait_alu 0xfffd
	v_add_co_ci_u32_e64 v19, null, 0, v9, vcc_lo
	s_delay_alu instid0(VALU_DEP_3) | instskip(SKIP_1) | instid1(VALU_DEP_2)
	v_cmp_ne_u32_e32 vcc_lo, 0, v12
	s_wait_alu 0xfffd
	v_cndmask_b32_e32 v5, v19, v17, vcc_lo
	v_cndmask_b32_e32 v12, v18, v13, vcc_lo
	v_cmp_ne_u32_e32 vcc_lo, 0, v4
	s_wait_alu 0xfffd
	s_delay_alu instid0(VALU_DEP_2) | instskip(NEXT) | instid1(VALU_DEP_1)
	v_dual_cndmask_b32 v4, v9, v5 :: v_dual_cndmask_b32 v5, v8, v12
                                        ; implicit-def: $vgpr12
	v_xor_b32_e32 v4, v4, v14
	s_delay_alu instid0(VALU_DEP_2) | instskip(NEXT) | instid1(VALU_DEP_1)
	v_xor_b32_e32 v5, v5, v14
	v_sub_co_u32 v8, vcc_lo, v5, v14
	s_wait_alu 0xfffd
	s_delay_alu instid0(VALU_DEP_3)
	v_sub_co_ci_u32_e64 v9, null, v4, v14, vcc_lo
.LBB38_182:
	s_wait_alu 0xfffe
	s_and_not1_saveexec_b32 s0, s5
	s_cbranch_execz .LBB38_184
; %bb.183:
	v_cvt_f32_u32_e32 v4, s2
	s_delay_alu instid0(VALU_DEP_1) | instskip(NEXT) | instid1(TRANS32_DEP_1)
	v_rcp_iflag_f32_e32 v4, v4
	v_mul_f32_e32 v4, 0x4f7ffffe, v4
	s_delay_alu instid0(VALU_DEP_1) | instskip(NEXT) | instid1(VALU_DEP_1)
	v_cvt_u32_f32_e32 v4, v4
	v_mul_lo_u32 v5, s1, v4
	s_delay_alu instid0(VALU_DEP_1) | instskip(NEXT) | instid1(VALU_DEP_1)
	v_mul_hi_u32 v5, v4, v5
	v_add_nc_u32_e32 v4, v4, v5
	s_delay_alu instid0(VALU_DEP_1) | instskip(NEXT) | instid1(VALU_DEP_1)
	v_mul_hi_u32 v4, v12, v4
	v_mul_lo_u32 v5, v4, s2
	v_add_nc_u32_e32 v8, 1, v4
	s_delay_alu instid0(VALU_DEP_2) | instskip(NEXT) | instid1(VALU_DEP_1)
	v_sub_nc_u32_e32 v5, v12, v5
	v_subrev_nc_u32_e32 v9, s2, v5
	v_cmp_le_u32_e32 vcc_lo, s2, v5
	s_wait_alu 0xfffd
	s_delay_alu instid0(VALU_DEP_2) | instskip(SKIP_1) | instid1(VALU_DEP_2)
	v_dual_cndmask_b32 v5, v5, v9 :: v_dual_cndmask_b32 v4, v4, v8
	v_mov_b32_e32 v9, 0
	v_cmp_le_u32_e32 vcc_lo, s2, v5
	s_delay_alu instid0(VALU_DEP_3) | instskip(SKIP_1) | instid1(VALU_DEP_1)
	v_add_nc_u32_e32 v8, 1, v4
	s_wait_alu 0xfffd
	v_cndmask_b32_e32 v8, v4, v8, vcc_lo
.LBB38_184:
	s_wait_alu 0xfffe
	s_or_b32 exec_lo, exec_lo, s0
	v_mov_b32_e32 v4, 0
	v_cmp_gt_i64_e32 vcc_lo, s[24:25], v[2:3]
	v_dual_mov_b32 v5, 0 :: v_dual_mov_b32 v2, 0
	v_mov_b32_e32 v3, 0
	s_and_saveexec_b32 s0, vcc_lo
	s_cbranch_execz .LBB38_192
; %bb.185:
	s_add_co_i32 s1, s2, -1
	v_mov_b32_e32 v4, 0
	s_wait_alu 0xfffe
	v_dual_mov_b32 v5, 0 :: v_dual_and_b32 v12, s1, v0
	v_mov_b32_e32 v2, 0
	v_mov_b32_e32 v3, 0
	s_mov_b32 s1, exec_lo
	s_delay_alu instid0(VALU_DEP_3)
	v_lshlrev_b32_e32 v17, 4, v12
	v_cmpx_lt_i64_e32 0, v[8:9]
	s_cbranch_execz .LBB38_189
; %bb.186:
	v_mov_b32_e32 v4, 0
	v_dual_mov_b32 v5, 0 :: v_dual_mov_b32 v14, v9
	v_lshl_add_u32 v18, v6, 4, v17
	s_delay_alu instid0(VALU_DEP_3) | instskip(NEXT) | instid1(VALU_DEP_3)
	v_dual_mov_b32 v13, v8 :: v_dual_mov_b32 v2, v4
	v_mov_b32_e32 v3, v5
	s_lshl_b32 s5, s2, 4
	s_mov_b32 s3, 0
.LBB38_187:                             ; =>This Inner Loop Header: Depth=1
	ds_load_b128 v[19:22], v18
	v_add_co_u32 v13, vcc_lo, v13, -1
	s_wait_alu 0xfffd
	v_add_co_ci_u32_e64 v14, null, -1, v14, vcc_lo
	s_wait_alu 0xfffe
	v_add_nc_u32_e32 v18, s5, v18
	s_delay_alu instid0(VALU_DEP_2)
	v_cmp_eq_u64_e32 vcc_lo, 0, v[13:14]
	s_or_b32 s3, vcc_lo, s3
	s_wait_dscnt 0x0
	v_add_f64_e32 v[2:3], v[2:3], v[19:20]
	v_add_f64_e32 v[4:5], v[4:5], v[21:22]
	s_wait_alu 0xfffe
	s_and_not1_b32 exec_lo, exec_lo, s3
	s_cbranch_execnz .LBB38_187
; %bb.188:
	s_or_b32 exec_lo, exec_lo, s3
.LBB38_189:
	s_wait_alu 0xfffe
	s_or_b32 exec_lo, exec_lo, s1
	v_mad_co_u64_u32 v[6:7], null, v8, s2, v[6:7]
	v_mov_b32_e32 v13, 0
	s_mov_b32 s1, exec_lo
	s_delay_alu instid0(VALU_DEP_2) | instskip(NEXT) | instid1(VALU_DEP_3)
	v_mad_co_u64_u32 v[7:8], null, v9, s2, v[7:8]
	v_sub_co_u32 v8, vcc_lo, v15, v6
	s_wait_alu 0xfffd
	s_delay_alu instid0(VALU_DEP_2) | instskip(NEXT) | instid1(VALU_DEP_1)
	v_sub_co_ci_u32_e64 v9, null, v16, v7, vcc_lo
	v_cmpx_gt_i64_e64 v[8:9], v[12:13]
	s_cbranch_execz .LBB38_191
; %bb.190:
	v_lshl_add_u32 v6, v6, 4, v17
	ds_load_b128 v[6:9], v6
	s_wait_dscnt 0x0
	v_add_f64_e32 v[2:3], v[2:3], v[6:7]
	v_add_f64_e32 v[4:5], v[4:5], v[8:9]
.LBB38_191:
	s_wait_alu 0xfffe
	s_or_b32 exec_lo, exec_lo, s1
.LBB38_192:
	s_wait_alu 0xfffe
	s_or_b32 exec_lo, exec_lo, s0
	v_cmp_gt_i64_e32 vcc_lo, s[24:25], v[0:1]
	s_barrier_signal -1
	s_barrier_wait -1
	global_inv scope:SCOPE_SE
	ds_store_b128 v26, v[2:5]
	s_wait_loadcnt_dscnt 0x0
	s_barrier_signal -1
	s_barrier_wait -1
	global_inv scope:SCOPE_SE
	s_and_b32 exec_lo, exec_lo, vcc_lo
	s_cbranch_execz .LBB38_199
; %bb.193:
	v_mul_lo_u32 v1, s2, v0
	v_mov_b32_e32 v8, 0
	v_dual_mov_b32 v9, 0 :: v_dual_mov_b32 v4, 0
	v_mov_b32_e32 v5, 0
	s_delay_alu instid0(VALU_DEP_4)
	v_lshlrev_b32_e32 v1, 4, v1
.LBB38_194:                             ; =>This Inner Loop Header: Depth=1
	ds_load_b128 v[12:15], v1
	v_add_nc_u32_e32 v1, 16, v1
	s_add_co_i32 s2, s2, -1
	s_wait_alu 0xfffe
	s_cmp_eq_u32 s2, 0
	s_wait_dscnt 0x0
	v_add_f64_e32 v[4:5], v[4:5], v[12:13]
	v_add_f64_e32 v[8:9], v[8:9], v[14:15]
	s_cbranch_scc0 .LBB38_194
; %bb.195:
	v_lshlrev_b64_e32 v[1:2], 4, v[10:11]
	v_lshlrev_b32_e32 v0, 4, v0
	s_lshl_b32 s0, s4, 4
	s_wait_alu 0xfffe
	s_delay_alu instid0(VALU_DEP_1) | instskip(NEXT) | instid1(VALU_DEP_3)
	v_add3_u32 v0, 0x4000, s0, v0
	v_add_co_u32 v10, vcc_lo, s10, v1
	s_wait_alu 0xfffd
	v_add_co_ci_u32_e64 v11, null, s11, v2, vcc_lo
	ds_load_2addr_b64 v[0:3], v0 offset1:1
	s_mov_b32 s0, 0
	global_load_b64 v[6:7], v[10:11], off
	s_wait_dscnt 0x0
	v_add_f64_e32 v[0:1], v[4:5], v[0:1]
.LBB38_196:                             ; =>This Inner Loop Header: Depth=1
	s_wait_loadcnt 0x0
	s_delay_alu instid0(VALU_DEP_1)
	v_add_f64_e32 v[4:5], v[6:7], v[0:1]
	global_atomic_cmpswap_b64 v[4:5], v[10:11], v[4:7], off th:TH_ATOMIC_RETURN scope:SCOPE_DEV
	s_wait_loadcnt 0x0
	v_cmp_eq_u64_e32 vcc_lo, v[4:5], v[6:7]
	v_dual_mov_b32 v7, v5 :: v_dual_mov_b32 v6, v4
	s_wait_alu 0xfffe
	s_or_b32 s0, vcc_lo, s0
	s_wait_alu 0xfffe
	s_and_not1_b32 exec_lo, exec_lo, s0
	s_cbranch_execnz .LBB38_196
; %bb.197:
	s_or_b32 exec_lo, exec_lo, s0
	global_load_b64 v[4:5], v[10:11], off offset:8
	v_add_f64_e32 v[0:1], v[8:9], v[2:3]
	s_mov_b32 s0, 0
.LBB38_198:                             ; =>This Inner Loop Header: Depth=1
	s_wait_loadcnt 0x0
	s_delay_alu instid0(VALU_DEP_1)
	v_add_f64_e32 v[2:3], v[4:5], v[0:1]
	global_atomic_cmpswap_b64 v[2:3], v[10:11], v[2:5], off offset:8 th:TH_ATOMIC_RETURN scope:SCOPE_DEV
	s_wait_loadcnt 0x0
	v_cmp_eq_u64_e32 vcc_lo, v[2:3], v[4:5]
	v_dual_mov_b32 v5, v3 :: v_dual_mov_b32 v4, v2
	s_wait_alu 0xfffe
	s_or_b32 s0, vcc_lo, s0
	s_wait_alu 0xfffe
	s_and_not1_b32 exec_lo, exec_lo, s0
	s_cbranch_execnz .LBB38_198
.LBB38_199:
	s_endpgm
	.section	.rodata,"a",@progbits
	.p2align	6, 0x0
	.amdhsa_kernel _ZN9rocsparseL27csrmvn_symm_adaptive_kernelIli21rocsparse_complex_numIdES2_S2_S2_EEvbT_S3_PKS3_NS_24const_host_device_scalarIT4_EES5_PKT0_PKT1_PKT2_S8_PT3_21rocsparse_index_base_b
		.amdhsa_group_segment_fixed_size 16384
		.amdhsa_private_segment_fixed_size 0
		.amdhsa_kernarg_size 368
		.amdhsa_user_sgpr_count 2
		.amdhsa_user_sgpr_dispatch_ptr 0
		.amdhsa_user_sgpr_queue_ptr 0
		.amdhsa_user_sgpr_kernarg_segment_ptr 1
		.amdhsa_user_sgpr_dispatch_id 0
		.amdhsa_user_sgpr_private_segment_size 0
		.amdhsa_wavefront_size32 1
		.amdhsa_uses_dynamic_stack 0
		.amdhsa_enable_private_segment 0
		.amdhsa_system_sgpr_workgroup_id_x 1
		.amdhsa_system_sgpr_workgroup_id_y 0
		.amdhsa_system_sgpr_workgroup_id_z 0
		.amdhsa_system_sgpr_workgroup_info 0
		.amdhsa_system_vgpr_workitem_id 0
		.amdhsa_next_free_vgpr 37
		.amdhsa_next_free_sgpr 42
		.amdhsa_reserve_vcc 1
		.amdhsa_float_round_mode_32 0
		.amdhsa_float_round_mode_16_64 0
		.amdhsa_float_denorm_mode_32 3
		.amdhsa_float_denorm_mode_16_64 3
		.amdhsa_fp16_overflow 0
		.amdhsa_workgroup_processor_mode 1
		.amdhsa_memory_ordered 1
		.amdhsa_forward_progress 1
		.amdhsa_inst_pref_size 102
		.amdhsa_round_robin_scheduling 0
		.amdhsa_exception_fp_ieee_invalid_op 0
		.amdhsa_exception_fp_denorm_src 0
		.amdhsa_exception_fp_ieee_div_zero 0
		.amdhsa_exception_fp_ieee_overflow 0
		.amdhsa_exception_fp_ieee_underflow 0
		.amdhsa_exception_fp_ieee_inexact 0
		.amdhsa_exception_int_div_zero 0
	.end_amdhsa_kernel
	.section	.text._ZN9rocsparseL27csrmvn_symm_adaptive_kernelIli21rocsparse_complex_numIdES2_S2_S2_EEvbT_S3_PKS3_NS_24const_host_device_scalarIT4_EES5_PKT0_PKT1_PKT2_S8_PT3_21rocsparse_index_base_b,"axG",@progbits,_ZN9rocsparseL27csrmvn_symm_adaptive_kernelIli21rocsparse_complex_numIdES2_S2_S2_EEvbT_S3_PKS3_NS_24const_host_device_scalarIT4_EES5_PKT0_PKT1_PKT2_S8_PT3_21rocsparse_index_base_b,comdat
.Lfunc_end38:
	.size	_ZN9rocsparseL27csrmvn_symm_adaptive_kernelIli21rocsparse_complex_numIdES2_S2_S2_EEvbT_S3_PKS3_NS_24const_host_device_scalarIT4_EES5_PKT0_PKT1_PKT2_S8_PT3_21rocsparse_index_base_b, .Lfunc_end38-_ZN9rocsparseL27csrmvn_symm_adaptive_kernelIli21rocsparse_complex_numIdES2_S2_S2_EEvbT_S3_PKS3_NS_24const_host_device_scalarIT4_EES5_PKT0_PKT1_PKT2_S8_PT3_21rocsparse_index_base_b
                                        ; -- End function
	.set _ZN9rocsparseL27csrmvn_symm_adaptive_kernelIli21rocsparse_complex_numIdES2_S2_S2_EEvbT_S3_PKS3_NS_24const_host_device_scalarIT4_EES5_PKT0_PKT1_PKT2_S8_PT3_21rocsparse_index_base_b.num_vgpr, 37
	.set _ZN9rocsparseL27csrmvn_symm_adaptive_kernelIli21rocsparse_complex_numIdES2_S2_S2_EEvbT_S3_PKS3_NS_24const_host_device_scalarIT4_EES5_PKT0_PKT1_PKT2_S8_PT3_21rocsparse_index_base_b.num_agpr, 0
	.set _ZN9rocsparseL27csrmvn_symm_adaptive_kernelIli21rocsparse_complex_numIdES2_S2_S2_EEvbT_S3_PKS3_NS_24const_host_device_scalarIT4_EES5_PKT0_PKT1_PKT2_S8_PT3_21rocsparse_index_base_b.numbered_sgpr, 42
	.set _ZN9rocsparseL27csrmvn_symm_adaptive_kernelIli21rocsparse_complex_numIdES2_S2_S2_EEvbT_S3_PKS3_NS_24const_host_device_scalarIT4_EES5_PKT0_PKT1_PKT2_S8_PT3_21rocsparse_index_base_b.num_named_barrier, 0
	.set _ZN9rocsparseL27csrmvn_symm_adaptive_kernelIli21rocsparse_complex_numIdES2_S2_S2_EEvbT_S3_PKS3_NS_24const_host_device_scalarIT4_EES5_PKT0_PKT1_PKT2_S8_PT3_21rocsparse_index_base_b.private_seg_size, 0
	.set _ZN9rocsparseL27csrmvn_symm_adaptive_kernelIli21rocsparse_complex_numIdES2_S2_S2_EEvbT_S3_PKS3_NS_24const_host_device_scalarIT4_EES5_PKT0_PKT1_PKT2_S8_PT3_21rocsparse_index_base_b.uses_vcc, 1
	.set _ZN9rocsparseL27csrmvn_symm_adaptive_kernelIli21rocsparse_complex_numIdES2_S2_S2_EEvbT_S3_PKS3_NS_24const_host_device_scalarIT4_EES5_PKT0_PKT1_PKT2_S8_PT3_21rocsparse_index_base_b.uses_flat_scratch, 0
	.set _ZN9rocsparseL27csrmvn_symm_adaptive_kernelIli21rocsparse_complex_numIdES2_S2_S2_EEvbT_S3_PKS3_NS_24const_host_device_scalarIT4_EES5_PKT0_PKT1_PKT2_S8_PT3_21rocsparse_index_base_b.has_dyn_sized_stack, 0
	.set _ZN9rocsparseL27csrmvn_symm_adaptive_kernelIli21rocsparse_complex_numIdES2_S2_S2_EEvbT_S3_PKS3_NS_24const_host_device_scalarIT4_EES5_PKT0_PKT1_PKT2_S8_PT3_21rocsparse_index_base_b.has_recursion, 0
	.set _ZN9rocsparseL27csrmvn_symm_adaptive_kernelIli21rocsparse_complex_numIdES2_S2_S2_EEvbT_S3_PKS3_NS_24const_host_device_scalarIT4_EES5_PKT0_PKT1_PKT2_S8_PT3_21rocsparse_index_base_b.has_indirect_call, 0
	.section	.AMDGPU.csdata,"",@progbits
; Kernel info:
; codeLenInByte = 13052
; TotalNumSgprs: 44
; NumVgprs: 37
; ScratchSize: 0
; MemoryBound: 0
; FloatMode: 240
; IeeeMode: 1
; LDSByteSize: 16384 bytes/workgroup (compile time only)
; SGPRBlocks: 0
; VGPRBlocks: 4
; NumSGPRsForWavesPerEU: 44
; NumVGPRsForWavesPerEU: 37
; Occupancy: 16
; WaveLimiterHint : 1
; COMPUTE_PGM_RSRC2:SCRATCH_EN: 0
; COMPUTE_PGM_RSRC2:USER_SGPR: 2
; COMPUTE_PGM_RSRC2:TRAP_HANDLER: 0
; COMPUTE_PGM_RSRC2:TGID_X_EN: 1
; COMPUTE_PGM_RSRC2:TGID_Y_EN: 0
; COMPUTE_PGM_RSRC2:TGID_Z_EN: 0
; COMPUTE_PGM_RSRC2:TIDIG_COMP_CNT: 0
	.section	.text._ZL33csrmvn_symm_large_adaptive_kernelIli21rocsparse_complex_numIdES1_S1_S1_EvbT_PKS2_N9rocsparse24const_host_device_scalarIT4_EES4_PKT0_PKT1_PKT2_S8_PT3_21rocsparse_index_base_b,"axG",@progbits,_ZL33csrmvn_symm_large_adaptive_kernelIli21rocsparse_complex_numIdES1_S1_S1_EvbT_PKS2_N9rocsparse24const_host_device_scalarIT4_EES4_PKT0_PKT1_PKT2_S8_PT3_21rocsparse_index_base_b,comdat
	.globl	_ZL33csrmvn_symm_large_adaptive_kernelIli21rocsparse_complex_numIdES1_S1_S1_EvbT_PKS2_N9rocsparse24const_host_device_scalarIT4_EES4_PKT0_PKT1_PKT2_S8_PT3_21rocsparse_index_base_b ; -- Begin function _ZL33csrmvn_symm_large_adaptive_kernelIli21rocsparse_complex_numIdES1_S1_S1_EvbT_PKS2_N9rocsparse24const_host_device_scalarIT4_EES4_PKT0_PKT1_PKT2_S8_PT3_21rocsparse_index_base_b
	.p2align	8
	.type	_ZL33csrmvn_symm_large_adaptive_kernelIli21rocsparse_complex_numIdES1_S1_S1_EvbT_PKS2_N9rocsparse24const_host_device_scalarIT4_EES4_PKT0_PKT1_PKT2_S8_PT3_21rocsparse_index_base_b,@function
_ZL33csrmvn_symm_large_adaptive_kernelIli21rocsparse_complex_numIdES1_S1_S1_EvbT_PKS2_N9rocsparse24const_host_device_scalarIT4_EES4_PKT0_PKT1_PKT2_S8_PT3_21rocsparse_index_base_b: ; @_ZL33csrmvn_symm_large_adaptive_kernelIli21rocsparse_complex_numIdES1_S1_S1_EvbT_PKS2_N9rocsparse24const_host_device_scalarIT4_EES4_PKT0_PKT1_PKT2_S8_PT3_21rocsparse_index_base_b
; %bb.0:
	s_clause 0x1
	s_load_b64 s[6:7], s[0:1], 0x60
	s_load_b64 s[4:5], s[0:1], 0x18
	s_add_nc_u64 s[8:9], s[0:1], 24
	s_wait_kmcnt 0x0
	s_bitcmp1_b32 s7, 0
	s_cselect_b32 s3, -1, 0
	s_delay_alu instid0(SALU_CYCLE_1) | instskip(SKIP_2) | instid1(SALU_CYCLE_1)
	s_and_b32 s2, s3, exec_lo
	s_cselect_b32 s2, s8, s4
	s_cselect_b32 s4, s9, s5
	v_dual_mov_b32 v1, s2 :: v_dual_mov_b32 v2, s4
	flat_load_b128 v[1:4], v[1:2]
	s_wait_loadcnt_dscnt 0x0
	v_cmp_eq_f64_e32 vcc_lo, 0, v[1:2]
	v_cmp_eq_f64_e64 s2, 0, v[3:4]
	s_and_b32 s5, vcc_lo, s2
	s_mov_b32 s2, -1
	s_wait_alu 0xfffe
	s_and_saveexec_b32 s4, s5
	s_cbranch_execz .LBB39_2
; %bb.1:
	s_load_b64 s[8:9], s[0:1], 0x48
	s_add_nc_u64 s[10:11], s[0:1], 0x48
	s_and_b32 s2, s3, exec_lo
	s_wait_kmcnt 0x0
	s_cselect_b32 s2, s10, s8
	s_cselect_b32 s3, s11, s9
	s_wait_alu 0xfffe
	v_dual_mov_b32 v5, s2 :: v_dual_mov_b32 v6, s3
	flat_load_b128 v[5:8], v[5:6]
	s_wait_loadcnt_dscnt 0x0
	v_cmp_neq_f64_e32 vcc_lo, 1.0, v[5:6]
	v_cmp_neq_f64_e64 s2, 0, v[7:8]
	s_or_b32 s2, vcc_lo, s2
	s_wait_alu 0xfffe
	s_or_not1_b32 s2, s2, exec_lo
.LBB39_2:
	s_wait_alu 0xfffe
	s_or_b32 exec_lo, exec_lo, s4
	s_and_saveexec_b32 s3, s2
	s_cbranch_execz .LBB39_43
; %bb.3:
	s_clause 0x1
	s_load_b32 s2, s[0:1], 0x0
	s_load_b64 s[8:9], s[0:1], 0x10
	s_mov_b32 s24, 0
	s_mov_b32 s4, ttmp9
	s_mov_b32 s25, s24
	s_mov_b32 s26, s24
	;; [unrolled: 1-line block ×3, first 2 shown]
	s_delay_alu instid0(SALU_CYCLE_1)
	v_dual_mov_b32 v5, s24 :: v_dual_mov_b32 v8, s27
	v_dual_mov_b32 v6, s25 :: v_dual_lshlrev_b32 v15, 4, v0
	v_dual_mov_b32 v7, s26 :: v_dual_mov_b32 v18, 0
	ds_store_b128 v15, v[5:8]
	ds_store_b128 v15, v[5:8] offset:4096
	ds_store_b128 v15, v[5:8] offset:8192
	;; [unrolled: 1-line block ×3, first 2 shown]
	s_wait_dscnt 0x0
	s_barrier_signal -1
	s_barrier_wait -1
	s_wait_kmcnt 0x0
	s_bitcmp1_b32 s2, 0
	global_inv scope:SCOPE_SE
	s_cselect_b32 s2, -1, 0
	s_ashr_i32 s5, ttmp9, 31
	s_mov_b32 s7, s24
	s_wait_alu 0xfffe
	s_lshl_b64 s[4:5], s[4:5], 3
	s_wait_alu 0xfffe
	s_add_nc_u64 s[4:5], s[8:9], s[4:5]
	s_load_b128 s[16:19], s[4:5], 0x0
	s_clause 0x1
	s_load_b64 s[20:21], s[0:1], 0x58
	s_load_b256 s[8:15], s[0:1], 0x28
	v_sub_co_u32 v16, s1, v0, s6
	s_delay_alu instid0(VALU_DEP_1)
	v_sub_co_ci_u32_e64 v17, null, 0, 0, s1
	s_wait_kmcnt 0x0
	v_cmp_ge_i64_e64 s0, s[16:17], s[18:19]
	s_and_b32 vcc_lo, exec_lo, s0
	s_cbranch_vccnz .LBB39_31
; %bb.4:
	v_cmp_gt_u32_e64 s0, 64, v0
	v_cmp_gt_u32_e64 s1, 16, v0
	;; [unrolled: 1-line block ×3, first 2 shown]
	v_cmp_eq_u32_e64 s4, 0, v0
	s_add_nc_u64 s[22:23], s[12:13], 8
	s_mov_b64 s[24:25], s[16:17]
	s_branch .LBB39_6
.LBB39_5:                               ;   in Loop: Header=BB39_6 Depth=1
	s_wait_alu 0xfffe
	s_or_b32 exec_lo, exec_lo, s5
	s_add_nc_u64 s[24:25], s[24:25], 1
	s_wait_alu 0xfffe
	v_cmp_ge_i64_e64 s5, s[24:25], s[18:19]
	s_and_b32 vcc_lo, exec_lo, s5
	s_wait_alu 0xfffe
	s_cbranch_vccnz .LBB39_31
.LBB39_6:                               ; =>This Loop Header: Depth=1
                                        ;     Child Loop BB39_8 Depth 2
                                        ;     Child Loop BB39_20 Depth 2
                                        ;     Child Loop BB39_23 Depth 2
                                        ;     Child Loop BB39_26 Depth 2
                                        ;     Child Loop BB39_29 Depth 2
	s_wait_alu 0xfffe
	s_lshl_b64 s[26:27], s[24:25], 3
	v_mov_b32_e32 v7, 0
	s_wait_alu 0xfffe
	s_add_nc_u64 s[26:27], s[8:9], s[26:27]
	v_dual_mov_b32 v8, 0 :: v_dual_mov_b32 v5, 0
	s_load_b128 s[28:31], s[26:27], 0x0
	v_mov_b32_e32 v6, 0
	s_wait_kmcnt 0x0
	v_add_co_u32 v9, vcc_lo, s28, v16
	s_wait_alu 0xfffd
	v_add_co_ci_u32_e64 v10, null, s29, v17, vcc_lo
	s_sub_nc_u64 s[26:27], s[30:31], s[6:7]
	s_mov_b32 s28, exec_lo
	s_wait_alu 0xfffe
	v_cmpx_gt_i64_e64 s[26:27], v[9:10]
	s_cbranch_execz .LBB39_10
; %bb.7:                                ;   in Loop: Header=BB39_6 Depth=1
	v_lshlrev_b64_e32 v[5:6], 2, v[9:10]
	v_lshlrev_b64_e32 v[13:14], 4, v[9:10]
	v_mov_b32_e32 v7, 0
	v_mov_b32_e32 v8, 0
	s_mov_b32 s29, 0
	s_delay_alu instid0(VALU_DEP_4)
	v_add_co_u32 v11, vcc_lo, s10, v5
	s_wait_alu 0xfffd
	v_add_co_ci_u32_e64 v12, null, s11, v6, vcc_lo
	v_add_co_u32 v13, vcc_lo, s22, v13
	s_wait_alu 0xfffd
	v_add_co_ci_u32_e64 v14, null, s23, v14, vcc_lo
	v_dual_mov_b32 v5, v7 :: v_dual_mov_b32 v6, v8
.LBB39_8:                               ;   Parent Loop BB39_6 Depth=1
                                        ; =>  This Inner Loop Header: Depth=2
	global_load_b32 v0, v[11:12], off
	s_wait_loadcnt 0x0
	v_subrev_nc_u32_e32 v19, s6, v0
	s_delay_alu instid0(VALU_DEP_1) | instskip(NEXT) | instid1(VALU_DEP_1)
	v_ashrrev_i32_e32 v20, 31, v19
	v_lshlrev_b64_e32 v[23:24], 4, v[19:20]
	global_load_b128 v[19:22], v[13:14], off offset:-8
	v_add_co_u32 v13, s5, 0x1000, v13
	s_wait_alu 0xf1ff
	v_add_co_ci_u32_e64 v14, null, 0, v14, s5
	v_add_co_u32 v23, vcc_lo, s14, v23
	s_wait_alu 0xfffd
	v_add_co_ci_u32_e64 v24, null, s15, v24, vcc_lo
	v_add_co_u32 v9, vcc_lo, 0x100, v9
	s_wait_alu 0xfffd
	v_add_co_ci_u32_e64 v10, null, 0, v10, vcc_lo
	global_load_b128 v[23:26], v[23:24], off
	v_add_co_u32 v11, vcc_lo, 0x400, v11
	s_wait_alu 0xfffd
	v_add_co_ci_u32_e64 v12, null, 0, v12, vcc_lo
	v_cmp_le_i64_e32 vcc_lo, s[26:27], v[9:10]
	s_wait_alu 0xfffe
	s_or_b32 s29, vcc_lo, s29
	s_wait_loadcnt 0x1
	v_xor_b32_e32 v0, 0x80000000, v22
	s_delay_alu instid0(VALU_DEP_1) | instskip(SKIP_2) | instid1(VALU_DEP_2)
	v_cndmask_b32_e64 v22, v22, v0, s2
	s_wait_loadcnt 0x0
	v_fma_f64 v[5:6], v[19:20], v[23:24], v[5:6]
	v_fma_f64 v[7:8], v[21:22], v[23:24], v[7:8]
	s_delay_alu instid0(VALU_DEP_2) | instskip(NEXT) | instid1(VALU_DEP_2)
	v_fma_f64 v[5:6], -v[21:22], v[25:26], v[5:6]
	v_fma_f64 v[7:8], v[19:20], v[25:26], v[7:8]
	s_wait_alu 0xfffe
	s_and_not1_b32 exec_lo, exec_lo, s29
	s_cbranch_execnz .LBB39_8
; %bb.9:                                ;   in Loop: Header=BB39_6 Depth=1
	s_or_b32 exec_lo, exec_lo, s29
.LBB39_10:                              ;   in Loop: Header=BB39_6 Depth=1
	s_delay_alu instid0(SALU_CYCLE_1)
	s_or_b32 exec_lo, exec_lo, s28
	ds_store_b128 v15, v[5:8]
	s_wait_loadcnt_dscnt 0x0
	s_barrier_signal -1
	s_barrier_wait -1
	global_inv scope:SCOPE_SE
	ds_load_b128 v[5:8], v15 offset:4096
	ds_load_b128 v[9:12], v15 offset:8192
	;; [unrolled: 1-line block ×3, first 2 shown]
	ds_load_b128 v[23:26], v15
	s_wait_dscnt 0x2
	v_add_f64_e32 v[5:6], v[9:10], v[5:6]
	v_add_f64_e32 v[7:8], v[11:12], v[7:8]
	s_wait_dscnt 0x1
	s_delay_alu instid0(VALU_DEP_2) | instskip(NEXT) | instid1(VALU_DEP_2)
	v_add_f64_e32 v[5:6], v[5:6], v[19:20]
	v_add_f64_e32 v[7:8], v[7:8], v[21:22]
	s_wait_dscnt 0x0
	s_delay_alu instid0(VALU_DEP_2) | instskip(NEXT) | instid1(VALU_DEP_2)
	v_add_f64_e32 v[5:6], v[5:6], v[23:24]
	v_add_f64_e32 v[7:8], v[7:8], v[25:26]
	ds_store_b128 v15, v[5:8]
	s_wait_loadcnt_dscnt 0x0
	s_barrier_signal -1
	s_barrier_wait -1
	global_inv scope:SCOPE_SE
	s_and_saveexec_b32 s5, s0
	s_cbranch_execz .LBB39_12
; %bb.11:                               ;   in Loop: Header=BB39_6 Depth=1
	ds_load_b128 v[5:8], v15 offset:1024
	ds_load_b128 v[9:12], v15 offset:2048
	ds_load_b128 v[19:22], v15 offset:3072
	ds_load_b128 v[23:26], v15
	s_wait_dscnt 0x2
	v_add_f64_e32 v[5:6], v[9:10], v[5:6]
	v_add_f64_e32 v[7:8], v[11:12], v[7:8]
	s_wait_dscnt 0x1
	s_delay_alu instid0(VALU_DEP_2) | instskip(NEXT) | instid1(VALU_DEP_2)
	v_add_f64_e32 v[5:6], v[5:6], v[19:20]
	v_add_f64_e32 v[7:8], v[7:8], v[21:22]
	s_wait_dscnt 0x0
	s_delay_alu instid0(VALU_DEP_2) | instskip(NEXT) | instid1(VALU_DEP_2)
	v_add_f64_e32 v[5:6], v[5:6], v[23:24]
	v_add_f64_e32 v[7:8], v[7:8], v[25:26]
	ds_store_b128 v15, v[5:8]
.LBB39_12:                              ;   in Loop: Header=BB39_6 Depth=1
	s_wait_alu 0xfffe
	s_or_b32 exec_lo, exec_lo, s5
	s_wait_loadcnt_dscnt 0x0
	s_barrier_signal -1
	s_barrier_wait -1
	global_inv scope:SCOPE_SE
	s_and_saveexec_b32 s5, s1
	s_cbranch_execz .LBB39_14
; %bb.13:                               ;   in Loop: Header=BB39_6 Depth=1
	ds_load_b128 v[5:8], v15 offset:256
	ds_load_b128 v[9:12], v15 offset:512
	ds_load_b128 v[19:22], v15 offset:768
	ds_load_b128 v[23:26], v15
	s_wait_dscnt 0x2
	v_add_f64_e32 v[5:6], v[9:10], v[5:6]
	v_add_f64_e32 v[7:8], v[11:12], v[7:8]
	s_wait_dscnt 0x1
	s_delay_alu instid0(VALU_DEP_2) | instskip(NEXT) | instid1(VALU_DEP_2)
	v_add_f64_e32 v[5:6], v[5:6], v[19:20]
	v_add_f64_e32 v[7:8], v[7:8], v[21:22]
	s_wait_dscnt 0x0
	s_delay_alu instid0(VALU_DEP_2) | instskip(NEXT) | instid1(VALU_DEP_2)
	v_add_f64_e32 v[5:6], v[5:6], v[23:24]
	v_add_f64_e32 v[7:8], v[7:8], v[25:26]
	ds_store_b128 v15, v[5:8]
.LBB39_14:                              ;   in Loop: Header=BB39_6 Depth=1
	s_wait_alu 0xfffe
	s_or_b32 exec_lo, exec_lo, s5
	;; [unrolled: 26-line block ×4, first 2 shown]
	s_wait_loadcnt_dscnt 0x0
	s_barrier_signal -1
	s_barrier_wait -1
	global_inv scope:SCOPE_SE
	s_and_saveexec_b32 s5, s4
	s_cbranch_execz .LBB39_5
; %bb.19:                               ;   in Loop: Header=BB39_6 Depth=1
	ds_load_b128 v[5:8], v18
	v_mov_b32_e32 v13, 0
	v_bfrev_b32_e32 v14, 1
	s_mov_b32 s26, exec_lo
	s_wait_dscnt 0x0
	v_mul_f64_e64 v[9:10], v[7:8], -v[3:4]
	s_delay_alu instid0(VALU_DEP_1)
	v_fma_f64 v[9:10], v[1:2], v[5:6], v[9:10]
.LBB39_20:                              ;   Parent Loop BB39_6 Depth=1
                                        ; =>  This Inner Loop Header: Depth=2
	s_wait_alu 0xfffe
	s_ctz_i32_b32 s27, s26
	s_wait_alu 0xfffe
	s_delay_alu instid0(VALU_DEP_1) | instskip(NEXT) | instid1(VALU_DEP_2)
	v_readlane_b32 s29, v10, s27
	v_readlane_b32 s28, v9, s27
	s_lshl_b32 s27, 1, s27
	s_wait_alu 0xfffe
	s_and_not1_b32 s26, s26, s27
	v_add_f64_e32 v[13:14], s[28:29], v[13:14]
	s_wait_alu 0xfffe
	s_cmp_lg_u32 s26, 0
	s_cbranch_scc1 .LBB39_20
; %bb.21:                               ;   in Loop: Header=BB39_6 Depth=1
	v_mbcnt_lo_u32_b32 v0, exec_lo, 0
	s_lshl_b64 s[26:27], s[24:25], 4
	s_mov_b32 s28, exec_lo
	s_wait_alu 0xfffe
	s_add_nc_u64 s[26:27], s[20:21], s[26:27]
	v_cmpx_eq_u32_e32 0, v0
	s_xor_b32 s28, exec_lo, s28
	s_cbranch_execz .LBB39_25
; %bb.22:                               ;   in Loop: Header=BB39_6 Depth=1
	global_load_b64 v[11:12], v18, s[26:27]
	s_mov_b32 s29, 0
.LBB39_23:                              ;   Parent Loop BB39_6 Depth=1
                                        ; =>  This Inner Loop Header: Depth=2
	s_wait_loadcnt 0x0
	v_add_f64_e32 v[9:10], v[11:12], v[13:14]
	global_atomic_cmpswap_b64 v[9:10], v18, v[9:12], s[26:27] th:TH_ATOMIC_RETURN scope:SCOPE_DEV
	s_wait_loadcnt 0x0
	v_cmp_eq_u64_e32 vcc_lo, v[9:10], v[11:12]
	v_dual_mov_b32 v12, v10 :: v_dual_mov_b32 v11, v9
	s_wait_alu 0xfffe
	s_or_b32 s29, vcc_lo, s29
	s_wait_alu 0xfffe
	s_and_not1_b32 exec_lo, exec_lo, s29
	s_cbranch_execnz .LBB39_23
; %bb.24:                               ;   in Loop: Header=BB39_6 Depth=1
	s_or_b32 exec_lo, exec_lo, s29
.LBB39_25:                              ;   in Loop: Header=BB39_6 Depth=1
	s_wait_alu 0xfffe
	s_or_b32 exec_lo, exec_lo, s28
	v_mul_f64_e32 v[7:8], v[1:2], v[7:8]
	v_mov_b32_e32 v9, 0
	v_bfrev_b32_e32 v10, 1
	s_mov_b32 s28, exec_lo
	s_delay_alu instid0(VALU_DEP_3)
	v_fma_f64 v[5:6], v[3:4], v[5:6], v[7:8]
.LBB39_26:                              ;   Parent Loop BB39_6 Depth=1
                                        ; =>  This Inner Loop Header: Depth=2
	s_wait_alu 0xfffe
	s_ctz_i32_b32 s29, s28
	s_wait_alu 0xfffe
	s_delay_alu instid0(VALU_DEP_1) | instskip(NEXT) | instid1(VALU_DEP_2)
	v_readlane_b32 s31, v6, s29
	v_readlane_b32 s30, v5, s29
	s_lshl_b32 s29, 1, s29
	s_wait_alu 0xfffe
	s_and_not1_b32 s28, s28, s29
	v_add_f64_e32 v[9:10], s[30:31], v[9:10]
	s_wait_alu 0xfffe
	s_cmp_lg_u32 s28, 0
	s_cbranch_scc1 .LBB39_26
; %bb.27:                               ;   in Loop: Header=BB39_6 Depth=1
	v_mbcnt_lo_u32_b32 v0, exec_lo, 0
	s_mov_b32 s28, exec_lo
	s_delay_alu instid0(VALU_DEP_1)
	v_cmpx_eq_u32_e32 0, v0
	s_wait_alu 0xfffe
	s_xor_b32 s28, exec_lo, s28
	s_cbranch_execz .LBB39_5
; %bb.28:                               ;   in Loop: Header=BB39_6 Depth=1
	global_load_b64 v[7:8], v18, s[26:27] offset:8
	s_mov_b32 s28, 0
.LBB39_29:                              ;   Parent Loop BB39_6 Depth=1
                                        ; =>  This Inner Loop Header: Depth=2
	s_wait_loadcnt 0x0
	v_add_f64_e32 v[5:6], v[7:8], v[9:10]
	global_atomic_cmpswap_b64 v[5:6], v18, v[5:8], s[26:27] offset:8 th:TH_ATOMIC_RETURN scope:SCOPE_DEV
	s_wait_loadcnt 0x0
	v_cmp_eq_u64_e32 vcc_lo, v[5:6], v[7:8]
	v_dual_mov_b32 v8, v6 :: v_dual_mov_b32 v7, v5
	s_wait_alu 0xfffe
	s_or_b32 s28, vcc_lo, s28
	s_wait_alu 0xfffe
	s_and_not1_b32 exec_lo, exec_lo, s28
	s_cbranch_execnz .LBB39_29
; %bb.30:                               ;   in Loop: Header=BB39_6 Depth=1
	s_or_b32 exec_lo, exec_lo, s28
	s_branch .LBB39_5
.LBB39_31:
	s_lshl_b64 s[0:1], s[16:17], 3
	s_lshl_b64 s[4:5], s[18:19], 3
	s_wait_alu 0xfffe
	s_add_nc_u64 s[0:1], s[8:9], s[0:1]
	s_add_nc_u64 s[4:5], s[8:9], s[4:5]
	s_clause 0x1
	s_load_b64 s[0:1], s[0:1], 0x0
	s_load_b64 s[4:5], s[4:5], 0x0
	s_wait_kmcnt 0x0
	v_add_co_u32 v13, vcc_lo, s0, v16
	s_wait_alu 0xfffd
	v_add_co_ci_u32_e64 v14, null, s1, v17, vcc_lo
	s_sub_nc_u64 s[4:5], s[4:5], s[6:7]
	s_wait_alu 0xfffe
	v_cmp_gt_i64_e32 vcc_lo, s[4:5], v[13:14]
	s_and_b32 exec_lo, exec_lo, vcc_lo
	s_cbranch_execz .LBB39_43
; %bb.32:
	s_add_nc_u64 s[22:23], s[18:19], -1
	s_add_nc_u64 s[0:1], s[18:19], -2
	s_wait_alu 0xfffe
	v_cmp_lt_i64_e64 s3, s[16:17], s[22:23]
	s_cmp_lg_u64 s[16:17], s[0:1]
	s_cselect_b32 s0, -1, 0
	s_wait_alu 0xfffe
	s_and_b32 s1, s3, s0
	s_mov_b32 s3, 0
	s_branch .LBB39_34
.LBB39_33:                              ;   in Loop: Header=BB39_34 Depth=1
	s_wait_alu 0xfffe
	s_or_b32 exec_lo, exec_lo, s0
	v_add_co_u32 v13, vcc_lo, 0x100, v13
	s_wait_alu 0xfffd
	v_add_co_ci_u32_e64 v14, null, 0, v14, vcc_lo
	s_delay_alu instid0(VALU_DEP_1)
	v_cmp_le_i64_e32 vcc_lo, s[4:5], v[13:14]
	s_or_b32 s3, vcc_lo, s3
	s_wait_alu 0xfffe
	s_and_not1_b32 exec_lo, exec_lo, s3
	s_cbranch_execz .LBB39_43
.LBB39_34:                              ; =>This Loop Header: Depth=1
                                        ;     Child Loop BB39_36 Depth 2
                                        ;     Child Loop BB39_40 Depth 2
	;; [unrolled: 1-line block ×3, first 2 shown]
	v_dual_mov_b32 v5, s16 :: v_dual_mov_b32 v6, s17
	v_dual_mov_b32 v7, s22 :: v_dual_mov_b32 v8, s23
	s_wait_alu 0xfffe
	s_and_not1_b32 vcc_lo, exec_lo, s1
	s_wait_alu 0xfffe
	s_cbranch_vccnz .LBB39_38
; %bb.35:                               ;   in Loop: Header=BB39_34 Depth=1
	v_dual_mov_b32 v5, s16 :: v_dual_mov_b32 v6, s17
	v_dual_mov_b32 v7, s22 :: v_dual_mov_b32 v8, s23
	s_mov_b32 s7, 0
.LBB39_36:                              ;   Parent Loop BB39_34 Depth=1
                                        ; =>  This Inner Loop Header: Depth=2
	s_delay_alu instid0(VALU_DEP_1) | instskip(SKIP_1) | instid1(VALU_DEP_2)
	v_add_co_u32 v0, vcc_lo, v7, v5
	s_wait_alu 0xfffd
	v_add_co_ci_u32_e64 v10, null, v8, v6, vcc_lo
	s_delay_alu instid0(VALU_DEP_1) | instskip(NEXT) | instid1(VALU_DEP_1)
	v_lshrrev_b32_e32 v9, 31, v10
	v_add_co_u32 v9, vcc_lo, v0, v9
	s_wait_alu 0xfffd
	v_add_co_ci_u32_e64 v10, null, 0, v10, vcc_lo
	s_delay_alu instid0(VALU_DEP_1) | instskip(NEXT) | instid1(VALU_DEP_1)
	v_ashrrev_i64 v[9:10], 1, v[9:10]
	v_lshlrev_b64_e32 v[11:12], 3, v[9:10]
	s_delay_alu instid0(VALU_DEP_1) | instskip(SKIP_1) | instid1(VALU_DEP_2)
	v_add_co_u32 v11, vcc_lo, s8, v11
	s_wait_alu 0xfffd
	v_add_co_ci_u32_e64 v12, null, s9, v12, vcc_lo
	global_load_b64 v[11:12], v[11:12], off
	s_wait_loadcnt 0x0
	v_sub_co_u32 v11, vcc_lo, v11, s6
	s_wait_alu 0xfffd
	v_subrev_co_ci_u32_e64 v12, null, 0, v12, vcc_lo
	s_delay_alu instid0(VALU_DEP_1) | instskip(SKIP_3) | instid1(VALU_DEP_2)
	v_cmp_lt_i64_e32 vcc_lo, v[13:14], v[11:12]
	s_wait_alu 0xfffd
	v_dual_cndmask_b32 v8, v8, v10 :: v_dual_cndmask_b32 v7, v7, v9
	v_dual_cndmask_b32 v6, v10, v6 :: v_dual_cndmask_b32 v5, v9, v5
	v_add_co_u32 v9, vcc_lo, v7, -1
	s_wait_alu 0xfffd
	s_delay_alu instid0(VALU_DEP_3) | instskip(NEXT) | instid1(VALU_DEP_3)
	v_add_co_ci_u32_e64 v10, null, -1, v8, vcc_lo
	v_cmp_ge_i64_e32 vcc_lo, v[5:6], v[7:8]
	s_delay_alu instid0(VALU_DEP_2)
	v_cmp_eq_u64_e64 s0, v[5:6], v[9:10]
	s_or_b32 s0, vcc_lo, s0
	s_wait_alu 0xfffe
	s_and_b32 s0, exec_lo, s0
	s_wait_alu 0xfffe
	s_or_b32 s7, s0, s7
	s_wait_alu 0xfffe
	s_and_not1_b32 exec_lo, exec_lo, s7
	s_cbranch_execnz .LBB39_36
; %bb.37:                               ;   in Loop: Header=BB39_34 Depth=1
	s_or_b32 exec_lo, exec_lo, s7
.LBB39_38:                              ;   in Loop: Header=BB39_34 Depth=1
	v_lshlrev_b64_e32 v[9:10], 3, v[7:8]
	v_lshlrev_b64_e32 v[11:12], 2, v[13:14]
	s_mov_b32 s0, exec_lo
	s_delay_alu instid0(VALU_DEP_2) | instskip(SKIP_1) | instid1(VALU_DEP_3)
	v_add_co_u32 v9, vcc_lo, s8, v9
	s_wait_alu 0xfffd
	v_add_co_ci_u32_e64 v10, null, s9, v10, vcc_lo
	s_delay_alu instid0(VALU_DEP_3)
	v_add_co_u32 v11, vcc_lo, s10, v11
	s_wait_alu 0xfffd
	v_add_co_ci_u32_e64 v12, null, s11, v12, vcc_lo
	global_load_b64 v[9:10], v[9:10], off
	global_load_b32 v0, v[11:12], off
	s_wait_loadcnt 0x1
	v_sub_co_u32 v9, vcc_lo, v9, s6
	s_wait_alu 0xfffd
	v_subrev_co_ci_u32_e64 v10, null, 0, v10, vcc_lo
	s_delay_alu instid0(VALU_DEP_1) | instskip(SKIP_2) | instid1(VALU_DEP_1)
	v_cmp_lt_i64_e32 vcc_lo, v[13:14], v[9:10]
	s_wait_loadcnt 0x0
	v_subrev_nc_u32_e32 v9, s6, v0
	v_ashrrev_i32_e32 v10, 31, v9
	s_wait_alu 0xfffd
	v_dual_cndmask_b32 v6, v8, v6 :: v_dual_cndmask_b32 v5, v7, v5
	s_delay_alu instid0(VALU_DEP_1)
	v_cmpx_ne_u64_e64 v[5:6], v[9:10]
	s_cbranch_execz .LBB39_33
; %bb.39:                               ;   in Loop: Header=BB39_34 Depth=1
	v_lshlrev_b64_e32 v[7:8], 4, v[13:14]
	v_lshlrev_b64_e32 v[5:6], 4, v[5:6]
	;; [unrolled: 1-line block ×3, first 2 shown]
	s_mov_b32 s7, 0
	s_delay_alu instid0(VALU_DEP_3)
	v_add_co_u32 v7, vcc_lo, s12, v7
	s_wait_alu 0xfffd
	v_add_co_ci_u32_e64 v8, null, s13, v8, vcc_lo
	v_add_co_u32 v5, vcc_lo, s14, v5
	s_wait_alu 0xfffd
	v_add_co_ci_u32_e64 v6, null, s15, v6, vcc_lo
	global_load_b128 v[19:22], v[7:8], off
	v_add_co_u32 v15, vcc_lo, s20, v9
	global_load_b128 v[5:8], v[5:6], off
	s_wait_alu 0xfffd
	v_add_co_ci_u32_e64 v16, null, s21, v10, vcc_lo
	global_load_b64 v[11:12], v[15:16], off
	s_wait_loadcnt 0x2
	v_xor_b32_e32 v0, 0x80000000, v22
	s_delay_alu instid0(VALU_DEP_1) | instskip(NEXT) | instid1(VALU_DEP_1)
	v_cndmask_b32_e64 v22, v22, v0, s2
	v_mul_f64_e32 v[9:10], v[1:2], v[21:22]
	v_mul_f64_e64 v[21:22], v[21:22], -v[3:4]
	s_delay_alu instid0(VALU_DEP_2) | instskip(NEXT) | instid1(VALU_DEP_2)
	v_fma_f64 v[17:18], v[3:4], v[19:20], v[9:10]
	v_fma_f64 v[19:20], v[1:2], v[19:20], v[21:22]
	s_wait_loadcnt 0x1
	s_delay_alu instid0(VALU_DEP_2) | instskip(NEXT) | instid1(VALU_DEP_1)
	v_mul_f64_e64 v[9:10], v[7:8], -v[17:18]
	v_fma_f64 v[21:22], v[19:20], v[5:6], v[9:10]
.LBB39_40:                              ;   Parent Loop BB39_34 Depth=1
                                        ; =>  This Inner Loop Header: Depth=2
	s_wait_loadcnt 0x0
	s_delay_alu instid0(VALU_DEP_1)
	v_add_f64_e32 v[9:10], v[11:12], v[21:22]
	global_atomic_cmpswap_b64 v[9:10], v[15:16], v[9:12], off th:TH_ATOMIC_RETURN scope:SCOPE_DEV
	s_wait_loadcnt 0x0
	v_cmp_eq_u64_e32 vcc_lo, v[9:10], v[11:12]
	v_dual_mov_b32 v12, v10 :: v_dual_mov_b32 v11, v9
	s_wait_alu 0xfffe
	s_or_b32 s7, vcc_lo, s7
	s_wait_alu 0xfffe
	s_and_not1_b32 exec_lo, exec_lo, s7
	s_cbranch_execnz .LBB39_40
; %bb.41:                               ;   in Loop: Header=BB39_34 Depth=1
	s_or_b32 exec_lo, exec_lo, s7
	global_load_b64 v[9:10], v[15:16], off offset:8
	v_mul_f64_e32 v[7:8], v[7:8], v[19:20]
	s_mov_b32 s7, 0
	s_delay_alu instid0(VALU_DEP_1)
	v_fma_f64 v[5:6], v[17:18], v[5:6], v[7:8]
.LBB39_42:                              ;   Parent Loop BB39_34 Depth=1
                                        ; =>  This Inner Loop Header: Depth=2
	s_wait_loadcnt 0x0
	s_delay_alu instid0(VALU_DEP_1)
	v_add_f64_e32 v[7:8], v[9:10], v[5:6]
	global_atomic_cmpswap_b64 v[7:8], v[15:16], v[7:10], off offset:8 th:TH_ATOMIC_RETURN scope:SCOPE_DEV
	s_wait_loadcnt 0x0
	v_cmp_eq_u64_e32 vcc_lo, v[7:8], v[9:10]
	v_dual_mov_b32 v10, v8 :: v_dual_mov_b32 v9, v7
	s_wait_alu 0xfffe
	s_or_b32 s7, vcc_lo, s7
	s_wait_alu 0xfffe
	s_and_not1_b32 exec_lo, exec_lo, s7
	s_cbranch_execnz .LBB39_42
	s_branch .LBB39_33
.LBB39_43:
	s_endpgm
	.section	.rodata,"a",@progbits
	.p2align	6, 0x0
	.amdhsa_kernel _ZL33csrmvn_symm_large_adaptive_kernelIli21rocsparse_complex_numIdES1_S1_S1_EvbT_PKS2_N9rocsparse24const_host_device_scalarIT4_EES4_PKT0_PKT1_PKT2_S8_PT3_21rocsparse_index_base_b
		.amdhsa_group_segment_fixed_size 16384
		.amdhsa_private_segment_fixed_size 0
		.amdhsa_kernarg_size 104
		.amdhsa_user_sgpr_count 2
		.amdhsa_user_sgpr_dispatch_ptr 0
		.amdhsa_user_sgpr_queue_ptr 0
		.amdhsa_user_sgpr_kernarg_segment_ptr 1
		.amdhsa_user_sgpr_dispatch_id 0
		.amdhsa_user_sgpr_private_segment_size 0
		.amdhsa_wavefront_size32 1
		.amdhsa_uses_dynamic_stack 0
		.amdhsa_enable_private_segment 0
		.amdhsa_system_sgpr_workgroup_id_x 1
		.amdhsa_system_sgpr_workgroup_id_y 0
		.amdhsa_system_sgpr_workgroup_id_z 0
		.amdhsa_system_sgpr_workgroup_info 0
		.amdhsa_system_vgpr_workitem_id 0
		.amdhsa_next_free_vgpr 27
		.amdhsa_next_free_sgpr 32
		.amdhsa_reserve_vcc 1
		.amdhsa_float_round_mode_32 0
		.amdhsa_float_round_mode_16_64 0
		.amdhsa_float_denorm_mode_32 3
		.amdhsa_float_denorm_mode_16_64 3
		.amdhsa_fp16_overflow 0
		.amdhsa_workgroup_processor_mode 1
		.amdhsa_memory_ordered 1
		.amdhsa_forward_progress 1
		.amdhsa_inst_pref_size 24
		.amdhsa_round_robin_scheduling 0
		.amdhsa_exception_fp_ieee_invalid_op 0
		.amdhsa_exception_fp_denorm_src 0
		.amdhsa_exception_fp_ieee_div_zero 0
		.amdhsa_exception_fp_ieee_overflow 0
		.amdhsa_exception_fp_ieee_underflow 0
		.amdhsa_exception_fp_ieee_inexact 0
		.amdhsa_exception_int_div_zero 0
	.end_amdhsa_kernel
	.section	.text._ZL33csrmvn_symm_large_adaptive_kernelIli21rocsparse_complex_numIdES1_S1_S1_EvbT_PKS2_N9rocsparse24const_host_device_scalarIT4_EES4_PKT0_PKT1_PKT2_S8_PT3_21rocsparse_index_base_b,"axG",@progbits,_ZL33csrmvn_symm_large_adaptive_kernelIli21rocsparse_complex_numIdES1_S1_S1_EvbT_PKS2_N9rocsparse24const_host_device_scalarIT4_EES4_PKT0_PKT1_PKT2_S8_PT3_21rocsparse_index_base_b,comdat
.Lfunc_end39:
	.size	_ZL33csrmvn_symm_large_adaptive_kernelIli21rocsparse_complex_numIdES1_S1_S1_EvbT_PKS2_N9rocsparse24const_host_device_scalarIT4_EES4_PKT0_PKT1_PKT2_S8_PT3_21rocsparse_index_base_b, .Lfunc_end39-_ZL33csrmvn_symm_large_adaptive_kernelIli21rocsparse_complex_numIdES1_S1_S1_EvbT_PKS2_N9rocsparse24const_host_device_scalarIT4_EES4_PKT0_PKT1_PKT2_S8_PT3_21rocsparse_index_base_b
                                        ; -- End function
	.set _ZL33csrmvn_symm_large_adaptive_kernelIli21rocsparse_complex_numIdES1_S1_S1_EvbT_PKS2_N9rocsparse24const_host_device_scalarIT4_EES4_PKT0_PKT1_PKT2_S8_PT3_21rocsparse_index_base_b.num_vgpr, 27
	.set _ZL33csrmvn_symm_large_adaptive_kernelIli21rocsparse_complex_numIdES1_S1_S1_EvbT_PKS2_N9rocsparse24const_host_device_scalarIT4_EES4_PKT0_PKT1_PKT2_S8_PT3_21rocsparse_index_base_b.num_agpr, 0
	.set _ZL33csrmvn_symm_large_adaptive_kernelIli21rocsparse_complex_numIdES1_S1_S1_EvbT_PKS2_N9rocsparse24const_host_device_scalarIT4_EES4_PKT0_PKT1_PKT2_S8_PT3_21rocsparse_index_base_b.numbered_sgpr, 32
	.set _ZL33csrmvn_symm_large_adaptive_kernelIli21rocsparse_complex_numIdES1_S1_S1_EvbT_PKS2_N9rocsparse24const_host_device_scalarIT4_EES4_PKT0_PKT1_PKT2_S8_PT3_21rocsparse_index_base_b.num_named_barrier, 0
	.set _ZL33csrmvn_symm_large_adaptive_kernelIli21rocsparse_complex_numIdES1_S1_S1_EvbT_PKS2_N9rocsparse24const_host_device_scalarIT4_EES4_PKT0_PKT1_PKT2_S8_PT3_21rocsparse_index_base_b.private_seg_size, 0
	.set _ZL33csrmvn_symm_large_adaptive_kernelIli21rocsparse_complex_numIdES1_S1_S1_EvbT_PKS2_N9rocsparse24const_host_device_scalarIT4_EES4_PKT0_PKT1_PKT2_S8_PT3_21rocsparse_index_base_b.uses_vcc, 1
	.set _ZL33csrmvn_symm_large_adaptive_kernelIli21rocsparse_complex_numIdES1_S1_S1_EvbT_PKS2_N9rocsparse24const_host_device_scalarIT4_EES4_PKT0_PKT1_PKT2_S8_PT3_21rocsparse_index_base_b.uses_flat_scratch, 0
	.set _ZL33csrmvn_symm_large_adaptive_kernelIli21rocsparse_complex_numIdES1_S1_S1_EvbT_PKS2_N9rocsparse24const_host_device_scalarIT4_EES4_PKT0_PKT1_PKT2_S8_PT3_21rocsparse_index_base_b.has_dyn_sized_stack, 0
	.set _ZL33csrmvn_symm_large_adaptive_kernelIli21rocsparse_complex_numIdES1_S1_S1_EvbT_PKS2_N9rocsparse24const_host_device_scalarIT4_EES4_PKT0_PKT1_PKT2_S8_PT3_21rocsparse_index_base_b.has_recursion, 0
	.set _ZL33csrmvn_symm_large_adaptive_kernelIli21rocsparse_complex_numIdES1_S1_S1_EvbT_PKS2_N9rocsparse24const_host_device_scalarIT4_EES4_PKT0_PKT1_PKT2_S8_PT3_21rocsparse_index_base_b.has_indirect_call, 0
	.section	.AMDGPU.csdata,"",@progbits
; Kernel info:
; codeLenInByte = 2976
; TotalNumSgprs: 34
; NumVgprs: 27
; ScratchSize: 0
; MemoryBound: 0
; FloatMode: 240
; IeeeMode: 1
; LDSByteSize: 16384 bytes/workgroup (compile time only)
; SGPRBlocks: 0
; VGPRBlocks: 3
; NumSGPRsForWavesPerEU: 34
; NumVGPRsForWavesPerEU: 27
; Occupancy: 16
; WaveLimiterHint : 1
; COMPUTE_PGM_RSRC2:SCRATCH_EN: 0
; COMPUTE_PGM_RSRC2:USER_SGPR: 2
; COMPUTE_PGM_RSRC2:TRAP_HANDLER: 0
; COMPUTE_PGM_RSRC2:TGID_X_EN: 1
; COMPUTE_PGM_RSRC2:TGID_Y_EN: 0
; COMPUTE_PGM_RSRC2:TGID_Z_EN: 0
; COMPUTE_PGM_RSRC2:TIDIG_COMP_CNT: 0
	.section	.text._ZN9rocsparseL22csrmvn_adaptive_kernelIll21rocsparse_complex_numIdES2_S2_S2_EEvbT_PKS3_PjPKT0_NS_24const_host_device_scalarIT4_EES5_S9_PKT1_PKT2_SC_PT3_21rocsparse_index_base_b,"axG",@progbits,_ZN9rocsparseL22csrmvn_adaptive_kernelIll21rocsparse_complex_numIdES2_S2_S2_EEvbT_PKS3_PjPKT0_NS_24const_host_device_scalarIT4_EES5_S9_PKT1_PKT2_SC_PT3_21rocsparse_index_base_b,comdat
	.globl	_ZN9rocsparseL22csrmvn_adaptive_kernelIll21rocsparse_complex_numIdES2_S2_S2_EEvbT_PKS3_PjPKT0_NS_24const_host_device_scalarIT4_EES5_S9_PKT1_PKT2_SC_PT3_21rocsparse_index_base_b ; -- Begin function _ZN9rocsparseL22csrmvn_adaptive_kernelIll21rocsparse_complex_numIdES2_S2_S2_EEvbT_PKS3_PjPKT0_NS_24const_host_device_scalarIT4_EES5_S9_PKT1_PKT2_SC_PT3_21rocsparse_index_base_b
	.p2align	8
	.type	_ZN9rocsparseL22csrmvn_adaptive_kernelIll21rocsparse_complex_numIdES2_S2_S2_EEvbT_PKS3_PjPKT0_NS_24const_host_device_scalarIT4_EES5_S9_PKT1_PKT2_SC_PT3_21rocsparse_index_base_b,@function
_ZN9rocsparseL22csrmvn_adaptive_kernelIll21rocsparse_complex_numIdES2_S2_S2_EEvbT_PKS3_PjPKT0_NS_24const_host_device_scalarIT4_EES5_S9_PKT1_PKT2_SC_PT3_21rocsparse_index_base_b: ; @_ZN9rocsparseL22csrmvn_adaptive_kernelIll21rocsparse_complex_numIdES2_S2_S2_EEvbT_PKS3_PjPKT0_NS_24const_host_device_scalarIT4_EES5_S9_PKT1_PKT2_SC_PT3_21rocsparse_index_base_b
; %bb.0:
	s_clause 0x1
	s_load_b64 s[34:35], s[0:1], 0x70
	s_load_b64 s[2:3], s[0:1], 0x28
	s_add_nc_u64 s[4:5], s[0:1], 40
	s_load_b64 s[6:7], s[0:1], 0x58
	s_wait_kmcnt 0x0
	s_bitcmp1_b32 s35, 0
	s_cselect_b32 s2, s4, s2
	s_cselect_b32 s3, s5, s3
	s_delay_alu instid0(SALU_CYCLE_1)
	v_dual_mov_b32 v1, s2 :: v_dual_mov_b32 v2, s3
	s_add_nc_u64 s[2:3], s[0:1], 0x58
	s_wait_alu 0xfffe
	s_cselect_b32 s2, s2, s6
	s_cselect_b32 s3, s3, s7
	flat_load_b128 v[5:8], v[1:2]
	s_wait_alu 0xfffe
	v_dual_mov_b32 v1, s2 :: v_dual_mov_b32 v2, s3
	flat_load_b128 v[1:4], v[1:2]
	s_wait_loadcnt_dscnt 0x101
	v_cmp_eq_f64_e32 vcc_lo, 0, v[5:6]
	v_cmp_eq_f64_e64 s2, 0, v[7:8]
	s_and_b32 s4, vcc_lo, s2
	s_mov_b32 s2, -1
	s_and_saveexec_b32 s3, s4
	s_cbranch_execz .LBB40_2
; %bb.1:
	s_wait_loadcnt_dscnt 0x0
	v_cmp_neq_f64_e32 vcc_lo, 1.0, v[1:2]
	v_cmp_neq_f64_e64 s2, 0, v[3:4]
	s_wait_alu 0xfffe
	s_or_b32 s2, vcc_lo, s2
	s_wait_alu 0xfffe
	s_or_not1_b32 s2, s2, exec_lo
.LBB40_2:
	s_wait_alu 0xfffe
	s_or_b32 exec_lo, exec_lo, s3
	s_and_saveexec_b32 s3, s2
	s_cbranch_execz .LBB40_116
; %bb.3:
	s_clause 0x2
	s_load_b64 s[4:5], s[0:1], 0x20
	s_load_b32 s2, s[0:1], 0x0
	s_load_b64 s[6:7], s[0:1], 0x10
	s_mov_b32 s36, ttmp9
	s_wait_kmcnt 0x0
	s_bitcmp1_b32 s2, 0
	s_cselect_b32 s2, -1, 0
	s_ashr_i32 s37, ttmp9, 31
	s_delay_alu instid0(SALU_CYCLE_1) | instskip(NEXT) | instid1(SALU_CYCLE_1)
	s_lshl_b64 s[8:9], s[36:37], 3
	s_add_nc_u64 s[6:7], s[6:7], s[8:9]
	s_load_b128 s[20:23], s[6:7], 0x0
	s_clause 0x1
	s_load_b256 s[12:19], s[0:1], 0x38
	s_load_b64 s[24:25], s[0:1], 0x68
	s_add_nc_u64 s[4:5], s[4:5], s[8:9]
	s_wait_kmcnt 0x0
	s_lshl_b64 s[6:7], s[20:21], 3
	s_delay_alu instid0(SALU_CYCLE_1) | instskip(SKIP_3) | instid1(SALU_CYCLE_1)
	s_add_nc_u64 s[30:31], s[12:13], s[6:7]
	s_load_b64 s[26:27], s[4:5], 0x0
	s_load_b64 s[28:29], s[30:31], 0x0
	s_sub_nc_u64 s[4:5], s[22:23], s[20:21]
	v_cmp_lt_i64_e64 s3, s[4:5], 2
	s_and_b32 vcc_lo, exec_lo, s3
	s_mov_b32 s3, -1
	s_cbranch_vccz .LBB40_72
; %bb.4:
	s_cmp_lg_u64 s[4:5], 1
	v_cmp_gt_u32_e64 s3, 0x80, v0
	s_cselect_b32 s5, -1, 0
	s_wait_kmcnt 0x0
	s_cmp_lg_u64 s[26:27], 0
	v_cmp_gt_u32_e64 s4, 64, v0
	s_cselect_b32 s6, -1, 0
	v_cmp_gt_u32_e64 s7, 8, v0
	s_wait_alu 0xfffe
	s_or_b32 s6, s5, s6
	v_cmp_gt_u32_e64 s5, 32, v0
	s_and_b32 vcc_lo, exec_lo, s6
	v_cmp_gt_u32_e64 s6, 16, v0
	v_cmp_gt_u32_e64 s8, 4, v0
	;; [unrolled: 1-line block ×3, first 2 shown]
	v_cmp_eq_u32_e64 s10, 0, v0
	s_mov_b32 s11, -1
	s_cbranch_vccnz .LBB40_32
; %bb.5:
	s_wait_loadcnt_dscnt 0x0
	v_cmp_neq_f64_e32 vcc_lo, 0, v[1:2]
	v_cmp_neq_f64_e64 s11, 0, v[3:4]
	v_sub_co_u32 v20, s33, v0, s34
	v_dual_mov_b32 v19, 0 :: v_dual_lshlrev_b32 v22, 4, v0
	v_sub_co_ci_u32_e64 v21, null, 0, 0, s33
	s_mov_b32 s35, 0
	s_add_nc_u64 s[38:39], s[16:17], 8
	s_mov_b64 s[40:41], s[20:21]
	s_or_b32 s33, vcc_lo, s11
	s_branch .LBB40_8
.LBB40_6:                               ;   in Loop: Header=BB40_8 Depth=1
	s_wait_alu 0xfffe
	s_or_b32 exec_lo, exec_lo, s42
	s_lshl_b64 s[42:43], s[40:41], 4
	s_wait_alu 0xfffe
	s_add_nc_u64 s[42:43], s[24:25], s[42:43]
	s_wait_dscnt 0x0
	global_store_b128 v19, v[9:12], s[42:43]
.LBB40_7:                               ;   in Loop: Header=BB40_8 Depth=1
	s_wait_alu 0xfffe
	s_or_b32 exec_lo, exec_lo, s11
	s_add_nc_u64 s[40:41], s[40:41], 1
	s_wait_alu 0xfffe
	v_cmp_ge_i64_e64 s11, s[40:41], s[22:23]
	s_and_b32 vcc_lo, exec_lo, s11
	s_wait_alu 0xfffe
	s_cbranch_vccnz .LBB40_31
.LBB40_8:                               ; =>This Loop Header: Depth=1
                                        ;     Child Loop BB40_10 Depth 2
	s_lshl_b64 s[42:43], s[40:41], 3
	v_mov_b32_e32 v11, 0
	s_wait_alu 0xfffe
	s_add_nc_u64 s[42:43], s[12:13], s[42:43]
	v_dual_mov_b32 v12, 0 :: v_dual_mov_b32 v9, 0
	s_load_b128 s[44:47], s[42:43], 0x0
	v_mov_b32_e32 v10, 0
	s_wait_kmcnt 0x0
	v_add_co_u32 v13, vcc_lo, s44, v20
	s_wait_alu 0xfffd
	v_add_co_ci_u32_e64 v14, null, s45, v21, vcc_lo
	s_sub_nc_u64 s[42:43], s[46:47], s[34:35]
	s_mov_b32 s44, exec_lo
	s_wait_alu 0xfffe
	v_cmpx_gt_i64_e64 s[42:43], v[13:14]
	s_cbranch_execz .LBB40_12
; %bb.9:                                ;   in Loop: Header=BB40_8 Depth=1
	v_lshlrev_b64_e32 v[9:10], 4, v[13:14]
	v_lshlrev_b64_e32 v[17:18], 3, v[13:14]
	v_mov_b32_e32 v11, 0
	v_mov_b32_e32 v12, 0
	s_mov_b32 s45, 0
	s_delay_alu instid0(VALU_DEP_4)
	v_add_co_u32 v15, vcc_lo, s38, v9
	s_wait_alu 0xfffd
	v_add_co_ci_u32_e64 v16, null, s39, v10, vcc_lo
	v_add_co_u32 v17, vcc_lo, s14, v17
	s_wait_alu 0xfffd
	v_add_co_ci_u32_e64 v18, null, s15, v18, vcc_lo
	v_dual_mov_b32 v9, v11 :: v_dual_mov_b32 v10, v12
.LBB40_10:                              ;   Parent Loop BB40_8 Depth=1
                                        ; =>  This Inner Loop Header: Depth=2
	global_load_b64 v[27:28], v[17:18], off
	global_load_b128 v[23:26], v[15:16], off offset:-8
	v_add_co_u32 v17, s11, 0x800, v17
	s_wait_alu 0xf1ff
	v_add_co_ci_u32_e64 v18, null, 0, v18, s11
	s_wait_loadcnt 0x1
	v_sub_co_u32 v27, vcc_lo, v27, s34
	s_wait_alu 0xfffd
	v_subrev_co_ci_u32_e64 v28, null, 0, v28, vcc_lo
	s_wait_loadcnt 0x0
	v_xor_b32_e32 v31, 0x80000000, v26
	s_delay_alu instid0(VALU_DEP_2) | instskip(NEXT) | instid1(VALU_DEP_2)
	v_lshlrev_b64_e32 v[27:28], 4, v[27:28]
	v_cndmask_b32_e64 v26, v26, v31, s2
	s_delay_alu instid0(VALU_DEP_2) | instskip(SKIP_1) | instid1(VALU_DEP_3)
	v_add_co_u32 v27, vcc_lo, s18, v27
	s_wait_alu 0xfffd
	v_add_co_ci_u32_e64 v28, null, s19, v28, vcc_lo
	s_delay_alu instid0(VALU_DEP_3)
	v_mul_f64_e64 v[31:32], v[25:26], -v[7:8]
	v_mul_f64_e32 v[25:26], v[5:6], v[25:26]
	v_add_co_u32 v13, vcc_lo, 0x100, v13
	global_load_b128 v[27:30], v[27:28], off
	s_wait_alu 0xfffd
	v_add_co_ci_u32_e64 v14, null, 0, v14, vcc_lo
	v_add_co_u32 v15, vcc_lo, 0x1000, v15
	s_wait_alu 0xfffd
	v_add_co_ci_u32_e64 v16, null, 0, v16, vcc_lo
	s_delay_alu instid0(VALU_DEP_3)
	v_cmp_le_i64_e32 vcc_lo, s[42:43], v[13:14]
	s_wait_alu 0xfffe
	s_or_b32 s45, vcc_lo, s45
	v_fma_f64 v[31:32], v[5:6], v[23:24], v[31:32]
	v_fma_f64 v[23:24], v[7:8], v[23:24], v[25:26]
	s_wait_loadcnt 0x0
	s_delay_alu instid0(VALU_DEP_2) | instskip(NEXT) | instid1(VALU_DEP_2)
	v_fma_f64 v[9:10], v[31:32], v[27:28], v[9:10]
	v_fma_f64 v[11:12], v[23:24], v[27:28], v[11:12]
	s_delay_alu instid0(VALU_DEP_2) | instskip(NEXT) | instid1(VALU_DEP_2)
	v_fma_f64 v[9:10], -v[23:24], v[29:30], v[9:10]
	v_fma_f64 v[11:12], v[31:32], v[29:30], v[11:12]
	s_wait_alu 0xfffe
	s_and_not1_b32 exec_lo, exec_lo, s45
	s_cbranch_execnz .LBB40_10
; %bb.11:                               ;   in Loop: Header=BB40_8 Depth=1
	s_or_b32 exec_lo, exec_lo, s45
.LBB40_12:                              ;   in Loop: Header=BB40_8 Depth=1
	s_wait_alu 0xfffe
	s_or_b32 exec_lo, exec_lo, s44
	ds_store_b128 v22, v[9:12]
	s_wait_dscnt 0x0
	s_barrier_signal -1
	s_barrier_wait -1
	global_inv scope:SCOPE_SE
	s_and_saveexec_b32 s11, s3
	s_cbranch_execz .LBB40_14
; %bb.13:                               ;   in Loop: Header=BB40_8 Depth=1
	ds_load_b128 v[9:12], v22 offset:2048
	ds_load_b128 v[13:16], v22
	s_wait_dscnt 0x0
	v_add_f64_e32 v[9:10], v[9:10], v[13:14]
	v_add_f64_e32 v[11:12], v[11:12], v[15:16]
	ds_store_b128 v22, v[9:12]
.LBB40_14:                              ;   in Loop: Header=BB40_8 Depth=1
	s_wait_alu 0xfffe
	s_or_b32 exec_lo, exec_lo, s11
	s_wait_loadcnt_dscnt 0x0
	s_barrier_signal -1
	s_barrier_wait -1
	global_inv scope:SCOPE_SE
	s_and_saveexec_b32 s11, s4
	s_cbranch_execz .LBB40_16
; %bb.15:                               ;   in Loop: Header=BB40_8 Depth=1
	ds_load_b128 v[9:12], v22 offset:1024
	ds_load_b128 v[13:16], v22
	s_wait_dscnt 0x0
	v_add_f64_e32 v[9:10], v[9:10], v[13:14]
	v_add_f64_e32 v[11:12], v[11:12], v[15:16]
	ds_store_b128 v22, v[9:12]
.LBB40_16:                              ;   in Loop: Header=BB40_8 Depth=1
	s_wait_alu 0xfffe
	s_or_b32 exec_lo, exec_lo, s11
	s_wait_loadcnt_dscnt 0x0
	s_barrier_signal -1
	s_barrier_wait -1
	global_inv scope:SCOPE_SE
	s_and_saveexec_b32 s11, s5
	s_cbranch_execz .LBB40_18
; %bb.17:                               ;   in Loop: Header=BB40_8 Depth=1
	ds_load_b128 v[9:12], v22 offset:512
	ds_load_b128 v[13:16], v22
	s_wait_dscnt 0x0
	v_add_f64_e32 v[9:10], v[9:10], v[13:14]
	v_add_f64_e32 v[11:12], v[11:12], v[15:16]
	ds_store_b128 v22, v[9:12]
.LBB40_18:                              ;   in Loop: Header=BB40_8 Depth=1
	s_wait_alu 0xfffe
	s_or_b32 exec_lo, exec_lo, s11
	s_wait_loadcnt_dscnt 0x0
	s_barrier_signal -1
	s_barrier_wait -1
	global_inv scope:SCOPE_SE
	s_and_saveexec_b32 s11, s6
	s_cbranch_execz .LBB40_20
; %bb.19:                               ;   in Loop: Header=BB40_8 Depth=1
	ds_load_b128 v[9:12], v22 offset:256
	ds_load_b128 v[13:16], v22
	s_wait_dscnt 0x0
	v_add_f64_e32 v[9:10], v[9:10], v[13:14]
	v_add_f64_e32 v[11:12], v[11:12], v[15:16]
	ds_store_b128 v22, v[9:12]
.LBB40_20:                              ;   in Loop: Header=BB40_8 Depth=1
	s_wait_alu 0xfffe
	s_or_b32 exec_lo, exec_lo, s11
	s_wait_loadcnt_dscnt 0x0
	s_barrier_signal -1
	s_barrier_wait -1
	global_inv scope:SCOPE_SE
	s_and_saveexec_b32 s11, s7
	s_cbranch_execz .LBB40_22
; %bb.21:                               ;   in Loop: Header=BB40_8 Depth=1
	ds_load_b128 v[9:12], v22 offset:128
	ds_load_b128 v[13:16], v22
	s_wait_dscnt 0x0
	v_add_f64_e32 v[9:10], v[9:10], v[13:14]
	v_add_f64_e32 v[11:12], v[11:12], v[15:16]
	ds_store_b128 v22, v[9:12]
.LBB40_22:                              ;   in Loop: Header=BB40_8 Depth=1
	s_wait_alu 0xfffe
	s_or_b32 exec_lo, exec_lo, s11
	s_wait_loadcnt_dscnt 0x0
	s_barrier_signal -1
	s_barrier_wait -1
	global_inv scope:SCOPE_SE
	s_and_saveexec_b32 s11, s8
	s_cbranch_execz .LBB40_24
; %bb.23:                               ;   in Loop: Header=BB40_8 Depth=1
	ds_load_b128 v[9:12], v22 offset:64
	ds_load_b128 v[13:16], v22
	s_wait_dscnt 0x0
	v_add_f64_e32 v[9:10], v[9:10], v[13:14]
	v_add_f64_e32 v[11:12], v[11:12], v[15:16]
	ds_store_b128 v22, v[9:12]
.LBB40_24:                              ;   in Loop: Header=BB40_8 Depth=1
	s_wait_alu 0xfffe
	s_or_b32 exec_lo, exec_lo, s11
	s_wait_loadcnt_dscnt 0x0
	s_barrier_signal -1
	s_barrier_wait -1
	global_inv scope:SCOPE_SE
	s_and_saveexec_b32 s11, s9
	s_cbranch_execz .LBB40_26
; %bb.25:                               ;   in Loop: Header=BB40_8 Depth=1
	ds_load_b128 v[9:12], v22
	ds_load_b128 v[13:16], v22 offset:32
	s_wait_dscnt 0x0
	v_add_f64_e32 v[9:10], v[13:14], v[9:10]
	v_add_f64_e32 v[11:12], v[15:16], v[11:12]
	ds_store_b128 v22, v[9:12]
.LBB40_26:                              ;   in Loop: Header=BB40_8 Depth=1
	s_wait_alu 0xfffe
	s_or_b32 exec_lo, exec_lo, s11
	s_wait_loadcnt_dscnt 0x0
	s_barrier_signal -1
	s_barrier_wait -1
	global_inv scope:SCOPE_SE
	s_and_saveexec_b32 s11, s10
	s_cbranch_execz .LBB40_28
; %bb.27:                               ;   in Loop: Header=BB40_8 Depth=1
	ds_load_b128 v[9:12], v19
	ds_load_b128 v[13:16], v19 offset:16
	s_wait_dscnt 0x0
	v_add_f64_e32 v[9:10], v[13:14], v[9:10]
	v_add_f64_e32 v[11:12], v[15:16], v[11:12]
	ds_store_b128 v19, v[9:12]
.LBB40_28:                              ;   in Loop: Header=BB40_8 Depth=1
	s_wait_alu 0xfffe
	s_or_b32 exec_lo, exec_lo, s11
	s_wait_loadcnt_dscnt 0x0
	s_barrier_signal -1
	s_barrier_wait -1
	global_inv scope:SCOPE_SE
	s_and_saveexec_b32 s11, s10
	s_cbranch_execz .LBB40_7
; %bb.29:                               ;   in Loop: Header=BB40_8 Depth=1
	ds_load_b128 v[9:12], v19
	s_and_saveexec_b32 s42, s33
	s_cbranch_execz .LBB40_6
; %bb.30:                               ;   in Loop: Header=BB40_8 Depth=1
	s_lshl_b64 s[44:45], s[40:41], 4
	s_wait_alu 0xfffe
	s_add_nc_u64 s[44:45], s[24:25], s[44:45]
	global_load_b128 v[13:16], v19, s[44:45]
	s_wait_loadcnt_dscnt 0x0
	v_fma_f64 v[9:10], v[1:2], v[13:14], v[9:10]
	v_fma_f64 v[11:12], v[3:4], v[13:14], v[11:12]
	s_delay_alu instid0(VALU_DEP_2) | instskip(NEXT) | instid1(VALU_DEP_2)
	v_fma_f64 v[9:10], -v[3:4], v[15:16], v[9:10]
	v_fma_f64 v[11:12], v[1:2], v[15:16], v[11:12]
	s_branch .LBB40_6
.LBB40_31:
	s_mov_b32 s11, 0
.LBB40_32:
	s_wait_alu 0xfffe
	s_and_b32 vcc_lo, exec_lo, s11
	s_wait_alu 0xfffe
	s_cbranch_vccz .LBB40_71
; %bb.33:
	s_load_b64 s[8:9], s[0:1], 0x18
	v_mov_b32_e32 v13, 0
	s_lshl_b64 s[4:5], s[36:37], 2
	v_mov_b32_e32 v9, 0
	v_mov_b32_e32 v10, 0
	s_cmp_lg_u64 s[26:27], 0
	v_cmp_eq_u32_e32 vcc_lo, 0, v0
	s_cselect_b32 s33, -1, 0
	s_cmp_eq_u64 s[26:27], 0
	v_mov_b32_e32 v11, 0
	v_mov_b32_e32 v12, 0
	s_cselect_b32 s3, -1, 0
	s_sub_nc_u64 s[10:11], s[36:37], s[26:27]
	s_mov_b32 s35, 0
	s_wait_alu 0xfffe
	s_and_b32 s3, vcc_lo, s3
	s_wait_kmcnt 0x0
	s_add_nc_u64 s[6:7], s[8:9], s[4:5]
	global_load_b32 v19, v13, s[6:7]
	s_wait_alu 0xfffe
	s_and_saveexec_b32 s4, s3
	s_cbranch_execz .LBB40_37
; %bb.34:
	s_lshl_b64 s[36:37], s[20:21], 4
	s_wait_loadcnt_dscnt 0x100
	v_add_f64_e32 v[9:10], -1.0, v[1:2]
	s_add_nc_u64 s[36:37], s[24:25], s[36:37]
	s_mov_b32 s5, exec_lo
	global_load_b128 v[11:14], v13, s[36:37]
	s_wait_alu 0xfffe
	v_mbcnt_lo_u32_b32 v17, s5, 0
	s_mov_b32 s36, exec_lo
	s_wait_loadcnt 0x0
	s_wait_storecnt 0x0
	global_inv scope:SCOPE_DEV
	v_mul_f64_e64 v[15:16], v[13:14], -v[3:4]
	v_mul_f64_e32 v[13:14], v[9:10], v[13:14]
	v_cmpx_eq_u32_e32 0, v17
	s_cbranch_execz .LBB40_36
; %bb.35:
	s_bcnt1_i32_b32 s3, s5
	s_lshl_b64 s[38:39], s[10:11], 2
	s_wait_alu 0xfffe
	s_and_b32 s3, s3, 1
	s_wait_alu 0xfffe
	v_dual_mov_b32 v17, 0 :: v_dual_mov_b32 v18, s3
	s_add_nc_u64 s[38:39], s[8:9], s[38:39]
	global_atomic_xor_b32 v17, v18, s[38:39] scope:SCOPE_DEV
.LBB40_36:
	s_or_b32 exec_lo, exec_lo, s36
	s_delay_alu instid0(VALU_DEP_3) | instskip(NEXT) | instid1(VALU_DEP_3)
	v_fma_f64 v[9:10], v[9:10], v[11:12], v[15:16]
	v_fma_f64 v[11:12], v[3:4], v[11:12], v[13:14]
.LBB40_37:
	s_wait_alu 0xfffe
	s_or_b32 exec_lo, exec_lo, s4
	s_load_b64 s[4:5], s[30:31], 0x8
	s_mul_u64 s[36:37], s[26:27], 0xc00
	s_sub_nc_u64 s[38:39], s[28:29], s[34:35]
	s_wait_alu 0xfffe
	s_add_nc_u64 s[36:37], s[38:39], s[36:37]
	s_delay_alu instid0(SALU_CYCLE_1)
	v_add_co_u32 v13, s3, s36, v0
	s_wait_alu 0xf1ff
	v_add_co_ci_u32_e64 v14, null, s37, 0, s3
	s_wait_kmcnt 0x0
	s_sub_nc_u64 s[4:5], s[4:5], s[34:35]
	s_mov_b32 s35, exec_lo
	s_wait_alu 0xfffe
	v_cmpx_gt_i64_e64 s[4:5], v[13:14]
	s_cbranch_execz .LBB40_41
; %bb.38:
	v_lshlrev_b64_e32 v[15:16], 4, v[13:14]
	s_add_nc_u64 s[36:37], s[36:37], 0xc00
	v_lshlrev_b64_e32 v[17:18], 3, v[13:14]
	s_wait_alu 0xfffe
	v_cmp_lt_i64_e64 s38, s[36:37], s[4:5]
	s_delay_alu instid0(VALU_DEP_3)
	v_add_co_u32 v15, s3, s16, v15
	s_wait_alu 0xf1ff
	v_add_co_ci_u32_e64 v16, null, s17, v16, s3
	s_and_b32 s3, s38, exec_lo
	v_add_co_u32 v15, s3, v15, 8
	s_wait_alu 0xf1fe
	v_add_co_ci_u32_e64 v16, null, 0, v16, s3
	v_add_co_u32 v17, s3, s14, v17
	s_wait_alu 0xf1ff
	v_add_co_ci_u32_e64 v18, null, s15, v18, s3
	s_cselect_b32 s37, s37, s5
	s_cselect_b32 s36, s36, s4
	s_mov_b32 s5, 0
.LBB40_39:                              ; =>This Inner Loop Header: Depth=1
	global_load_b64 v[24:25], v[17:18], off
	global_load_b128 v[20:23], v[15:16], off offset:-8
	v_add_co_u32 v17, s4, 0x800, v17
	s_wait_alu 0xf1ff
	v_add_co_ci_u32_e64 v18, null, 0, v18, s4
	s_wait_loadcnt 0x1
	v_sub_co_u32 v24, s3, v24, s34
	s_wait_alu 0xf1ff
	v_subrev_co_ci_u32_e64 v25, null, 0, v25, s3
	s_wait_loadcnt 0x0
	v_xor_b32_e32 v28, 0x80000000, v23
	s_delay_alu instid0(VALU_DEP_2) | instskip(NEXT) | instid1(VALU_DEP_2)
	v_lshlrev_b64_e32 v[24:25], 4, v[24:25]
	v_cndmask_b32_e64 v23, v23, v28, s2
	s_delay_alu instid0(VALU_DEP_2) | instskip(SKIP_1) | instid1(VALU_DEP_3)
	v_add_co_u32 v24, s3, s18, v24
	s_wait_alu 0xf1ff
	v_add_co_ci_u32_e64 v25, null, s19, v25, s3
	s_delay_alu instid0(VALU_DEP_3)
	v_mul_f64_e64 v[28:29], v[22:23], -v[7:8]
	v_mul_f64_e32 v[22:23], v[5:6], v[22:23]
	v_add_co_u32 v13, s3, 0x100, v13
	global_load_b128 v[24:27], v[24:25], off
	s_wait_alu 0xf1ff
	v_add_co_ci_u32_e64 v14, null, 0, v14, s3
	v_add_co_u32 v15, s3, 0x1000, v15
	s_wait_alu 0xf1ff
	v_add_co_ci_u32_e64 v16, null, 0, v16, s3
	s_wait_alu 0xfffe
	v_cmp_le_i64_e64 s3, s[36:37], v[13:14]
	s_or_b32 s5, s3, s5
	v_fma_f64 v[28:29], v[5:6], v[20:21], v[28:29]
	v_fma_f64 v[20:21], v[7:8], v[20:21], v[22:23]
	s_wait_loadcnt 0x0
	s_delay_alu instid0(VALU_DEP_2) | instskip(NEXT) | instid1(VALU_DEP_2)
	v_fma_f64 v[9:10], v[28:29], v[24:25], v[9:10]
	v_fma_f64 v[11:12], v[20:21], v[24:25], v[11:12]
	s_delay_alu instid0(VALU_DEP_2) | instskip(NEXT) | instid1(VALU_DEP_2)
	v_fma_f64 v[9:10], -v[20:21], v[26:27], v[9:10]
	v_fma_f64 v[11:12], v[28:29], v[26:27], v[11:12]
	s_wait_alu 0xfffe
	s_and_not1_b32 exec_lo, exec_lo, s5
	s_cbranch_execnz .LBB40_39
; %bb.40:
	s_or_b32 exec_lo, exec_lo, s5
.LBB40_41:
	s_delay_alu instid0(SALU_CYCLE_1)
	s_or_b32 exec_lo, exec_lo, s35
	v_lshlrev_b32_e32 v13, 4, v0
	s_mov_b32 s4, exec_lo
	ds_store_b128 v13, v[9:12]
	s_wait_storecnt 0x0
	s_wait_loadcnt_dscnt 0x0
	s_barrier_signal -1
	s_barrier_wait -1
	global_inv scope:SCOPE_SE
	v_cmpx_gt_u32_e32 0x80, v0
	s_cbranch_execz .LBB40_43
; %bb.42:
	ds_load_b128 v[9:12], v13 offset:2048
	ds_load_b128 v[14:17], v13
	s_wait_dscnt 0x0
	v_add_f64_e32 v[9:10], v[9:10], v[14:15]
	v_add_f64_e32 v[11:12], v[11:12], v[16:17]
	ds_store_b128 v13, v[9:12]
.LBB40_43:
	s_wait_alu 0xfffe
	s_or_b32 exec_lo, exec_lo, s4
	s_delay_alu instid0(SALU_CYCLE_1)
	s_mov_b32 s4, exec_lo
	s_wait_loadcnt_dscnt 0x0
	s_barrier_signal -1
	s_barrier_wait -1
	global_inv scope:SCOPE_SE
	v_cmpx_gt_u32_e32 64, v0
	s_cbranch_execz .LBB40_45
; %bb.44:
	ds_load_b128 v[9:12], v13 offset:1024
	ds_load_b128 v[14:17], v13
	s_wait_dscnt 0x0
	v_add_f64_e32 v[9:10], v[9:10], v[14:15]
	v_add_f64_e32 v[11:12], v[11:12], v[16:17]
	ds_store_b128 v13, v[9:12]
.LBB40_45:
	s_wait_alu 0xfffe
	s_or_b32 exec_lo, exec_lo, s4
	s_delay_alu instid0(SALU_CYCLE_1)
	s_mov_b32 s4, exec_lo
	;; [unrolled: 18-line block ×6, first 2 shown]
	s_wait_loadcnt_dscnt 0x0
	s_barrier_signal -1
	s_barrier_wait -1
	global_inv scope:SCOPE_SE
	v_cmpx_gt_u32_e32 2, v0
	s_cbranch_execz .LBB40_55
; %bb.54:
	ds_load_b128 v[9:12], v13
	ds_load_b128 v[14:17], v13 offset:32
	s_wait_dscnt 0x0
	v_add_f64_e32 v[9:10], v[14:15], v[9:10]
	v_add_f64_e32 v[11:12], v[16:17], v[11:12]
	ds_store_b128 v13, v[9:12]
.LBB40_55:
	s_wait_alu 0xfffe
	s_or_b32 exec_lo, exec_lo, s4
	s_wait_loadcnt_dscnt 0x0
	s_barrier_signal -1
	s_barrier_wait -1
	global_inv scope:SCOPE_SE
	s_and_saveexec_b32 s3, vcc_lo
	s_cbranch_execz .LBB40_57
; %bb.56:
	v_mov_b32_e32 v17, 0
	ds_load_b128 v[9:12], v17
	ds_load_b128 v[13:16], v17 offset:16
	s_wait_dscnt 0x0
	v_add_f64_e32 v[9:10], v[13:14], v[9:10]
	v_add_f64_e32 v[11:12], v[15:16], v[11:12]
	ds_store_b128 v17, v[9:12]
.LBB40_57:
	s_wait_alu 0xfffe
	s_or_b32 exec_lo, exec_lo, s3
	s_wait_loadcnt_dscnt 0x0
	s_barrier_signal -1
	s_barrier_wait -1
	global_inv scope:SCOPE_SE
	s_and_saveexec_b32 s3, vcc_lo
	s_cbranch_execz .LBB40_70
; %bb.58:
	s_and_not1_b32 vcc_lo, exec_lo, s33
	s_wait_alu 0xfffe
	s_cbranch_vccnz .LBB40_64
; %bb.59:
	v_mov_b32_e32 v9, 0
	s_lshl_b64 s[4:5], s[10:11], 2
	s_wait_alu 0xfffe
	s_add_nc_u64 s[4:5], s[8:9], s[4:5]
	s_branch .LBB40_61
.LBB40_60:                              ;   in Loop: Header=BB40_61 Depth=1
	s_wait_alu 0xfffe
	s_or_b32 exec_lo, exec_lo, s8
	s_wait_loadcnt 0x0
	v_readfirstlane_b32 s8, v10
	s_wait_alu 0xf1ff
	s_delay_alu instid0(VALU_DEP_1)
	v_cmp_eq_u32_e32 vcc_lo, s8, v19
	s_cbranch_vccz .LBB40_63
.LBB40_61:                              ; =>This Inner Loop Header: Depth=1
	v_mbcnt_lo_u32_b32 v10, exec_lo, 0
	s_delay_alu instid0(VALU_DEP_1)
	v_cmp_eq_u32_e32 vcc_lo, 0, v10
                                        ; implicit-def: $vgpr10
	s_and_saveexec_b32 s8, vcc_lo
	s_cbranch_execz .LBB40_60
; %bb.62:                               ;   in Loop: Header=BB40_61 Depth=1
	global_load_b32 v10, v9, s[4:5] scope:SCOPE_DEV
	s_branch .LBB40_60
.LBB40_63:
	v_mov_b32_e32 v9, 0
	global_load_u16 v10, v9, s[6:7]
	s_wait_loadcnt 0x0
	v_xor_b32_e32 v10, 1, v10
	global_store_b16 v9, v10, s[6:7]
.LBB40_64:
	v_mov_b32_e32 v17, 0
	s_mov_b32 s8, exec_lo
	s_lshl_b64 s[4:5], s[20:21], 4
	s_wait_alu 0xfffe
	v_mbcnt_lo_u32_b32 v13, s8, 0
	s_add_nc_u64 s[4:5], s[24:25], s[4:5]
	ds_load_b128 v[9:12], v17
	s_mov_b32 s7, 0
	s_mov_b32 s6, exec_lo
	v_cmpx_eq_u32_e32 0, v13
	s_cbranch_execz .LBB40_67
; %bb.65:
	global_load_b64 v[15:16], v17, s[4:5]
	s_bcnt1_i32_b32 s8, s8
	s_wait_alu 0xfffe
	v_cvt_f64_u32_e32 v[13:14], s8
	s_wait_dscnt 0x0
	s_delay_alu instid0(VALU_DEP_1)
	v_mul_f64_e32 v[9:10], v[9:10], v[13:14]
.LBB40_66:                              ; =>This Inner Loop Header: Depth=1
	s_wait_loadcnt 0x0
	s_delay_alu instid0(VALU_DEP_1)
	v_add_f64_e32 v[13:14], v[15:16], v[9:10]
	global_atomic_cmpswap_b64 v[13:14], v17, v[13:16], s[4:5] th:TH_ATOMIC_RETURN scope:SCOPE_DEV
	s_wait_loadcnt 0x0
	v_cmp_eq_u64_e32 vcc_lo, v[13:14], v[15:16]
	v_dual_mov_b32 v16, v14 :: v_dual_mov_b32 v15, v13
	s_or_b32 s7, vcc_lo, s7
	s_delay_alu instid0(SALU_CYCLE_1)
	s_and_not1_b32 exec_lo, exec_lo, s7
	s_cbranch_execnz .LBB40_66
.LBB40_67:
	s_or_b32 exec_lo, exec_lo, s6
	s_delay_alu instid0(SALU_CYCLE_1) | instskip(SKIP_3) | instid1(VALU_DEP_1)
	s_mov_b32 s7, exec_lo
	s_mov_b32 s6, 0
	s_wait_dscnt 0x0
	v_mbcnt_lo_u32_b32 v9, s7, 0
	v_cmp_eq_u32_e32 vcc_lo, 0, v9
	s_and_b32 s8, exec_lo, vcc_lo
	s_wait_alu 0xfffe
	s_mov_b32 exec_lo, s8
	s_cbranch_execz .LBB40_70
; %bb.68:
	v_mov_b32_e32 v15, 0
	s_bcnt1_i32_b32 s7, s7
	s_wait_alu 0xfffe
	v_cvt_f64_u32_e32 v[9:10], s7
	global_load_b64 v[13:14], v15, s[4:5] offset:8
	v_mul_f64_e32 v[9:10], v[11:12], v[9:10]
.LBB40_69:                              ; =>This Inner Loop Header: Depth=1
	s_wait_loadcnt 0x0
	s_delay_alu instid0(VALU_DEP_1)
	v_add_f64_e32 v[11:12], v[13:14], v[9:10]
	global_atomic_cmpswap_b64 v[11:12], v15, v[11:14], s[4:5] offset:8 th:TH_ATOMIC_RETURN scope:SCOPE_DEV
	s_wait_loadcnt 0x0
	v_cmp_eq_u64_e32 vcc_lo, v[11:12], v[13:14]
	v_dual_mov_b32 v14, v12 :: v_dual_mov_b32 v13, v11
	s_or_b32 s6, vcc_lo, s6
	s_wait_alu 0xfffe
	s_and_not1_b32 exec_lo, exec_lo, s6
	s_cbranch_execnz .LBB40_69
.LBB40_70:
	s_wait_alu 0xfffe
	s_or_b32 exec_lo, exec_lo, s3
.LBB40_71:
	s_mov_b32 s3, 0
.LBB40_72:
	s_wait_alu 0xfffe
	s_and_not1_b32 vcc_lo, exec_lo, s3
	s_wait_alu 0xfffe
	s_cbranch_vccnz .LBB40_116
; %bb.73:
	s_load_b64 s[0:1], s[0:1], 0x8
	v_sub_co_u32 v9, s3, v0, s34
	s_wait_alu 0xf1ff
	v_sub_co_ci_u32_e64 v10, null, 0, 0, s3
	s_mov_b32 s35, 0
	s_wait_kmcnt 0x0
	v_add_co_u32 v9, vcc_lo, s28, v9
	s_wait_alu 0xfffd
	v_add_co_ci_u32_e64 v10, null, s29, v10, vcc_lo
	s_delay_alu instid0(VALU_DEP_2) | instskip(SKIP_1) | instid1(VALU_DEP_2)
	v_add_co_u32 v11, vcc_lo, 0x300, v9
	s_wait_alu 0xfffd
	v_add_co_ci_u32_e64 v12, null, 0, v10, vcc_lo
	s_delay_alu instid0(VALU_DEP_1)
	v_cmp_le_i64_e32 vcc_lo, s[0:1], v[11:12]
	s_and_saveexec_b32 s0, vcc_lo
	s_wait_alu 0xfffe
	s_xor_b32 s1, exec_lo, s0
	s_cbranch_execz .LBB40_78
; %bb.74:
	s_lshl_b64 s[4:5], s[22:23], 3
	s_mov_b32 s3, exec_lo
	s_wait_alu 0xfffe
	s_add_nc_u64 s[4:5], s[12:13], s[4:5]
	s_load_b64 s[4:5], s[4:5], 0x0
	s_wait_kmcnt 0x0
	s_sub_nc_u64 s[4:5], s[4:5], s[34:35]
	s_wait_alu 0xfffe
	v_cmpx_gt_i64_e64 s[4:5], v[9:10]
	s_cbranch_execz .LBB40_77
; %bb.75:
	v_lshlrev_b64_e32 v[11:12], 4, v[9:10]
	v_lshlrev_b64_e32 v[13:14], 3, v[9:10]
	v_lshlrev_b32_e32 v15, 4, v0
	s_mov_b32 s6, 0
	s_delay_alu instid0(VALU_DEP_3) | instskip(SKIP_2) | instid1(VALU_DEP_2)
	v_add_co_u32 v11, vcc_lo, s16, v11
	s_wait_alu 0xfffd
	v_add_co_ci_u32_e64 v12, null, s17, v12, vcc_lo
	v_add_co_u32 v11, vcc_lo, v11, 8
	s_wait_alu 0xfffd
	s_delay_alu instid0(VALU_DEP_2)
	v_add_co_ci_u32_e64 v12, null, 0, v12, vcc_lo
	v_add_co_u32 v13, vcc_lo, s14, v13
	s_wait_alu 0xfffd
	v_add_co_ci_u32_e64 v14, null, s15, v14, vcc_lo
.LBB40_76:                              ; =>This Inner Loop Header: Depth=1
	global_load_b64 v[20:21], v[13:14], off
	global_load_b128 v[16:19], v[11:12], off offset:-8
	s_wait_loadcnt 0x1
	v_sub_co_u32 v20, vcc_lo, v20, s34
	s_wait_alu 0xfffd
	v_subrev_co_ci_u32_e64 v21, null, 0, v21, vcc_lo
	s_wait_loadcnt 0x0
	v_xor_b32_e32 v24, 0x80000000, v19
	s_delay_alu instid0(VALU_DEP_2) | instskip(NEXT) | instid1(VALU_DEP_2)
	v_lshlrev_b64_e32 v[20:21], 4, v[20:21]
	v_cndmask_b32_e64 v19, v19, v24, s2
	s_delay_alu instid0(VALU_DEP_2) | instskip(SKIP_1) | instid1(VALU_DEP_3)
	v_add_co_u32 v20, vcc_lo, s18, v20
	s_wait_alu 0xfffd
	v_add_co_ci_u32_e64 v21, null, s19, v21, vcc_lo
	s_delay_alu instid0(VALU_DEP_3)
	v_mul_f64_e32 v[24:25], v[5:6], v[18:19]
	v_mul_f64_e64 v[18:19], v[18:19], -v[7:8]
	v_add_co_u32 v9, vcc_lo, 0x100, v9
	global_load_b128 v[20:23], v[20:21], off
	s_wait_alu 0xfffd
	v_add_co_ci_u32_e64 v10, null, 0, v10, vcc_lo
	v_add_co_u32 v11, vcc_lo, 0x1000, v11
	s_wait_alu 0xfffd
	v_add_co_ci_u32_e64 v12, null, 0, v12, vcc_lo
	s_delay_alu instid0(VALU_DEP_3) | instskip(SKIP_4) | instid1(VALU_DEP_3)
	v_cmp_le_i64_e64 s0, s[4:5], v[9:10]
	v_add_co_u32 v13, vcc_lo, 0x800, v13
	s_wait_alu 0xfffd
	v_add_co_ci_u32_e64 v14, null, 0, v14, vcc_lo
	s_wait_alu 0xfffe
	s_or_b32 s6, s0, s6
	v_fma_f64 v[24:25], v[7:8], v[16:17], v[24:25]
	v_fma_f64 v[16:17], v[5:6], v[16:17], v[18:19]
	s_wait_loadcnt 0x0
	s_delay_alu instid0(VALU_DEP_2) | instskip(NEXT) | instid1(VALU_DEP_2)
	v_mul_f64_e64 v[18:19], v[22:23], -v[24:25]
	v_mul_f64_e32 v[22:23], v[22:23], v[16:17]
	s_delay_alu instid0(VALU_DEP_2) | instskip(NEXT) | instid1(VALU_DEP_2)
	v_fma_f64 v[16:17], v[16:17], v[20:21], v[18:19]
	v_fma_f64 v[18:19], v[24:25], v[20:21], v[22:23]
	ds_store_b128 v15, v[16:19]
	v_add_nc_u32_e32 v15, 0x1000, v15
	s_wait_alu 0xfffe
	s_and_not1_b32 exec_lo, exec_lo, s6
	s_cbranch_execnz .LBB40_76
.LBB40_77:
	s_or_b32 exec_lo, exec_lo, s3
                                        ; implicit-def: $vgpr9_vgpr10
                                        ; implicit-def: $vgpr7_vgpr8
.LBB40_78:
	s_wait_alu 0xfffe
	s_or_saveexec_b32 s0, s1
	v_lshlrev_b32_e32 v17, 4, v0
	s_wait_alu 0xfffe
	s_xor_b32 exec_lo, exec_lo, s0
	s_cbranch_execz .LBB40_80
; %bb.79:
	v_lshlrev_b64_e32 v[11:12], 3, v[9:10]
	v_lshlrev_b64_e32 v[9:10], 4, v[9:10]
	s_delay_alu instid0(VALU_DEP_2) | instskip(SKIP_1) | instid1(VALU_DEP_3)
	v_add_co_u32 v11, vcc_lo, s14, v11
	s_wait_alu 0xfffd
	v_add_co_ci_u32_e64 v12, null, s15, v12, vcc_lo
	s_delay_alu instid0(VALU_DEP_3)
	v_add_co_u32 v22, vcc_lo, s16, v9
	s_wait_alu 0xfffd
	v_add_co_ci_u32_e64 v23, null, s17, v10, vcc_lo
	s_clause 0x3
	global_load_b64 v[26:27], v[11:12], off
	global_load_b64 v[28:29], v[11:12], off offset:2048
	global_load_b64 v[30:31], v[11:12], off offset:4096
	;; [unrolled: 1-line block ×3, first 2 shown]
	s_clause 0x3
	global_load_b128 v[9:12], v[22:23], off
	global_load_b128 v[13:16], v[22:23], off offset:4096
	global_load_b128 v[18:21], v[22:23], off offset:8192
	;; [unrolled: 1-line block ×3, first 2 shown]
	s_wait_loadcnt 0x7
	v_sub_co_u32 v26, vcc_lo, v26, s34
	s_wait_alu 0xfffd
	v_subrev_co_ci_u32_e64 v27, null, 0, v27, vcc_lo
	s_wait_loadcnt 0x6
	v_sub_co_u32 v28, vcc_lo, v28, s34
	s_wait_alu 0xfffd
	v_subrev_co_ci_u32_e64 v29, null, 0, v29, vcc_lo
	;; [unrolled: 4-line block ×3, first 2 shown]
	s_wait_loadcnt 0x4
	v_sub_co_u32 v32, vcc_lo, v32, s34
	v_lshlrev_b64_e32 v[26:27], 4, v[26:27]
	s_wait_alu 0xfffd
	v_subrev_co_ci_u32_e64 v33, null, 0, v33, vcc_lo
	v_lshlrev_b64_e32 v[28:29], 4, v[28:29]
	v_lshlrev_b64_e32 v[30:31], 4, v[30:31]
	s_wait_loadcnt 0x3
	v_xor_b32_e32 v42, 0x80000000, v12
	v_lshlrev_b64_e32 v[32:33], 4, v[32:33]
	v_add_co_u32 v26, vcc_lo, s18, v26
	s_wait_alu 0xfffd
	v_add_co_ci_u32_e64 v27, null, s19, v27, vcc_lo
	v_add_co_u32 v34, vcc_lo, s18, v28
	s_wait_alu 0xfffd
	v_add_co_ci_u32_e64 v35, null, s19, v29, vcc_lo
	;; [unrolled: 3-line block ×3, first 2 shown]
	v_add_co_u32 v38, vcc_lo, s18, v32
	global_load_b128 v[26:29], v[26:27], off
	s_wait_alu 0xfffd
	v_add_co_ci_u32_e64 v39, null, s19, v33, vcc_lo
	s_clause 0x2
	global_load_b128 v[30:33], v[34:35], off
	global_load_b128 v[34:37], v[36:37], off
	;; [unrolled: 1-line block ×3, first 2 shown]
	s_wait_loadcnt 0x6
	v_xor_b32_e32 v43, 0x80000000, v16
	s_wait_loadcnt 0x5
	v_xor_b32_e32 v44, 0x80000000, v21
	;; [unrolled: 2-line block ×3, first 2 shown]
	v_cndmask_b32_e64 v12, v12, v42, s2
	v_cndmask_b32_e64 v16, v16, v43, s2
	;; [unrolled: 1-line block ×3, first 2 shown]
	s_delay_alu instid0(VALU_DEP_4) | instskip(NEXT) | instid1(VALU_DEP_4)
	v_cndmask_b32_e64 v25, v25, v45, s2
	v_mul_f64_e32 v[42:43], v[5:6], v[11:12]
	v_mul_f64_e64 v[11:12], v[11:12], -v[7:8]
	v_mul_f64_e32 v[44:45], v[5:6], v[15:16]
	v_mul_f64_e64 v[15:16], v[15:16], -v[7:8]
	v_mul_f64_e32 v[46:47], v[5:6], v[20:21]
	v_mul_f64_e64 v[20:21], v[20:21], -v[7:8]
	v_mul_f64_e32 v[48:49], v[5:6], v[24:25]
	v_mul_f64_e64 v[24:25], v[24:25], -v[7:8]
	v_fma_f64 v[42:43], v[7:8], v[9:10], v[42:43]
	v_fma_f64 v[9:10], v[5:6], v[9:10], v[11:12]
	;; [unrolled: 1-line block ×8, first 2 shown]
	s_wait_loadcnt 0x3
	v_mul_f64_e64 v[5:6], v[28:29], -v[42:43]
	v_mul_f64_e32 v[7:8], v[28:29], v[9:10]
	s_wait_loadcnt 0x2
	v_mul_f64_e64 v[24:25], v[32:33], -v[11:12]
	v_mul_f64_e32 v[28:29], v[32:33], v[13:14]
	s_wait_loadcnt 0x1
	v_mul_f64_e64 v[32:33], v[36:37], -v[15:16]
	v_mul_f64_e32 v[36:37], v[36:37], v[18:19]
	s_wait_loadcnt 0x0
	v_mul_f64_e64 v[44:45], v[40:41], -v[20:21]
	v_mul_f64_e32 v[40:41], v[40:41], v[22:23]
	v_fma_f64 v[5:6], v[9:10], v[26:27], v[5:6]
	v_fma_f64 v[7:8], v[42:43], v[26:27], v[7:8]
	;; [unrolled: 1-line block ×8, first 2 shown]
	ds_store_b128 v17, v[5:8]
	ds_store_b128 v17, v[9:12] offset:4096
	ds_store_b128 v17, v[13:16] offset:8192
	;; [unrolled: 1-line block ×3, first 2 shown]
.LBB40_80:
	s_or_b32 exec_lo, exec_lo, s0
	v_cmp_lt_i64_e64 s0, s[26:27], 2
	s_wait_storecnt 0x0
	s_wait_loadcnt_dscnt 0x0
	s_barrier_signal -1
	s_barrier_wait -1
	global_inv scope:SCOPE_SE
	s_and_b32 vcc_lo, exec_lo, s0
	s_mov_b32 s0, -1
	s_wait_alu 0xfffe
	s_cbranch_vccz .LBB40_91
; %bb.81:
	v_add_co_u32 v13, s0, s20, v0
	s_wait_alu 0xf1ff
	v_add_co_ci_u32_e64 v14, null, s21, 0, s0
	s_mov_b32 s1, exec_lo
	v_cmpx_gt_i64_e64 s[22:23], v[13:14]
	s_cbranch_execz .LBB40_90
; %bb.82:
	v_cmp_neq_f64_e32 vcc_lo, 0, v[1:2]
	v_cmp_neq_f64_e64 s0, 0, v[3:4]
	s_lshl_b32 s4, s28, 4
	s_mov_b32 s2, 0
	s_wait_alu 0xfffe
	s_sub_co_i32 s4, 0, s4
	s_or_b32 s3, vcc_lo, s0
	s_branch .LBB40_84
.LBB40_83:                              ;   in Loop: Header=BB40_84 Depth=1
	s_wait_alu 0xfffe
	s_or_b32 exec_lo, exec_lo, s0
	v_add_co_u32 v13, vcc_lo, 0x100, v13
	s_wait_alu 0xfffd
	v_add_co_ci_u32_e64 v14, null, 0, v14, vcc_lo
	v_add_co_u32 v9, s0, s24, v9
	s_wait_alu 0xf1ff
	v_add_co_ci_u32_e64 v10, null, s25, v10, s0
	s_delay_alu instid0(VALU_DEP_3)
	v_cmp_le_i64_e32 vcc_lo, s[22:23], v[13:14]
	global_store_b128 v[9:10], v[5:8], off
	s_or_b32 s2, vcc_lo, s2
	s_wait_alu 0xfffe
	s_and_not1_b32 exec_lo, exec_lo, s2
	s_cbranch_execz .LBB40_90
.LBB40_84:                              ; =>This Loop Header: Depth=1
                                        ;     Child Loop BB40_86 Depth 2
	v_lshlrev_b64_e32 v[5:6], 3, v[13:14]
	v_mov_b32_e32 v7, 0
	v_mov_b32_e32 v8, 0
	s_mov_b32 s0, exec_lo
	s_delay_alu instid0(VALU_DEP_3)
	v_add_co_u32 v5, vcc_lo, s12, v5
	s_wait_alu 0xfffd
	v_add_co_ci_u32_e64 v6, null, s13, v6, vcc_lo
	global_load_b128 v[9:12], v[5:6], off
	v_mov_b32_e32 v5, 0
	v_mov_b32_e32 v6, 0
	s_wait_loadcnt 0x0
	v_cmpx_lt_i64_e64 v[9:10], v[11:12]
	s_cbranch_execz .LBB40_88
; %bb.85:                               ;   in Loop: Header=BB40_84 Depth=1
	v_mov_b32_e32 v7, 0
	v_mov_b32_e32 v8, 0
	v_sub_co_u32 v11, vcc_lo, v11, s28
	s_wait_alu 0xfffd
	v_subrev_co_ci_u32_e64 v12, null, s29, v12, vcc_lo
	v_sub_co_u32 v15, vcc_lo, v9, s28
	s_wait_alu 0xfffd
	v_subrev_co_ci_u32_e64 v16, null, s29, v10, vcc_lo
	s_wait_alu 0xfffe
	v_lshl_add_u32 v9, v9, 4, s4
	v_dual_mov_b32 v5, v7 :: v_dual_mov_b32 v6, v8
	s_mov_b32 s5, 0
.LBB40_86:                              ;   Parent Loop BB40_84 Depth=1
                                        ; =>  This Inner Loop Header: Depth=2
	ds_load_b128 v[18:21], v9
	v_add_co_u32 v15, vcc_lo, v15, 1
	s_wait_alu 0xfffd
	v_add_co_ci_u32_e64 v16, null, 0, v16, vcc_lo
	v_add_nc_u32_e32 v9, 16, v9
	s_delay_alu instid0(VALU_DEP_2)
	v_cmp_ge_i64_e32 vcc_lo, v[15:16], v[11:12]
	s_wait_alu 0xfffe
	s_or_b32 s5, vcc_lo, s5
	s_wait_dscnt 0x0
	v_add_f64_e32 v[5:6], v[5:6], v[18:19]
	v_add_f64_e32 v[7:8], v[7:8], v[20:21]
	s_wait_alu 0xfffe
	s_and_not1_b32 exec_lo, exec_lo, s5
	s_cbranch_execnz .LBB40_86
; %bb.87:                               ;   in Loop: Header=BB40_84 Depth=1
	s_or_b32 exec_lo, exec_lo, s5
.LBB40_88:                              ;   in Loop: Header=BB40_84 Depth=1
	s_wait_alu 0xfffe
	s_or_b32 exec_lo, exec_lo, s0
	v_lshlrev_b64_e32 v[9:10], 4, v[13:14]
	s_and_saveexec_b32 s0, s3
	s_cbranch_execz .LBB40_83
; %bb.89:                               ;   in Loop: Header=BB40_84 Depth=1
	s_delay_alu instid0(VALU_DEP_1) | instskip(SKIP_1) | instid1(VALU_DEP_2)
	v_add_co_u32 v11, vcc_lo, s24, v9
	s_wait_alu 0xfffd
	v_add_co_ci_u32_e64 v12, null, s25, v10, vcc_lo
	global_load_b128 v[18:21], v[11:12], off
	s_wait_loadcnt 0x0
	v_fma_f64 v[5:6], v[1:2], v[18:19], v[5:6]
	v_fma_f64 v[7:8], v[3:4], v[18:19], v[7:8]
	s_delay_alu instid0(VALU_DEP_2) | instskip(NEXT) | instid1(VALU_DEP_2)
	v_fma_f64 v[5:6], -v[3:4], v[20:21], v[5:6]
	v_fma_f64 v[7:8], v[1:2], v[20:21], v[7:8]
	s_branch .LBB40_83
.LBB40_90:
	s_wait_alu 0xfffe
	s_or_b32 exec_lo, exec_lo, s1
	s_mov_b32 s0, 0
.LBB40_91:
	s_wait_alu 0xfffe
	s_and_not1_b32 vcc_lo, exec_lo, s0
	s_wait_alu 0xfffe
	s_cbranch_vccnz .LBB40_116
; %bb.92:
	s_clz_i32_u32 s0, s26
	v_dual_mov_b32 v5, 0 :: v_dual_mov_b32 v12, 0
	s_wait_alu 0xfffe
	s_min_u32 s0, s0, 32
	s_mov_b32 s1, exec_lo
	s_wait_alu 0xfffe
	s_sub_co_i32 s0, 31, s0
	s_wait_alu 0xfffe
	v_lshrrev_b32_e32 v13, s0, v0
	s_delay_alu instid0(VALU_DEP_1)
	v_add_co_u32 v9, s0, s20, v13
	s_wait_alu 0xf1ff
	v_add_co_ci_u32_e64 v10, null, s21, 0, s0
	s_add_co_i32 s0, s26, -1
	s_wait_alu 0xfffe
	v_dual_mov_b32 v6, 0 :: v_dual_and_b32 v11, s0, v0
	v_cmp_le_i64_e64 s0, s[22:23], v[9:10]
	s_delay_alu instid0(VALU_DEP_2)
	v_dual_mov_b32 v8, v6 :: v_dual_mov_b32 v7, v5
	v_cmpx_gt_i64_e64 s[22:23], v[9:10]
	s_cbranch_execz .LBB40_98
; %bb.93:
	v_lshlrev_b32_e32 v0, 3, v13
	global_load_b128 v[5:8], v0, s[30:31]
	v_sub_co_u32 v0, s2, v11, s28
	s_wait_alu 0xf1ff
	v_sub_co_ci_u32_e64 v16, null, 0, s29, s2
	s_mov_b32 s2, exec_lo
	s_wait_loadcnt 0x0
	v_sub_co_u32 v13, vcc_lo, v7, s28
	s_wait_alu 0xfffd
	v_subrev_co_ci_u32_e64 v14, null, s29, v8, vcc_lo
	v_add_co_u32 v15, vcc_lo, v5, v0
	v_mov_b32_e32 v7, 0
	s_wait_alu 0xfffd
	v_add_co_ci_u32_e64 v16, null, v6, v16, vcc_lo
	v_dual_mov_b32 v8, 0 :: v_dual_mov_b32 v5, 0
	v_mov_b32_e32 v6, 0
	s_delay_alu instid0(VALU_DEP_3)
	v_cmpx_lt_i64_e64 v[15:16], v[13:14]
	s_cbranch_execz .LBB40_97
; %bb.94:
	v_dual_mov_b32 v7, 0 :: v_dual_lshlrev_b32 v0, 4, v15
	v_mov_b32_e32 v8, 0
	s_delay_alu instid0(VALU_DEP_2) | instskip(SKIP_2) | instid1(VALU_DEP_2)
	v_mov_b32_e32 v5, v7
	s_lshl_b32 s4, s26, 4
	s_mov_b32 s3, 0
	v_mov_b32_e32 v6, v8
.LBB40_95:                              ; =>This Inner Loop Header: Depth=1
	ds_load_b128 v[18:21], v0
	v_add_co_u32 v15, vcc_lo, v15, s26
	s_wait_alu 0xfffd
	v_add_co_ci_u32_e64 v16, null, s27, v16, vcc_lo
	s_wait_alu 0xfffe
	v_add_nc_u32_e32 v0, s4, v0
	s_delay_alu instid0(VALU_DEP_2)
	v_cmp_ge_i64_e32 vcc_lo, v[15:16], v[13:14]
	s_or_b32 s3, vcc_lo, s3
	s_wait_dscnt 0x0
	v_add_f64_e32 v[5:6], v[5:6], v[18:19]
	v_add_f64_e32 v[7:8], v[7:8], v[20:21]
	s_wait_alu 0xfffe
	s_and_not1_b32 exec_lo, exec_lo, s3
	s_cbranch_execnz .LBB40_95
; %bb.96:
	s_or_b32 exec_lo, exec_lo, s3
.LBB40_97:
	s_wait_alu 0xfffe
	s_or_b32 exec_lo, exec_lo, s2
.LBB40_98:
	s_delay_alu instid0(SALU_CYCLE_1)
	s_or_b32 exec_lo, exec_lo, s1
	v_cmp_gt_u64_e64 s1, 0x81, s[26:27]
	s_wait_loadcnt 0x0
	s_wait_storecnt 0x0
	s_barrier_signal -1
	s_barrier_wait -1
	global_inv scope:SCOPE_SE
	ds_store_b128 v17, v[5:8]
	s_and_b32 vcc_lo, exec_lo, s1
	s_wait_loadcnt_dscnt 0x0
	s_barrier_signal -1
	s_barrier_wait -1
	global_inv scope:SCOPE_SE
	s_wait_alu 0xfffe
	s_cbranch_vccnz .LBB40_100
; %bb.99:
	ds_load_b128 v[13:16], v17 offset:2048
	s_wait_loadcnt_dscnt 0x0
	s_barrier_signal -1
	s_barrier_wait -1
	global_inv scope:SCOPE_SE
	v_add_f64_e32 v[5:6], v[5:6], v[13:14]
	v_add_f64_e32 v[7:8], v[7:8], v[15:16]
	ds_store_b128 v17, v[5:8]
.LBB40_100:
	v_cmp_gt_u64_e64 s1, 0x41, s[26:27]
	s_wait_loadcnt_dscnt 0x0
	s_barrier_signal -1
	s_barrier_wait -1
	global_inv scope:SCOPE_SE
	s_and_b32 vcc_lo, exec_lo, s1
	s_wait_alu 0xfffe
	s_cbranch_vccnz .LBB40_102
; %bb.101:
	ds_load_b128 v[13:16], v17 offset:1024
	s_wait_loadcnt_dscnt 0x0
	s_barrier_signal -1
	s_barrier_wait -1
	global_inv scope:SCOPE_SE
	v_add_f64_e32 v[5:6], v[5:6], v[13:14]
	v_add_f64_e32 v[7:8], v[7:8], v[15:16]
	ds_store_b128 v17, v[5:8]
.LBB40_102:
	v_cmp_lt_u64_e64 s1, s[26:27], 33
	s_wait_loadcnt_dscnt 0x0
	s_barrier_signal -1
	s_barrier_wait -1
	global_inv scope:SCOPE_SE
	s_and_b32 vcc_lo, exec_lo, s1
	s_wait_alu 0xfffe
	s_cbranch_vccnz .LBB40_104
; %bb.103:
	ds_load_b128 v[13:16], v17 offset:512
	s_wait_loadcnt_dscnt 0x0
	s_barrier_signal -1
	s_barrier_wait -1
	global_inv scope:SCOPE_SE
	v_add_f64_e32 v[5:6], v[5:6], v[13:14]
	v_add_f64_e32 v[7:8], v[7:8], v[15:16]
	ds_store_b128 v17, v[5:8]
.LBB40_104:
	v_cmp_lt_u64_e64 s1, s[26:27], 17
	;; [unrolled: 18-line block ×4, first 2 shown]
	s_wait_loadcnt_dscnt 0x0
	s_barrier_signal -1
	s_barrier_wait -1
	global_inv scope:SCOPE_SE
	s_and_b32 vcc_lo, exec_lo, s1
	s_wait_alu 0xfffe
	s_cbranch_vccnz .LBB40_110
; %bb.109:
	ds_load_b128 v[13:16], v17 offset:64
	s_wait_loadcnt_dscnt 0x0
	s_barrier_signal -1
	s_barrier_wait -1
	global_inv scope:SCOPE_SE
	v_add_f64_e32 v[5:6], v[5:6], v[13:14]
	v_add_f64_e32 v[7:8], v[7:8], v[15:16]
	ds_store_b128 v17, v[5:8]
.LBB40_110:
	s_cmp_eq_u64 s[26:27], 2
	s_wait_loadcnt_dscnt 0x0
	s_barrier_signal -1
	s_barrier_wait -1
	global_inv scope:SCOPE_SE
	s_cbranch_scc1 .LBB40_112
; %bb.111:
	ds_load_b128 v[13:16], v17 offset:32
	s_wait_loadcnt_dscnt 0x0
	s_barrier_signal -1
	s_barrier_wait -1
	global_inv scope:SCOPE_SE
	v_add_f64_e32 v[5:6], v[5:6], v[13:14]
	v_add_f64_e32 v[7:8], v[7:8], v[15:16]
	ds_store_b128 v17, v[5:8]
.LBB40_112:
	s_wait_loadcnt_dscnt 0x0
	s_barrier_signal -1
	s_barrier_wait -1
	global_inv scope:SCOPE_SE
	ds_load_b128 v[13:16], v17 offset:16
	v_cmp_eq_u64_e32 vcc_lo, 0, v[11:12]
	s_xor_b32 s0, s0, -1
	s_wait_loadcnt_dscnt 0x0
	s_barrier_signal -1
	s_barrier_wait -1
	global_inv scope:SCOPE_SE
	s_wait_alu 0xfffe
	s_and_b32 s0, vcc_lo, s0
	v_add_f64_e32 v[5:6], v[5:6], v[13:14]
	v_add_f64_e32 v[7:8], v[7:8], v[15:16]
	ds_store_b128 v17, v[5:8]
	s_wait_alu 0xfffe
	s_and_b32 exec_lo, exec_lo, s0
	s_cbranch_execz .LBB40_116
; %bb.113:
	v_cmp_neq_f64_e32 vcc_lo, 0, v[1:2]
	v_cmp_neq_f64_e64 s0, 0, v[3:4]
	v_lshlrev_b64_e32 v[9:10], 4, v[9:10]
	s_or_b32 s1, vcc_lo, s0
	s_wait_alu 0xfffe
	s_and_saveexec_b32 s0, s1
	s_cbranch_execz .LBB40_115
; %bb.114:
	s_delay_alu instid0(VALU_DEP_1)
	v_add_co_u32 v11, vcc_lo, s24, v9
	s_wait_alu 0xfffd
	v_add_co_ci_u32_e64 v12, null, s25, v10, vcc_lo
	global_load_b128 v[11:14], v[11:12], off
	s_wait_loadcnt 0x0
	v_fma_f64 v[5:6], v[1:2], v[11:12], v[5:6]
	v_fma_f64 v[7:8], v[3:4], v[11:12], v[7:8]
	s_delay_alu instid0(VALU_DEP_2) | instskip(NEXT) | instid1(VALU_DEP_2)
	v_fma_f64 v[5:6], -v[3:4], v[13:14], v[5:6]
	v_fma_f64 v[7:8], v[1:2], v[13:14], v[7:8]
.LBB40_115:
	s_wait_alu 0xfffe
	s_or_b32 exec_lo, exec_lo, s0
	v_add_co_u32 v0, vcc_lo, s24, v9
	s_wait_alu 0xfffd
	v_add_co_ci_u32_e64 v1, null, s25, v10, vcc_lo
	global_store_b128 v[0:1], v[5:8], off
.LBB40_116:
	s_endpgm
	.section	.rodata,"a",@progbits
	.p2align	6, 0x0
	.amdhsa_kernel _ZN9rocsparseL22csrmvn_adaptive_kernelIll21rocsparse_complex_numIdES2_S2_S2_EEvbT_PKS3_PjPKT0_NS_24const_host_device_scalarIT4_EES5_S9_PKT1_PKT2_SC_PT3_21rocsparse_index_base_b
		.amdhsa_group_segment_fixed_size 16384
		.amdhsa_private_segment_fixed_size 0
		.amdhsa_kernarg_size 120
		.amdhsa_user_sgpr_count 2
		.amdhsa_user_sgpr_dispatch_ptr 0
		.amdhsa_user_sgpr_queue_ptr 0
		.amdhsa_user_sgpr_kernarg_segment_ptr 1
		.amdhsa_user_sgpr_dispatch_id 0
		.amdhsa_user_sgpr_private_segment_size 0
		.amdhsa_wavefront_size32 1
		.amdhsa_uses_dynamic_stack 0
		.amdhsa_enable_private_segment 0
		.amdhsa_system_sgpr_workgroup_id_x 1
		.amdhsa_system_sgpr_workgroup_id_y 0
		.amdhsa_system_sgpr_workgroup_id_z 0
		.amdhsa_system_sgpr_workgroup_info 0
		.amdhsa_system_vgpr_workitem_id 0
		.amdhsa_next_free_vgpr 50
		.amdhsa_next_free_sgpr 48
		.amdhsa_reserve_vcc 1
		.amdhsa_float_round_mode_32 0
		.amdhsa_float_round_mode_16_64 0
		.amdhsa_float_denorm_mode_32 3
		.amdhsa_float_denorm_mode_16_64 3
		.amdhsa_fp16_overflow 0
		.amdhsa_workgroup_processor_mode 1
		.amdhsa_memory_ordered 1
		.amdhsa_forward_progress 1
		.amdhsa_inst_pref_size 54
		.amdhsa_round_robin_scheduling 0
		.amdhsa_exception_fp_ieee_invalid_op 0
		.amdhsa_exception_fp_denorm_src 0
		.amdhsa_exception_fp_ieee_div_zero 0
		.amdhsa_exception_fp_ieee_overflow 0
		.amdhsa_exception_fp_ieee_underflow 0
		.amdhsa_exception_fp_ieee_inexact 0
		.amdhsa_exception_int_div_zero 0
	.end_amdhsa_kernel
	.section	.text._ZN9rocsparseL22csrmvn_adaptive_kernelIll21rocsparse_complex_numIdES2_S2_S2_EEvbT_PKS3_PjPKT0_NS_24const_host_device_scalarIT4_EES5_S9_PKT1_PKT2_SC_PT3_21rocsparse_index_base_b,"axG",@progbits,_ZN9rocsparseL22csrmvn_adaptive_kernelIll21rocsparse_complex_numIdES2_S2_S2_EEvbT_PKS3_PjPKT0_NS_24const_host_device_scalarIT4_EES5_S9_PKT1_PKT2_SC_PT3_21rocsparse_index_base_b,comdat
.Lfunc_end40:
	.size	_ZN9rocsparseL22csrmvn_adaptive_kernelIll21rocsparse_complex_numIdES2_S2_S2_EEvbT_PKS3_PjPKT0_NS_24const_host_device_scalarIT4_EES5_S9_PKT1_PKT2_SC_PT3_21rocsparse_index_base_b, .Lfunc_end40-_ZN9rocsparseL22csrmvn_adaptive_kernelIll21rocsparse_complex_numIdES2_S2_S2_EEvbT_PKS3_PjPKT0_NS_24const_host_device_scalarIT4_EES5_S9_PKT1_PKT2_SC_PT3_21rocsparse_index_base_b
                                        ; -- End function
	.set _ZN9rocsparseL22csrmvn_adaptive_kernelIll21rocsparse_complex_numIdES2_S2_S2_EEvbT_PKS3_PjPKT0_NS_24const_host_device_scalarIT4_EES5_S9_PKT1_PKT2_SC_PT3_21rocsparse_index_base_b.num_vgpr, 50
	.set _ZN9rocsparseL22csrmvn_adaptive_kernelIll21rocsparse_complex_numIdES2_S2_S2_EEvbT_PKS3_PjPKT0_NS_24const_host_device_scalarIT4_EES5_S9_PKT1_PKT2_SC_PT3_21rocsparse_index_base_b.num_agpr, 0
	.set _ZN9rocsparseL22csrmvn_adaptive_kernelIll21rocsparse_complex_numIdES2_S2_S2_EEvbT_PKS3_PjPKT0_NS_24const_host_device_scalarIT4_EES5_S9_PKT1_PKT2_SC_PT3_21rocsparse_index_base_b.numbered_sgpr, 48
	.set _ZN9rocsparseL22csrmvn_adaptive_kernelIll21rocsparse_complex_numIdES2_S2_S2_EEvbT_PKS3_PjPKT0_NS_24const_host_device_scalarIT4_EES5_S9_PKT1_PKT2_SC_PT3_21rocsparse_index_base_b.num_named_barrier, 0
	.set _ZN9rocsparseL22csrmvn_adaptive_kernelIll21rocsparse_complex_numIdES2_S2_S2_EEvbT_PKS3_PjPKT0_NS_24const_host_device_scalarIT4_EES5_S9_PKT1_PKT2_SC_PT3_21rocsparse_index_base_b.private_seg_size, 0
	.set _ZN9rocsparseL22csrmvn_adaptive_kernelIll21rocsparse_complex_numIdES2_S2_S2_EEvbT_PKS3_PjPKT0_NS_24const_host_device_scalarIT4_EES5_S9_PKT1_PKT2_SC_PT3_21rocsparse_index_base_b.uses_vcc, 1
	.set _ZN9rocsparseL22csrmvn_adaptive_kernelIll21rocsparse_complex_numIdES2_S2_S2_EEvbT_PKS3_PjPKT0_NS_24const_host_device_scalarIT4_EES5_S9_PKT1_PKT2_SC_PT3_21rocsparse_index_base_b.uses_flat_scratch, 0
	.set _ZN9rocsparseL22csrmvn_adaptive_kernelIll21rocsparse_complex_numIdES2_S2_S2_EEvbT_PKS3_PjPKT0_NS_24const_host_device_scalarIT4_EES5_S9_PKT1_PKT2_SC_PT3_21rocsparse_index_base_b.has_dyn_sized_stack, 0
	.set _ZN9rocsparseL22csrmvn_adaptive_kernelIll21rocsparse_complex_numIdES2_S2_S2_EEvbT_PKS3_PjPKT0_NS_24const_host_device_scalarIT4_EES5_S9_PKT1_PKT2_SC_PT3_21rocsparse_index_base_b.has_recursion, 0
	.set _ZN9rocsparseL22csrmvn_adaptive_kernelIll21rocsparse_complex_numIdES2_S2_S2_EEvbT_PKS3_PjPKT0_NS_24const_host_device_scalarIT4_EES5_S9_PKT1_PKT2_SC_PT3_21rocsparse_index_base_b.has_indirect_call, 0
	.section	.AMDGPU.csdata,"",@progbits
; Kernel info:
; codeLenInByte = 6888
; TotalNumSgprs: 50
; NumVgprs: 50
; ScratchSize: 0
; MemoryBound: 0
; FloatMode: 240
; IeeeMode: 1
; LDSByteSize: 16384 bytes/workgroup (compile time only)
; SGPRBlocks: 0
; VGPRBlocks: 6
; NumSGPRsForWavesPerEU: 50
; NumVGPRsForWavesPerEU: 50
; Occupancy: 16
; WaveLimiterHint : 1
; COMPUTE_PGM_RSRC2:SCRATCH_EN: 0
; COMPUTE_PGM_RSRC2:USER_SGPR: 2
; COMPUTE_PGM_RSRC2:TRAP_HANDLER: 0
; COMPUTE_PGM_RSRC2:TGID_X_EN: 1
; COMPUTE_PGM_RSRC2:TGID_Y_EN: 0
; COMPUTE_PGM_RSRC2:TGID_Z_EN: 0
; COMPUTE_PGM_RSRC2:TIDIG_COMP_CNT: 0
	.section	.text._ZN9rocsparseL22partial_scale_y_kernelIl21rocsparse_complex_numIdES2_EEvT_S3_S3_NS_24const_host_device_scalarIT1_EEPT0_b,"axG",@progbits,_ZN9rocsparseL22partial_scale_y_kernelIl21rocsparse_complex_numIdES2_EEvT_S3_S3_NS_24const_host_device_scalarIT1_EEPT0_b,comdat
	.globl	_ZN9rocsparseL22partial_scale_y_kernelIl21rocsparse_complex_numIdES2_EEvT_S3_S3_NS_24const_host_device_scalarIT1_EEPT0_b ; -- Begin function _ZN9rocsparseL22partial_scale_y_kernelIl21rocsparse_complex_numIdES2_EEvT_S3_S3_NS_24const_host_device_scalarIT1_EEPT0_b
	.p2align	8
	.type	_ZN9rocsparseL22partial_scale_y_kernelIl21rocsparse_complex_numIdES2_EEvT_S3_S3_NS_24const_host_device_scalarIT1_EEPT0_b,@function
_ZN9rocsparseL22partial_scale_y_kernelIl21rocsparse_complex_numIdES2_EEvT_S3_S3_NS_24const_host_device_scalarIT1_EEPT0_b: ; @_ZN9rocsparseL22partial_scale_y_kernelIl21rocsparse_complex_numIdES2_EEvT_S3_S3_NS_24const_host_device_scalarIT1_EEPT0_b
; %bb.0:
	s_clause 0x1
	s_load_b32 s12, s[0:1], 0x30
	s_load_b256 s[4:11], s[0:1], 0x0
	s_add_nc_u64 s[2:3], s[0:1], 24
	s_wait_kmcnt 0x0
	s_bitcmp1_b32 s12, 0
	s_cselect_b32 s2, s2, s10
	s_cselect_b32 s3, s3, s11
	s_delay_alu instid0(SALU_CYCLE_1)
	v_dual_mov_b32 v1, s2 :: v_dual_mov_b32 v2, s3
	flat_load_b128 v[1:4], v[1:2]
	s_wait_loadcnt_dscnt 0x0
	v_cmp_neq_f64_e32 vcc_lo, 1.0, v[1:2]
	v_cmp_neq_f64_e64 s2, 0, v[3:4]
	s_or_b32 s2, vcc_lo, s2
	s_wait_alu 0xfffe
	s_and_saveexec_b32 s3, s2
	s_cbranch_execz .LBB41_13
; %bb.1:
	v_lshl_or_b32 v5, ttmp9, 8, v0
	v_mov_b32_e32 v6, 0
	s_add_nc_u64 s[2:3], s[6:7], s[4:5]
	s_wait_alu 0xfffe
	s_sub_nc_u64 s[2:3], s[2:3], s[8:9]
	s_wait_alu 0xfffe
	v_cmp_gt_i64_e32 vcc_lo, s[2:3], v[5:6]
	s_and_b32 exec_lo, exec_lo, vcc_lo
	s_cbranch_execz .LBB41_13
; %bb.2:
	v_cmp_neq_f64_e32 vcc_lo, 0, v[1:2]
	v_cmp_neq_f64_e64 s2, 0, v[3:4]
	s_load_b64 s[4:5], s[0:1], 0x28
	v_cmp_le_i64_e64 s0, s[6:7], v[5:6]
	s_or_b32 s1, vcc_lo, s2
	s_and_saveexec_b32 s2, s0
	s_wait_alu 0xfffe
	s_xor_b32 s0, exec_lo, s2
	s_cbranch_execz .LBB41_8
; %bb.3:
	v_sub_co_u32 v5, s2, v5, s6
	s_wait_alu 0xf1ff
	v_sub_co_ci_u32_e64 v6, null, 0, s7, s2
	s_lshl_b64 s[2:3], s[8:9], 4
	s_wait_kmcnt 0x0
	s_wait_alu 0xfffe
	s_add_nc_u64 s[2:3], s[4:5], s[2:3]
	v_lshlrev_b64_e32 v[5:6], 4, v[5:6]
	s_wait_alu 0xfffe
	s_delay_alu instid0(VALU_DEP_1) | instskip(NEXT) | instid1(VALU_DEP_1)
	v_add_co_u32 v5, vcc_lo, s2, v5
	v_add_co_ci_u32_e64 v6, null, s3, v6, vcc_lo
	s_and_saveexec_b32 s2, s1
	s_wait_alu 0xfffe
	s_xor_b32 s2, exec_lo, s2
	s_cbranch_execz .LBB41_5
; %bb.4:
	global_load_b128 v[7:10], v[5:6], off
	s_wait_loadcnt 0x0
	v_mul_f64_e64 v[11:12], v[3:4], -v[9:10]
	v_mul_f64_e32 v[3:4], v[3:4], v[7:8]
	s_delay_alu instid0(VALU_DEP_2) | instskip(NEXT) | instid1(VALU_DEP_2)
	v_fma_f64 v[7:8], v[7:8], v[1:2], v[11:12]
	v_fma_f64 v[9:10], v[9:10], v[1:2], v[3:4]
	global_store_b128 v[5:6], v[7:10], off
                                        ; implicit-def: $vgpr5_vgpr6
.LBB41_5:
	s_wait_alu 0xfffe
	s_and_not1_saveexec_b32 s2, s2
	s_cbranch_execz .LBB41_7
; %bb.6:
	v_mov_b32_e32 v0, 0
	s_delay_alu instid0(VALU_DEP_1)
	v_dual_mov_b32 v1, v0 :: v_dual_mov_b32 v2, v0
	v_mov_b32_e32 v3, v0
	global_store_b128 v[5:6], v[0:3], off
.LBB41_7:
	s_wait_alu 0xfffe
	s_or_b32 exec_lo, exec_lo, s2
                                        ; implicit-def: $vgpr5_vgpr6
                                        ; implicit-def: $vgpr3_vgpr4
.LBB41_8:
	s_wait_alu 0xfffe
	s_and_not1_saveexec_b32 s0, s0
	s_cbranch_execz .LBB41_13
; %bb.9:
	v_lshlrev_b64_e32 v[5:6], 4, v[5:6]
	s_wait_kmcnt 0x0
	s_delay_alu instid0(VALU_DEP_1) | instskip(SKIP_1) | instid1(VALU_DEP_2)
	v_add_co_u32 v5, vcc_lo, s4, v5
	s_wait_alu 0xfffd
	v_add_co_ci_u32_e64 v6, null, s5, v6, vcc_lo
	s_and_saveexec_b32 s0, s1
	s_wait_alu 0xfffe
	s_xor_b32 s0, exec_lo, s0
	s_cbranch_execz .LBB41_11
; %bb.10:
	global_load_b128 v[7:10], v[5:6], off
	s_wait_loadcnt 0x0
	v_mul_f64_e64 v[11:12], v[3:4], -v[9:10]
	v_mul_f64_e32 v[3:4], v[3:4], v[7:8]
	s_delay_alu instid0(VALU_DEP_2) | instskip(NEXT) | instid1(VALU_DEP_2)
	v_fma_f64 v[7:8], v[7:8], v[1:2], v[11:12]
	v_fma_f64 v[9:10], v[9:10], v[1:2], v[3:4]
	global_store_b128 v[5:6], v[7:10], off
                                        ; implicit-def: $vgpr5_vgpr6
.LBB41_11:
	s_wait_alu 0xfffe
	s_and_not1_saveexec_b32 s0, s0
	s_cbranch_execz .LBB41_13
; %bb.12:
	v_mov_b32_e32 v0, 0
	s_delay_alu instid0(VALU_DEP_1)
	v_dual_mov_b32 v1, v0 :: v_dual_mov_b32 v2, v0
	v_mov_b32_e32 v3, v0
	global_store_b128 v[5:6], v[0:3], off
.LBB41_13:
	s_endpgm
	.section	.rodata,"a",@progbits
	.p2align	6, 0x0
	.amdhsa_kernel _ZN9rocsparseL22partial_scale_y_kernelIl21rocsparse_complex_numIdES2_EEvT_S3_S3_NS_24const_host_device_scalarIT1_EEPT0_b
		.amdhsa_group_segment_fixed_size 0
		.amdhsa_private_segment_fixed_size 0
		.amdhsa_kernarg_size 52
		.amdhsa_user_sgpr_count 2
		.amdhsa_user_sgpr_dispatch_ptr 0
		.amdhsa_user_sgpr_queue_ptr 0
		.amdhsa_user_sgpr_kernarg_segment_ptr 1
		.amdhsa_user_sgpr_dispatch_id 0
		.amdhsa_user_sgpr_private_segment_size 0
		.amdhsa_wavefront_size32 1
		.amdhsa_uses_dynamic_stack 0
		.amdhsa_enable_private_segment 0
		.amdhsa_system_sgpr_workgroup_id_x 1
		.amdhsa_system_sgpr_workgroup_id_y 0
		.amdhsa_system_sgpr_workgroup_id_z 0
		.amdhsa_system_sgpr_workgroup_info 0
		.amdhsa_system_vgpr_workitem_id 0
		.amdhsa_next_free_vgpr 13
		.amdhsa_next_free_sgpr 13
		.amdhsa_reserve_vcc 1
		.amdhsa_float_round_mode_32 0
		.amdhsa_float_round_mode_16_64 0
		.amdhsa_float_denorm_mode_32 3
		.amdhsa_float_denorm_mode_16_64 3
		.amdhsa_fp16_overflow 0
		.amdhsa_workgroup_processor_mode 1
		.amdhsa_memory_ordered 1
		.amdhsa_forward_progress 1
		.amdhsa_inst_pref_size 5
		.amdhsa_round_robin_scheduling 0
		.amdhsa_exception_fp_ieee_invalid_op 0
		.amdhsa_exception_fp_denorm_src 0
		.amdhsa_exception_fp_ieee_div_zero 0
		.amdhsa_exception_fp_ieee_overflow 0
		.amdhsa_exception_fp_ieee_underflow 0
		.amdhsa_exception_fp_ieee_inexact 0
		.amdhsa_exception_int_div_zero 0
	.end_amdhsa_kernel
	.section	.text._ZN9rocsparseL22partial_scale_y_kernelIl21rocsparse_complex_numIdES2_EEvT_S3_S3_NS_24const_host_device_scalarIT1_EEPT0_b,"axG",@progbits,_ZN9rocsparseL22partial_scale_y_kernelIl21rocsparse_complex_numIdES2_EEvT_S3_S3_NS_24const_host_device_scalarIT1_EEPT0_b,comdat
.Lfunc_end41:
	.size	_ZN9rocsparseL22partial_scale_y_kernelIl21rocsparse_complex_numIdES2_EEvT_S3_S3_NS_24const_host_device_scalarIT1_EEPT0_b, .Lfunc_end41-_ZN9rocsparseL22partial_scale_y_kernelIl21rocsparse_complex_numIdES2_EEvT_S3_S3_NS_24const_host_device_scalarIT1_EEPT0_b
                                        ; -- End function
	.set _ZN9rocsparseL22partial_scale_y_kernelIl21rocsparse_complex_numIdES2_EEvT_S3_S3_NS_24const_host_device_scalarIT1_EEPT0_b.num_vgpr, 13
	.set _ZN9rocsparseL22partial_scale_y_kernelIl21rocsparse_complex_numIdES2_EEvT_S3_S3_NS_24const_host_device_scalarIT1_EEPT0_b.num_agpr, 0
	.set _ZN9rocsparseL22partial_scale_y_kernelIl21rocsparse_complex_numIdES2_EEvT_S3_S3_NS_24const_host_device_scalarIT1_EEPT0_b.numbered_sgpr, 13
	.set _ZN9rocsparseL22partial_scale_y_kernelIl21rocsparse_complex_numIdES2_EEvT_S3_S3_NS_24const_host_device_scalarIT1_EEPT0_b.num_named_barrier, 0
	.set _ZN9rocsparseL22partial_scale_y_kernelIl21rocsparse_complex_numIdES2_EEvT_S3_S3_NS_24const_host_device_scalarIT1_EEPT0_b.private_seg_size, 0
	.set _ZN9rocsparseL22partial_scale_y_kernelIl21rocsparse_complex_numIdES2_EEvT_S3_S3_NS_24const_host_device_scalarIT1_EEPT0_b.uses_vcc, 1
	.set _ZN9rocsparseL22partial_scale_y_kernelIl21rocsparse_complex_numIdES2_EEvT_S3_S3_NS_24const_host_device_scalarIT1_EEPT0_b.uses_flat_scratch, 0
	.set _ZN9rocsparseL22partial_scale_y_kernelIl21rocsparse_complex_numIdES2_EEvT_S3_S3_NS_24const_host_device_scalarIT1_EEPT0_b.has_dyn_sized_stack, 0
	.set _ZN9rocsparseL22partial_scale_y_kernelIl21rocsparse_complex_numIdES2_EEvT_S3_S3_NS_24const_host_device_scalarIT1_EEPT0_b.has_recursion, 0
	.set _ZN9rocsparseL22partial_scale_y_kernelIl21rocsparse_complex_numIdES2_EEvT_S3_S3_NS_24const_host_device_scalarIT1_EEPT0_b.has_indirect_call, 0
	.section	.AMDGPU.csdata,"",@progbits
; Kernel info:
; codeLenInByte = 544
; TotalNumSgprs: 15
; NumVgprs: 13
; ScratchSize: 0
; MemoryBound: 0
; FloatMode: 240
; IeeeMode: 1
; LDSByteSize: 0 bytes/workgroup (compile time only)
; SGPRBlocks: 0
; VGPRBlocks: 1
; NumSGPRsForWavesPerEU: 15
; NumVGPRsForWavesPerEU: 13
; Occupancy: 16
; WaveLimiterHint : 0
; COMPUTE_PGM_RSRC2:SCRATCH_EN: 0
; COMPUTE_PGM_RSRC2:USER_SGPR: 2
; COMPUTE_PGM_RSRC2:TRAP_HANDLER: 0
; COMPUTE_PGM_RSRC2:TGID_X_EN: 1
; COMPUTE_PGM_RSRC2:TGID_Y_EN: 0
; COMPUTE_PGM_RSRC2:TGID_Z_EN: 0
; COMPUTE_PGM_RSRC2:TIDIG_COMP_CNT: 0
	.section	.text._ZN9rocsparseL27csrmvn_symm_adaptive_kernelIll21rocsparse_complex_numIdES2_S2_S2_EEvbT_S3_PKS3_NS_24const_host_device_scalarIT4_EES5_PKT0_PKT1_PKT2_S8_PT3_21rocsparse_index_base_b,"axG",@progbits,_ZN9rocsparseL27csrmvn_symm_adaptive_kernelIll21rocsparse_complex_numIdES2_S2_S2_EEvbT_S3_PKS3_NS_24const_host_device_scalarIT4_EES5_PKT0_PKT1_PKT2_S8_PT3_21rocsparse_index_base_b,comdat
	.globl	_ZN9rocsparseL27csrmvn_symm_adaptive_kernelIll21rocsparse_complex_numIdES2_S2_S2_EEvbT_S3_PKS3_NS_24const_host_device_scalarIT4_EES5_PKT0_PKT1_PKT2_S8_PT3_21rocsparse_index_base_b ; -- Begin function _ZN9rocsparseL27csrmvn_symm_adaptive_kernelIll21rocsparse_complex_numIdES2_S2_S2_EEvbT_S3_PKS3_NS_24const_host_device_scalarIT4_EES5_PKT0_PKT1_PKT2_S8_PT3_21rocsparse_index_base_b
	.p2align	8
	.type	_ZN9rocsparseL27csrmvn_symm_adaptive_kernelIll21rocsparse_complex_numIdES2_S2_S2_EEvbT_S3_PKS3_NS_24const_host_device_scalarIT4_EES5_PKT0_PKT1_PKT2_S8_PT3_21rocsparse_index_base_b,@function
_ZN9rocsparseL27csrmvn_symm_adaptive_kernelIll21rocsparse_complex_numIdES2_S2_S2_EEvbT_S3_PKS3_NS_24const_host_device_scalarIT4_EES5_PKT0_PKT1_PKT2_S8_PT3_21rocsparse_index_base_b: ; @_ZN9rocsparseL27csrmvn_symm_adaptive_kernelIll21rocsparse_complex_numIdES2_S2_S2_EEvbT_S3_PKS3_NS_24const_host_device_scalarIT4_EES5_PKT0_PKT1_PKT2_S8_PT3_21rocsparse_index_base_b
; %bb.0:
	s_clause 0x1
	s_load_b64 s[26:27], s[0:1], 0x68
	s_load_b64 s[4:5], s[0:1], 0x20
	s_add_nc_u64 s[6:7], s[0:1], 32
	s_wait_kmcnt 0x0
	s_bitcmp1_b32 s27, 0
	s_cselect_b32 s3, -1, 0
	s_delay_alu instid0(SALU_CYCLE_1) | instskip(SKIP_2) | instid1(SALU_CYCLE_1)
	s_and_b32 s2, s3, exec_lo
	s_cselect_b32 s2, s6, s4
	s_cselect_b32 s4, s7, s5
	v_dual_mov_b32 v1, s2 :: v_dual_mov_b32 v2, s4
	flat_load_b128 v[2:5], v[1:2]
	s_wait_loadcnt_dscnt 0x0
	v_cmp_eq_f64_e32 vcc_lo, 0, v[2:3]
	v_cmp_eq_f64_e64 s2, 0, v[4:5]
	s_and_b32 s5, vcc_lo, s2
	s_mov_b32 s2, -1
	s_wait_alu 0xfffe
	s_and_saveexec_b32 s4, s5
	s_cbranch_execz .LBB42_2
; %bb.1:
	s_load_b64 s[6:7], s[0:1], 0x50
	s_add_nc_u64 s[8:9], s[0:1], 0x50
	s_and_b32 s2, s3, exec_lo
	s_wait_kmcnt 0x0
	s_cselect_b32 s2, s8, s6
	s_cselect_b32 s3, s9, s7
	s_wait_alu 0xfffe
	v_dual_mov_b32 v6, s2 :: v_dual_mov_b32 v7, s3
	flat_load_b128 v[6:9], v[6:7]
	s_wait_loadcnt_dscnt 0x0
	v_cmp_neq_f64_e32 vcc_lo, 1.0, v[6:7]
	v_cmp_neq_f64_e64 s2, 0, v[8:9]
	s_or_b32 s2, vcc_lo, s2
	s_wait_alu 0xfffe
	s_or_not1_b32 s2, s2, exec_lo
.LBB42_2:
	s_wait_alu 0xfffe
	s_or_b32 exec_lo, exec_lo, s4
	s_and_saveexec_b32 s3, s2
	s_cbranch_execz .LBB42_199
; %bb.3:
	s_clause 0x1
	s_load_b32 s2, s[0:1], 0x0
	s_load_b64 s[10:11], s[0:1], 0x18
	s_mov_b32 s27, 0
	s_mov_b32 s8, ttmp9
	s_mov_b32 s7, s27
	s_mov_b32 s4, s27
	;; [unrolled: 1-line block ×4, first 2 shown]
	v_dual_mov_b32 v9, s7 :: v_dual_lshlrev_b32 v26, 4, v0
	s_wait_alu 0xfffe
	v_dual_mov_b32 v8, s6 :: v_dual_mov_b32 v7, s5
	v_mov_b32_e32 v6, s4
	ds_store_b128 v26, v[6:9]
	ds_store_b128 v26, v[6:9] offset:4096
	ds_store_b128 v26, v[6:9] offset:8192
	;; [unrolled: 1-line block ×3, first 2 shown]
	s_wait_dscnt 0x0
	s_barrier_signal -1
	s_wait_kmcnt 0x0
	s_bitcmp1_b32 s2, 0
	s_barrier_wait -1
	s_cselect_b32 s2, -1, 0
	s_ashr_i32 s9, ttmp9, 31
	global_inv scope:SCOPE_SE
	s_lshl_b64 s[4:5], s[8:9], 3
	s_wait_alu 0xfffe
	s_add_nc_u64 s[4:5], s[10:11], s[4:5]
	s_load_b128 s[20:23], s[4:5], 0x0
	s_clause 0x1
	s_load_b64 s[10:11], s[0:1], 0x60
	s_load_b256 s[12:19], s[0:1], 0x30
	s_wait_kmcnt 0x0
	s_sub_nc_u64 s[24:25], s[22:23], s[20:21]
	s_delay_alu instid0(SALU_CYCLE_1)
	v_cmp_gt_i64_e64 s3, s[24:25], 2
	s_and_b32 vcc_lo, exec_lo, s3
	s_mov_b32 s3, -1
	s_cbranch_vccnz .LBB42_47
; %bb.4:
	v_cmp_le_i64_e64 s3, s[22:23], s[20:21]
	v_sub_co_u32 v1, s4, v0, s26
	v_mov_b32_e32 v17, 0
	s_wait_alu 0xf1ff
	v_sub_co_ci_u32_e64 v16, null, 0, 0, s4
	s_wait_alu 0xfffe
	s_and_b32 vcc_lo, exec_lo, s3
	s_cbranch_vccnz .LBB42_34
; %bb.5:
	v_cmp_gt_u32_e64 s3, 0x100, v0
	v_cmp_gt_u32_e64 s4, 64, v0
	;; [unrolled: 1-line block ×4, first 2 shown]
	v_cmp_eq_u32_e64 s7, 0, v0
	s_add_nc_u64 s[28:29], s[16:17], 8
	s_mov_b64 s[30:31], s[20:21]
	s_branch .LBB42_7
.LBB42_6:                               ;   in Loop: Header=BB42_7 Depth=1
	s_or_b32 exec_lo, exec_lo, s33
	s_add_nc_u64 s[30:31], s[30:31], 1
	s_wait_alu 0xfffe
	v_cmp_ge_i64_e64 s8, s[30:31], s[22:23]
	s_and_b32 vcc_lo, exec_lo, s8
	s_wait_alu 0xfffe
	s_cbranch_vccnz .LBB42_34
.LBB42_7:                               ; =>This Loop Header: Depth=1
                                        ;     Child Loop BB42_9 Depth 2
                                        ;     Child Loop BB42_23 Depth 2
	;; [unrolled: 1-line block ×5, first 2 shown]
	s_lshl_b64 s[8:9], s[30:31], 3
	v_mov_b32_e32 v8, 0
	s_wait_alu 0xfffe
	s_add_nc_u64 s[8:9], s[12:13], s[8:9]
	v_dual_mov_b32 v9, 0 :: v_dual_mov_b32 v6, 0
	s_load_b128 s[36:39], s[8:9], 0x0
	v_mov_b32_e32 v7, 0
	s_mov_b32 s9, exec_lo
	s_wait_kmcnt 0x0
	v_add_co_u32 v10, vcc_lo, s36, v1
	s_wait_alu 0xfffd
	v_add_co_ci_u32_e64 v11, null, s37, v16, vcc_lo
	s_sub_nc_u64 s[34:35], s[38:39], s[26:27]
	s_wait_alu 0xfffe
	v_cmpx_gt_i64_e64 s[34:35], v[10:11]
	s_cbranch_execz .LBB42_11
; %bb.8:                                ;   in Loop: Header=BB42_7 Depth=1
	v_lshlrev_b64_e32 v[6:7], 3, v[10:11]
	v_lshlrev_b64_e32 v[14:15], 4, v[10:11]
	v_mov_b32_e32 v8, 0
	v_mov_b32_e32 v9, 0
	s_mov_b32 s33, 0
	s_delay_alu instid0(VALU_DEP_4)
	v_add_co_u32 v12, vcc_lo, s14, v6
	s_wait_alu 0xfffd
	v_add_co_ci_u32_e64 v13, null, s15, v7, vcc_lo
	v_add_co_u32 v14, vcc_lo, s28, v14
	s_wait_alu 0xfffd
	v_add_co_ci_u32_e64 v15, null, s29, v15, vcc_lo
	v_dual_mov_b32 v6, v8 :: v_dual_mov_b32 v7, v9
.LBB42_9:                               ;   Parent Loop BB42_7 Depth=1
                                        ; =>  This Inner Loop Header: Depth=2
	global_load_b64 v[18:19], v[12:13], off
	s_wait_loadcnt 0x0
	v_sub_co_u32 v18, vcc_lo, v18, s26
	s_wait_alu 0xfffd
	v_subrev_co_ci_u32_e64 v19, null, 0, v19, vcc_lo
	s_delay_alu instid0(VALU_DEP_1)
	v_lshlrev_b64_e32 v[22:23], 4, v[18:19]
	global_load_b128 v[18:21], v[14:15], off offset:-8
	v_add_co_u32 v14, s8, 0x1000, v14
	s_wait_alu 0xf1ff
	v_add_co_ci_u32_e64 v15, null, 0, v15, s8
	v_add_co_u32 v22, vcc_lo, s18, v22
	s_wait_alu 0xfffd
	v_add_co_ci_u32_e64 v23, null, s19, v23, vcc_lo
	v_add_co_u32 v10, vcc_lo, 0x100, v10
	s_wait_alu 0xfffd
	v_add_co_ci_u32_e64 v11, null, 0, v11, vcc_lo
	global_load_b128 v[22:25], v[22:23], off
	v_add_co_u32 v12, vcc_lo, 0x800, v12
	s_wait_alu 0xfffd
	v_add_co_ci_u32_e64 v13, null, 0, v13, vcc_lo
	v_cmp_le_i64_e32 vcc_lo, s[34:35], v[10:11]
	s_or_b32 s33, vcc_lo, s33
	s_wait_loadcnt 0x1
	v_xor_b32_e32 v27, 0x80000000, v21
	s_delay_alu instid0(VALU_DEP_1) | instskip(SKIP_2) | instid1(VALU_DEP_2)
	v_cndmask_b32_e64 v21, v21, v27, s2
	s_wait_loadcnt 0x0
	v_fma_f64 v[6:7], v[18:19], v[22:23], v[6:7]
	v_fma_f64 v[8:9], v[20:21], v[22:23], v[8:9]
	s_delay_alu instid0(VALU_DEP_2) | instskip(NEXT) | instid1(VALU_DEP_2)
	v_fma_f64 v[6:7], -v[20:21], v[24:25], v[6:7]
	v_fma_f64 v[8:9], v[18:19], v[24:25], v[8:9]
	s_and_not1_b32 exec_lo, exec_lo, s33
	s_cbranch_execnz .LBB42_9
; %bb.10:                               ;   in Loop: Header=BB42_7 Depth=1
	s_or_b32 exec_lo, exec_lo, s33
.LBB42_11:                              ;   in Loop: Header=BB42_7 Depth=1
	s_delay_alu instid0(SALU_CYCLE_1)
	s_or_b32 exec_lo, exec_lo, s9
	ds_store_b128 v26, v[6:9]
	s_wait_loadcnt_dscnt 0x0
	s_barrier_signal -1
	s_barrier_wait -1
	global_inv scope:SCOPE_SE
	s_and_saveexec_b32 s8, s3
	s_cbranch_execz .LBB42_13
; %bb.12:                               ;   in Loop: Header=BB42_7 Depth=1
	ds_load_b128 v[6:9], v26 offset:4096
	ds_load_b128 v[10:13], v26 offset:8192
	ds_load_b128 v[18:21], v26 offset:12288
	ds_load_b128 v[22:25], v26
	s_wait_dscnt 0x2
	v_add_f64_e32 v[6:7], v[10:11], v[6:7]
	v_add_f64_e32 v[8:9], v[12:13], v[8:9]
	s_wait_dscnt 0x1
	s_delay_alu instid0(VALU_DEP_2) | instskip(NEXT) | instid1(VALU_DEP_2)
	v_add_f64_e32 v[6:7], v[6:7], v[18:19]
	v_add_f64_e32 v[8:9], v[8:9], v[20:21]
	s_wait_dscnt 0x0
	s_delay_alu instid0(VALU_DEP_2) | instskip(NEXT) | instid1(VALU_DEP_2)
	v_add_f64_e32 v[6:7], v[6:7], v[22:23]
	v_add_f64_e32 v[8:9], v[8:9], v[24:25]
	ds_store_b128 v26, v[6:9]
.LBB42_13:                              ;   in Loop: Header=BB42_7 Depth=1
	s_wait_alu 0xfffe
	s_or_b32 exec_lo, exec_lo, s8
	s_wait_loadcnt_dscnt 0x0
	s_barrier_signal -1
	s_barrier_wait -1
	global_inv scope:SCOPE_SE
	s_and_saveexec_b32 s8, s4
	s_cbranch_execz .LBB42_15
; %bb.14:                               ;   in Loop: Header=BB42_7 Depth=1
	ds_load_b128 v[6:9], v26 offset:1024
	ds_load_b128 v[10:13], v26 offset:2048
	ds_load_b128 v[18:21], v26 offset:3072
	ds_load_b128 v[22:25], v26
	s_wait_dscnt 0x2
	v_add_f64_e32 v[6:7], v[10:11], v[6:7]
	v_add_f64_e32 v[8:9], v[12:13], v[8:9]
	s_wait_dscnt 0x1
	s_delay_alu instid0(VALU_DEP_2) | instskip(NEXT) | instid1(VALU_DEP_2)
	v_add_f64_e32 v[6:7], v[6:7], v[18:19]
	v_add_f64_e32 v[8:9], v[8:9], v[20:21]
	s_wait_dscnt 0x0
	s_delay_alu instid0(VALU_DEP_2) | instskip(NEXT) | instid1(VALU_DEP_2)
	v_add_f64_e32 v[6:7], v[6:7], v[22:23]
	v_add_f64_e32 v[8:9], v[8:9], v[24:25]
	ds_store_b128 v26, v[6:9]
.LBB42_15:                              ;   in Loop: Header=BB42_7 Depth=1
	s_wait_alu 0xfffe
	s_or_b32 exec_lo, exec_lo, s8
	;; [unrolled: 26-line block ×5, first 2 shown]
	s_wait_loadcnt_dscnt 0x0
	s_barrier_signal -1
	s_barrier_wait -1
	global_inv scope:SCOPE_SE
	s_and_saveexec_b32 s33, s7
	s_cbranch_execz .LBB42_6
; %bb.22:                               ;   in Loop: Header=BB42_7 Depth=1
	ds_load_b128 v[6:9], v17
	v_mov_b32_e32 v14, 0
	v_bfrev_b32_e32 v15, 1
	s_mov_b32 s8, exec_lo
	s_wait_dscnt 0x0
	v_mul_f64_e64 v[10:11], v[8:9], -v[4:5]
	s_delay_alu instid0(VALU_DEP_1)
	v_fma_f64 v[10:11], v[2:3], v[6:7], v[10:11]
.LBB42_23:                              ;   Parent Loop BB42_7 Depth=1
                                        ; =>  This Inner Loop Header: Depth=2
	s_wait_alu 0xfffe
	s_ctz_i32_b32 s9, s8
	s_wait_alu 0xfffe
	s_delay_alu instid0(VALU_DEP_1) | instskip(NEXT) | instid1(VALU_DEP_2)
	v_readlane_b32 s35, v11, s9
	v_readlane_b32 s34, v10, s9
	s_lshl_b32 s9, 1, s9
	s_wait_alu 0xfffe
	s_and_not1_b32 s8, s8, s9
	v_add_f64_e32 v[14:15], s[34:35], v[14:15]
	s_wait_alu 0xfffe
	s_cmp_lg_u32 s8, 0
	s_cbranch_scc1 .LBB42_23
; %bb.24:                               ;   in Loop: Header=BB42_7 Depth=1
	v_mbcnt_lo_u32_b32 v10, exec_lo, 0
	s_lshl_b64 s[8:9], s[30:31], 4
	s_mov_b32 s34, exec_lo
	s_wait_alu 0xfffe
	s_add_nc_u64 s[8:9], s[10:11], s[8:9]
	v_cmpx_eq_u32_e32 0, v10
	s_xor_b32 s34, exec_lo, s34
	s_cbranch_execz .LBB42_28
; %bb.25:                               ;   in Loop: Header=BB42_7 Depth=1
	global_load_b64 v[12:13], v17, s[8:9]
	s_mov_b32 s35, 0
.LBB42_26:                              ;   Parent Loop BB42_7 Depth=1
                                        ; =>  This Inner Loop Header: Depth=2
	s_wait_loadcnt 0x0
	v_add_f64_e32 v[10:11], v[12:13], v[14:15]
	global_atomic_cmpswap_b64 v[10:11], v17, v[10:13], s[8:9] th:TH_ATOMIC_RETURN scope:SCOPE_DEV
	s_wait_loadcnt 0x0
	v_cmp_eq_u64_e32 vcc_lo, v[10:11], v[12:13]
	v_dual_mov_b32 v13, v11 :: v_dual_mov_b32 v12, v10
	s_wait_alu 0xfffe
	s_or_b32 s35, vcc_lo, s35
	s_wait_alu 0xfffe
	s_and_not1_b32 exec_lo, exec_lo, s35
	s_cbranch_execnz .LBB42_26
; %bb.27:                               ;   in Loop: Header=BB42_7 Depth=1
	s_or_b32 exec_lo, exec_lo, s35
.LBB42_28:                              ;   in Loop: Header=BB42_7 Depth=1
	s_wait_alu 0xfffe
	s_or_b32 exec_lo, exec_lo, s34
	v_mul_f64_e32 v[8:9], v[2:3], v[8:9]
	v_mov_b32_e32 v10, 0
	v_bfrev_b32_e32 v11, 1
	s_mov_b32 s34, exec_lo
	s_delay_alu instid0(VALU_DEP_3)
	v_fma_f64 v[6:7], v[4:5], v[6:7], v[8:9]
.LBB42_29:                              ;   Parent Loop BB42_7 Depth=1
                                        ; =>  This Inner Loop Header: Depth=2
	s_wait_alu 0xfffe
	s_ctz_i32_b32 s35, s34
	s_wait_alu 0xfffe
	s_delay_alu instid0(VALU_DEP_1) | instskip(NEXT) | instid1(VALU_DEP_2)
	v_readlane_b32 s37, v7, s35
	v_readlane_b32 s36, v6, s35
	s_lshl_b32 s35, 1, s35
	s_wait_alu 0xfffe
	s_and_not1_b32 s34, s34, s35
	v_add_f64_e32 v[10:11], s[36:37], v[10:11]
	s_wait_alu 0xfffe
	s_cmp_lg_u32 s34, 0
	s_cbranch_scc1 .LBB42_29
; %bb.30:                               ;   in Loop: Header=BB42_7 Depth=1
	v_mbcnt_lo_u32_b32 v6, exec_lo, 0
	s_mov_b32 s34, exec_lo
	s_delay_alu instid0(VALU_DEP_1)
	v_cmpx_eq_u32_e32 0, v6
	s_wait_alu 0xfffe
	s_xor_b32 s34, exec_lo, s34
	s_cbranch_execz .LBB42_6
; %bb.31:                               ;   in Loop: Header=BB42_7 Depth=1
	global_load_b64 v[8:9], v17, s[8:9] offset:8
	s_mov_b32 s34, 0
.LBB42_32:                              ;   Parent Loop BB42_7 Depth=1
                                        ; =>  This Inner Loop Header: Depth=2
	s_wait_loadcnt 0x0
	v_add_f64_e32 v[6:7], v[8:9], v[10:11]
	global_atomic_cmpswap_b64 v[6:7], v17, v[6:9], s[8:9] offset:8 th:TH_ATOMIC_RETURN scope:SCOPE_DEV
	s_wait_loadcnt 0x0
	v_cmp_eq_u64_e32 vcc_lo, v[6:7], v[8:9]
	v_dual_mov_b32 v9, v7 :: v_dual_mov_b32 v8, v6
	s_wait_alu 0xfffe
	s_or_b32 s34, vcc_lo, s34
	s_wait_alu 0xfffe
	s_and_not1_b32 exec_lo, exec_lo, s34
	s_cbranch_execnz .LBB42_32
; %bb.33:                               ;   in Loop: Header=BB42_7 Depth=1
	s_or_b32 exec_lo, exec_lo, s34
	s_branch .LBB42_6
.LBB42_34:
	s_lshl_b64 s[4:5], s[20:21], 3
	s_lshl_b64 s[6:7], s[22:23], 3
	s_wait_alu 0xfffe
	s_add_nc_u64 s[4:5], s[12:13], s[4:5]
	s_add_nc_u64 s[6:7], s[12:13], s[6:7]
	s_clause 0x1
	s_load_b64 s[4:5], s[4:5], 0x0
	s_load_b64 s[6:7], s[6:7], 0x0
	s_mov_b32 s8, exec_lo
	s_wait_kmcnt 0x0
	v_add_co_u32 v14, vcc_lo, s4, v1
	s_wait_alu 0xfffd
	v_add_co_ci_u32_e64 v15, null, s5, v16, vcc_lo
	s_sub_nc_u64 s[4:5], s[6:7], s[26:27]
	s_wait_alu 0xfffe
	v_cmpx_gt_i64_e64 s[4:5], v[14:15]
	s_cbranch_execz .LBB42_46
; %bb.35:
	s_add_nc_u64 s[6:7], s[22:23], -1
	s_add_nc_u64 s[28:29], s[22:23], -2
	s_wait_alu 0xfffe
	v_cmp_lt_i64_e64 s3, s[20:21], s[6:7]
	s_cmp_lg_u64 s[20:21], s[28:29]
	s_mov_b32 s27, 0
	s_cselect_b32 s9, -1, 0
	s_wait_alu 0xfffe
	s_and_b32 s9, s3, s9
	s_branch .LBB42_37
.LBB42_36:                              ;   in Loop: Header=BB42_37 Depth=1
	s_wait_alu 0xfffe
	s_or_b32 exec_lo, exec_lo, s3
	v_add_co_u32 v14, vcc_lo, 0x100, v14
	s_wait_alu 0xfffd
	v_add_co_ci_u32_e64 v15, null, 0, v15, vcc_lo
	s_delay_alu instid0(VALU_DEP_1)
	v_cmp_le_i64_e32 vcc_lo, s[4:5], v[14:15]
	s_or_b32 s27, vcc_lo, s27
	s_wait_alu 0xfffe
	s_and_not1_b32 exec_lo, exec_lo, s27
	s_cbranch_execz .LBB42_46
.LBB42_37:                              ; =>This Loop Header: Depth=1
                                        ;     Child Loop BB42_39 Depth 2
                                        ;     Child Loop BB42_43 Depth 2
	;; [unrolled: 1-line block ×3, first 2 shown]
	v_dual_mov_b32 v6, s20 :: v_dual_mov_b32 v7, s21
	v_dual_mov_b32 v9, s7 :: v_dual_mov_b32 v8, s6
	s_wait_alu 0xfffe
	s_and_not1_b32 vcc_lo, exec_lo, s9
	s_wait_alu 0xfffe
	s_cbranch_vccnz .LBB42_41
; %bb.38:                               ;   in Loop: Header=BB42_37 Depth=1
	v_dual_mov_b32 v6, s20 :: v_dual_mov_b32 v7, s21
	v_dual_mov_b32 v9, s7 :: v_dual_mov_b32 v8, s6
	s_mov_b32 s28, 0
.LBB42_39:                              ;   Parent Loop BB42_37 Depth=1
                                        ; =>  This Inner Loop Header: Depth=2
	s_delay_alu instid0(VALU_DEP_1) | instskip(SKIP_1) | instid1(VALU_DEP_2)
	v_add_co_u32 v1, vcc_lo, v8, v6
	s_wait_alu 0xfffd
	v_add_co_ci_u32_e64 v11, null, v9, v7, vcc_lo
	s_delay_alu instid0(VALU_DEP_1) | instskip(NEXT) | instid1(VALU_DEP_1)
	v_lshrrev_b32_e32 v10, 31, v11
	v_add_co_u32 v10, vcc_lo, v1, v10
	s_wait_alu 0xfffd
	v_add_co_ci_u32_e64 v11, null, 0, v11, vcc_lo
	s_delay_alu instid0(VALU_DEP_1) | instskip(NEXT) | instid1(VALU_DEP_1)
	v_ashrrev_i64 v[10:11], 1, v[10:11]
	v_lshlrev_b64_e32 v[12:13], 3, v[10:11]
	s_delay_alu instid0(VALU_DEP_1) | instskip(SKIP_1) | instid1(VALU_DEP_2)
	v_add_co_u32 v12, vcc_lo, s12, v12
	s_wait_alu 0xfffd
	v_add_co_ci_u32_e64 v13, null, s13, v13, vcc_lo
	global_load_b64 v[12:13], v[12:13], off
	s_wait_loadcnt 0x0
	v_sub_co_u32 v12, vcc_lo, v12, s26
	s_wait_alu 0xfffd
	v_subrev_co_ci_u32_e64 v13, null, 0, v13, vcc_lo
	s_delay_alu instid0(VALU_DEP_1) | instskip(SKIP_3) | instid1(VALU_DEP_2)
	v_cmp_lt_i64_e32 vcc_lo, v[14:15], v[12:13]
	s_wait_alu 0xfffd
	v_dual_cndmask_b32 v9, v9, v11 :: v_dual_cndmask_b32 v8, v8, v10
	v_dual_cndmask_b32 v7, v11, v7 :: v_dual_cndmask_b32 v6, v10, v6
	v_add_co_u32 v10, vcc_lo, v8, -1
	s_wait_alu 0xfffd
	s_delay_alu instid0(VALU_DEP_3) | instskip(NEXT) | instid1(VALU_DEP_3)
	v_add_co_ci_u32_e64 v11, null, -1, v9, vcc_lo
	v_cmp_ge_i64_e32 vcc_lo, v[6:7], v[8:9]
	s_delay_alu instid0(VALU_DEP_2)
	v_cmp_eq_u64_e64 s3, v[6:7], v[10:11]
	s_or_b32 s3, vcc_lo, s3
	s_wait_alu 0xfffe
	s_and_b32 s3, exec_lo, s3
	s_wait_alu 0xfffe
	s_or_b32 s28, s3, s28
	s_wait_alu 0xfffe
	s_and_not1_b32 exec_lo, exec_lo, s28
	s_cbranch_execnz .LBB42_39
; %bb.40:                               ;   in Loop: Header=BB42_37 Depth=1
	s_or_b32 exec_lo, exec_lo, s28
.LBB42_41:                              ;   in Loop: Header=BB42_37 Depth=1
	v_lshlrev_b64_e32 v[10:11], 3, v[8:9]
	v_lshlrev_b64_e32 v[12:13], 3, v[14:15]
	s_mov_b32 s3, exec_lo
	s_delay_alu instid0(VALU_DEP_2) | instskip(SKIP_1) | instid1(VALU_DEP_3)
	v_add_co_u32 v10, vcc_lo, s12, v10
	s_wait_alu 0xfffd
	v_add_co_ci_u32_e64 v11, null, s13, v11, vcc_lo
	s_delay_alu instid0(VALU_DEP_3)
	v_add_co_u32 v12, vcc_lo, s14, v12
	s_wait_alu 0xfffd
	v_add_co_ci_u32_e64 v13, null, s15, v13, vcc_lo
	global_load_b64 v[10:11], v[10:11], off
	global_load_b64 v[12:13], v[12:13], off
	s_wait_loadcnt 0x1
	v_sub_co_u32 v10, vcc_lo, v10, s26
	s_wait_alu 0xfffd
	v_subrev_co_ci_u32_e64 v11, null, 0, v11, vcc_lo
	s_delay_alu instid0(VALU_DEP_1)
	v_cmp_lt_i64_e32 vcc_lo, v[14:15], v[10:11]
	s_wait_alu 0xfffd
	v_dual_cndmask_b32 v7, v9, v7 :: v_dual_cndmask_b32 v6, v8, v6
	s_wait_loadcnt 0x0
	v_sub_co_u32 v10, vcc_lo, v12, s26
	s_wait_alu 0xfffd
	v_subrev_co_ci_u32_e64 v11, null, 0, v13, vcc_lo
	s_delay_alu instid0(VALU_DEP_1)
	v_cmpx_ne_u64_e64 v[10:11], v[6:7]
	s_cbranch_execz .LBB42_36
; %bb.42:                               ;   in Loop: Header=BB42_37 Depth=1
	v_lshlrev_b64_e32 v[8:9], 4, v[14:15]
	v_lshlrev_b64_e32 v[6:7], 4, v[6:7]
	;; [unrolled: 1-line block ×3, first 2 shown]
	s_mov_b32 s28, 0
	s_delay_alu instid0(VALU_DEP_3)
	v_add_co_u32 v8, vcc_lo, s16, v8
	s_wait_alu 0xfffd
	v_add_co_ci_u32_e64 v9, null, s17, v9, vcc_lo
	v_add_co_u32 v6, vcc_lo, s18, v6
	s_wait_alu 0xfffd
	v_add_co_ci_u32_e64 v7, null, s19, v7, vcc_lo
	global_load_b128 v[20:23], v[8:9], off
	v_add_co_u32 v16, vcc_lo, s10, v10
	global_load_b128 v[6:9], v[6:7], off
	s_wait_alu 0xfffd
	v_add_co_ci_u32_e64 v17, null, s11, v11, vcc_lo
	global_load_b64 v[12:13], v[16:17], off
	s_wait_loadcnt 0x2
	v_xor_b32_e32 v1, 0x80000000, v23
	s_delay_alu instid0(VALU_DEP_1) | instskip(NEXT) | instid1(VALU_DEP_1)
	v_cndmask_b32_e64 v23, v23, v1, s2
	v_mul_f64_e32 v[10:11], v[2:3], v[22:23]
	v_mul_f64_e64 v[22:23], v[22:23], -v[4:5]
	s_delay_alu instid0(VALU_DEP_2) | instskip(NEXT) | instid1(VALU_DEP_2)
	v_fma_f64 v[18:19], v[4:5], v[20:21], v[10:11]
	v_fma_f64 v[20:21], v[2:3], v[20:21], v[22:23]
	s_wait_loadcnt 0x1
	s_delay_alu instid0(VALU_DEP_2) | instskip(NEXT) | instid1(VALU_DEP_1)
	v_mul_f64_e64 v[10:11], v[8:9], -v[18:19]
	v_fma_f64 v[22:23], v[20:21], v[6:7], v[10:11]
.LBB42_43:                              ;   Parent Loop BB42_37 Depth=1
                                        ; =>  This Inner Loop Header: Depth=2
	s_wait_loadcnt 0x0
	s_delay_alu instid0(VALU_DEP_1)
	v_add_f64_e32 v[10:11], v[12:13], v[22:23]
	global_atomic_cmpswap_b64 v[10:11], v[16:17], v[10:13], off th:TH_ATOMIC_RETURN scope:SCOPE_DEV
	s_wait_loadcnt 0x0
	v_cmp_eq_u64_e32 vcc_lo, v[10:11], v[12:13]
	v_dual_mov_b32 v13, v11 :: v_dual_mov_b32 v12, v10
	s_wait_alu 0xfffe
	s_or_b32 s28, vcc_lo, s28
	s_wait_alu 0xfffe
	s_and_not1_b32 exec_lo, exec_lo, s28
	s_cbranch_execnz .LBB42_43
; %bb.44:                               ;   in Loop: Header=BB42_37 Depth=1
	s_or_b32 exec_lo, exec_lo, s28
	global_load_b64 v[10:11], v[16:17], off offset:8
	v_mul_f64_e32 v[8:9], v[8:9], v[20:21]
	s_mov_b32 s28, 0
	s_delay_alu instid0(VALU_DEP_1)
	v_fma_f64 v[6:7], v[18:19], v[6:7], v[8:9]
.LBB42_45:                              ;   Parent Loop BB42_37 Depth=1
                                        ; =>  This Inner Loop Header: Depth=2
	s_wait_loadcnt 0x0
	s_delay_alu instid0(VALU_DEP_1)
	v_add_f64_e32 v[8:9], v[10:11], v[6:7]
	global_atomic_cmpswap_b64 v[8:9], v[16:17], v[8:11], off offset:8 th:TH_ATOMIC_RETURN scope:SCOPE_DEV
	s_wait_loadcnt 0x0
	v_cmp_eq_u64_e32 vcc_lo, v[8:9], v[10:11]
	v_dual_mov_b32 v11, v9 :: v_dual_mov_b32 v10, v8
	s_wait_alu 0xfffe
	s_or_b32 s28, vcc_lo, s28
	s_wait_alu 0xfffe
	s_and_not1_b32 exec_lo, exec_lo, s28
	s_cbranch_execnz .LBB42_45
	s_branch .LBB42_36
.LBB42_46:
	s_or_b32 exec_lo, exec_lo, s8
	s_mov_b32 s3, 0
.LBB42_47:
	s_wait_alu 0xfffe
	s_and_b32 vcc_lo, exec_lo, s3
	s_wait_alu 0xfffe
	s_cbranch_vccz .LBB42_199
; %bb.48:
	s_load_b32 s3, s[0:1], 0x7c
	s_mov_b32 s27, 0
	s_mov_b64 s[34:35], 0
	s_wait_alu 0xfffe
	s_mov_b32 s29, s27
	s_wait_kmcnt 0x0
	s_and_b32 s28, s3, 0xffff
	s_wait_alu 0xfffe
	v_cmp_lt_u64_e64 s3, s[28:29], s[24:25]
	s_and_b32 vcc_lo, exec_lo, s3
	s_wait_alu 0xfffe
	s_cbranch_vccnz .LBB42_50
; %bb.49:
	v_cvt_f32_u32_e32 v1, s24
	s_sub_co_i32 s4, 0, s24
	s_delay_alu instid0(VALU_DEP_1) | instskip(NEXT) | instid1(TRANS32_DEP_1)
	v_rcp_iflag_f32_e32 v1, v1
	v_mul_f32_e32 v1, 0x4f7ffffe, v1
	s_delay_alu instid0(VALU_DEP_1) | instskip(NEXT) | instid1(VALU_DEP_1)
	v_cvt_u32_f32_e32 v1, v1
	v_readfirstlane_b32 s3, v1
	s_wait_alu 0xfffe
	s_mul_i32 s4, s4, s3
	s_wait_alu 0xfffe
	s_mul_hi_u32 s4, s3, s4
	s_wait_alu 0xfffe
	s_add_co_i32 s3, s3, s4
	s_wait_alu 0xfffe
	s_mul_hi_u32 s3, s28, s3
	s_wait_alu 0xfffe
	s_mul_i32 s4, s3, s24
	s_add_co_i32 s5, s3, 1
	s_wait_alu 0xfffe
	s_sub_co_i32 s4, s28, s4
	s_wait_alu 0xfffe
	s_sub_co_i32 s6, s4, s24
	s_cmp_ge_u32 s4, s24
	s_cselect_b32 s3, s5, s3
	s_wait_alu 0xfffe
	s_cselect_b32 s4, s6, s4
	s_add_co_i32 s5, s3, 1
	s_wait_alu 0xfffe
	s_cmp_ge_u32 s4, s24
	s_cselect_b32 s34, s5, s3
.LBB42_50:
	s_lshl_b64 s[4:5], s[20:21], 3
	s_wait_alu 0xfffe
	s_add_nc_u64 s[30:31], s[12:13], s[4:5]
	s_load_b64 s[8:9], s[30:31], 0x0
	s_load_b128 s[4:7], s[0:1], 0x8
	v_sub_co_u32 v1, s0, v0, s26
	s_delay_alu instid0(VALU_DEP_1) | instskip(SKIP_1) | instid1(VALU_DEP_2)
	v_sub_co_ci_u32_e64 v6, null, 0, 0, s0
	s_wait_kmcnt 0x0
	v_add_co_u32 v14, vcc_lo, s8, v1
	s_wait_alu 0xfffd
	s_delay_alu instid0(VALU_DEP_2) | instskip(SKIP_1) | instid1(VALU_DEP_3)
	v_add_co_ci_u32_e64 v15, null, s9, v6, vcc_lo
	v_mov_b32_e32 v1, 0
	v_add_co_u32 v16, vcc_lo, 0x300, v14
	s_wait_alu 0xfffd
	s_delay_alu instid0(VALU_DEP_3) | instskip(NEXT) | instid1(VALU_DEP_1)
	v_add_co_ci_u32_e64 v17, null, 0, v15, vcc_lo
	v_cmp_le_i64_e32 vcc_lo, s[4:5], v[16:17]
	s_and_saveexec_b32 s0, vcc_lo
	s_wait_alu 0xfffe
	s_xor_b32 s3, exec_lo, s0
	s_cbranch_execnz .LBB42_53
; %bb.51:
	s_wait_alu 0xfffe
	s_and_not1_saveexec_b32 s1, s3
	s_cbranch_execnz .LBB42_57
.LBB42_52:
	s_wait_alu 0xfffe
	s_or_b32 exec_lo, exec_lo, s1
	s_delay_alu instid0(SALU_CYCLE_1)
	s_mov_b32 s1, exec_lo
	v_cmpx_gt_i64_e64 s[6:7], v[0:1]
	s_cbranch_execnz .LBB42_58
	s_branch .LBB42_60
.LBB42_53:
	s_lshl_b64 s[0:1], s[22:23], 3
	s_mov_b32 s29, exec_lo
	s_wait_alu 0xfffe
	s_add_nc_u64 s[0:1], s[12:13], s[0:1]
	s_load_b64 s[0:1], s[0:1], 0x0
	s_wait_kmcnt 0x0
	s_sub_nc_u64 s[4:5], s[0:1], s[8:9]
	s_wait_alu 0xfffe
	v_cmpx_gt_i64_e64 s[4:5], v[0:1]
	s_cbranch_execz .LBB42_56
; %bb.54:
	v_lshlrev_b64_e32 v[6:7], 4, v[14:15]
	v_dual_mov_b32 v10, v26 :: v_dual_mov_b32 v9, v1
	v_mov_b32_e32 v8, v0
	s_mov_b32 s33, 0
	s_delay_alu instid0(VALU_DEP_3) | instskip(SKIP_2) | instid1(VALU_DEP_2)
	v_add_co_u32 v6, s0, s16, v6
	s_wait_alu 0xf1ff
	v_add_co_ci_u32_e64 v7, null, s17, v7, s0
	v_add_co_u32 v6, s0, v6, 8
	s_wait_alu 0xf1ff
	s_delay_alu instid0(VALU_DEP_2)
	v_add_co_ci_u32_e64 v7, null, 0, v7, s0
.LBB42_55:                              ; =>This Inner Loop Header: Depth=1
	global_load_b128 v[18:21], v[6:7], off offset:-8
	v_add_co_u32 v8, s0, 0x100, v8
	s_wait_alu 0xf1ff
	v_add_co_ci_u32_e64 v9, null, 0, v9, s0
	v_add_co_u32 v6, s0, 0x1000, v6
	s_wait_alu 0xf1ff
	v_add_co_ci_u32_e64 v7, null, 0, v7, s0
	s_delay_alu instid0(VALU_DEP_3) | instskip(SKIP_3) | instid1(VALU_DEP_1)
	v_cmp_le_i64_e64 s1, s[4:5], v[8:9]
	s_or_b32 s33, s1, s33
	s_wait_loadcnt 0x0
	v_xor_b32_e32 v11, 0x80000000, v21
	v_cndmask_b32_e64 v21, v21, v11, s2
	s_delay_alu instid0(VALU_DEP_1) | instskip(SKIP_1) | instid1(VALU_DEP_2)
	v_mul_f64_e64 v[11:12], v[20:21], -v[4:5]
	v_mul_f64_e32 v[22:23], v[2:3], v[20:21]
	v_fma_f64 v[20:21], v[2:3], v[18:19], v[11:12]
	s_delay_alu instid0(VALU_DEP_2)
	v_fma_f64 v[22:23], v[4:5], v[18:19], v[22:23]
	ds_store_b128 v10, v[20:23]
	v_add_nc_u32_e32 v10, 0x1000, v10
	s_and_not1_b32 exec_lo, exec_lo, s33
	s_cbranch_execnz .LBB42_55
.LBB42_56:
	s_or_b32 exec_lo, exec_lo, s29
                                        ; implicit-def: $vgpr4_vgpr5
	s_and_not1_saveexec_b32 s1, s3
	s_cbranch_execz .LBB42_52
.LBB42_57:
	v_lshlrev_b64_e32 v[6:7], 4, v[14:15]
	s_delay_alu instid0(VALU_DEP_1) | instskip(SKIP_1) | instid1(VALU_DEP_2)
	v_add_co_u32 v22, s0, s16, v6
	s_wait_alu 0xf1ff
	v_add_co_ci_u32_e64 v23, null, s17, v7, s0
	s_clause 0x3
	global_load_b128 v[6:9], v[22:23], off
	global_load_b128 v[10:13], v[22:23], off offset:4096
	global_load_b128 v[18:21], v[22:23], off offset:8192
	;; [unrolled: 1-line block ×3, first 2 shown]
	s_wait_loadcnt 0x3
	v_xor_b32_e32 v27, 0x80000000, v9
	s_wait_loadcnt 0x2
	v_xor_b32_e32 v28, 0x80000000, v13
	;; [unrolled: 2-line block ×4, first 2 shown]
	v_cndmask_b32_e64 v9, v9, v27, s2
	v_cndmask_b32_e64 v13, v13, v28, s2
	;; [unrolled: 1-line block ×3, first 2 shown]
	s_delay_alu instid0(VALU_DEP_4) | instskip(NEXT) | instid1(VALU_DEP_4)
	v_cndmask_b32_e64 v25, v25, v30, s2
	v_mul_f64_e64 v[27:28], v[8:9], -v[4:5]
	v_mul_f64_e32 v[8:9], v[2:3], v[8:9]
	v_mul_f64_e64 v[31:32], v[12:13], -v[4:5]
	v_mul_f64_e32 v[12:13], v[2:3], v[12:13]
	;; [unrolled: 2-line block ×4, first 2 shown]
	v_fma_f64 v[27:28], v[2:3], v[6:7], v[27:28]
	v_fma_f64 v[29:30], v[4:5], v[6:7], v[8:9]
	;; [unrolled: 1-line block ×8, first 2 shown]
	ds_store_b128 v26, v[27:30]
	ds_store_b128 v26, v[6:9] offset:4096
	ds_store_b128 v26, v[10:13] offset:8192
	;; [unrolled: 1-line block ×3, first 2 shown]
	s_wait_alu 0xfffe
	s_or_b32 exec_lo, exec_lo, s1
	s_delay_alu instid0(SALU_CYCLE_1)
	s_mov_b32 s1, exec_lo
	v_cmpx_gt_i64_e64 s[6:7], v[0:1]
	s_cbranch_execz .LBB42_60
.LBB42_58:
	s_mov_b32 s2, 0
	v_lshl_add_u32 v8, v0, 4, 0x4000
	s_wait_alu 0xfffe
	s_mov_b32 s3, s2
	s_mov_b32 s4, s2
	;; [unrolled: 1-line block ×3, first 2 shown]
	s_wait_alu 0xfffe
	v_dual_mov_b32 v2, s2 :: v_dual_mov_b32 v3, s3
	v_dual_mov_b32 v4, s4 :: v_dual_mov_b32 v5, s5
	;; [unrolled: 1-line block ×3, first 2 shown]
.LBB42_59:                              ; =>This Inner Loop Header: Depth=1
	s_delay_alu instid0(VALU_DEP_1) | instskip(SKIP_1) | instid1(VALU_DEP_2)
	v_add_co_u32 v6, s0, 0x100, v6
	s_wait_alu 0xf1ff
	v_add_co_ci_u32_e64 v7, null, 0, v7, s0
	ds_store_2addr_b64 v8, v[2:3], v[4:5] offset1:1
	v_add_nc_u32_e32 v8, 0x1000, v8
	v_cmp_le_i64_e64 s0, s[6:7], v[6:7]
	s_or_b32 s2, s0, s2
	s_wait_alu 0xfffe
	s_and_not1_b32 exec_lo, exec_lo, s2
	s_cbranch_execnz .LBB42_59
.LBB42_60:
	s_wait_alu 0xfffe
	s_or_b32 exec_lo, exec_lo, s1
	v_cmp_ge_i64_e64 s2, s[22:23], s[6:7]
	s_sub_nc_u64 s[0:1], s[22:23], s[6:7]
	s_wait_loadcnt_dscnt 0x0
	s_barrier_signal -1
	s_barrier_wait -1
	global_inv scope:SCOPE_SE
	s_and_b32 s2, s2, exec_lo
	s_wait_alu 0xfffe
	s_cselect_b32 s3, s1, 0
	s_cselect_b32 s2, s0, 0
	s_and_saveexec_b32 s0, vcc_lo
	s_wait_alu 0xfffe
	s_xor_b32 s29, exec_lo, s0
	s_cbranch_execz .LBB42_85
; %bb.61:
	s_lshl_b64 s[0:1], s[22:23], 3
	s_mov_b32 s33, exec_lo
	s_wait_alu 0xfffe
	s_add_nc_u64 s[0:1], s[12:13], s[0:1]
	s_load_b64 s[0:1], s[0:1], 0x0
	s_wait_kmcnt 0x0
	s_sub_nc_u64 s[4:5], s[0:1], s[8:9]
	s_wait_alu 0xfffe
	v_cmpx_gt_i64_e64 s[4:5], v[0:1]
	s_cbranch_execz .LBB42_84
; %bb.62:
	s_add_nc_u64 s[16:17], s[22:23], -2
	s_sub_nc_u64 s[36:37], s[0:1], s[26:27]
	s_wait_alu 0xfffe
	s_cmp_lg_u64 s[20:21], s[16:17]
	s_add_nc_u64 s[16:17], s[22:23], -1
	s_cselect_b32 s35, -1, 0
	s_mov_b64 s[38:39], 0
	s_mov_b32 s1, 0
	s_branch .LBB42_65
.LBB42_63:                              ;   in Loop: Header=BB42_65 Depth=1
	s_wait_alu 0xfffe
	s_or_b32 exec_lo, exec_lo, s0
.LBB42_64:                              ;   in Loop: Header=BB42_65 Depth=1
	s_delay_alu instid0(SALU_CYCLE_1) | instskip(SKIP_2) | instid1(VALU_DEP_1)
	s_or_b32 exec_lo, exec_lo, s40
	v_lshlrev_b64_e32 v[6:7], 4, v[16:17]
	s_add_nc_u64 s[38:39], s[38:39], 0x100
	v_add_co_u32 v6, vcc_lo, s18, v6
	s_wait_alu 0xfffd
	s_delay_alu instid0(VALU_DEP_2) | instskip(SKIP_4) | instid1(VALU_DEP_2)
	v_add_co_ci_u32_e64 v7, null, s19, v7, vcc_lo
	global_load_b128 v[6:9], v[6:7], off
	s_wait_loadcnt 0x0
	v_mul_f64_e32 v[10:11], v[8:9], v[18:19]
	v_mul_f64_e32 v[8:9], v[8:9], v[2:3]
	v_fma_f64 v[2:3], v[2:3], v[6:7], v[10:11]
	s_delay_alu instid0(VALU_DEP_2) | instskip(SKIP_4) | instid1(VALU_DEP_1)
	v_fma_f64 v[4:5], v[4:5], v[6:7], v[8:9]
	s_wait_alu 0xfffe
	v_add_co_u32 v6, s0, s38, v0
	s_wait_alu 0xf1ff
	v_add_co_ci_u32_e64 v7, null, s39, 0, s0
	v_cmp_le_i64_e32 vcc_lo, s[4:5], v[6:7]
	v_lshlrev_b32_e32 v6, 4, v24
	s_or_b32 s1, vcc_lo, s1
	ds_store_b128 v6, v[2:5]
	s_wait_alu 0xfffe
	s_and_not1_b32 exec_lo, exec_lo, s1
	s_cbranch_execz .LBB42_84
.LBB42_65:                              ; =>This Loop Header: Depth=1
                                        ;     Child Loop BB42_67 Depth 2
                                        ;     Child Loop BB42_74 Depth 2
	;; [unrolled: 1-line block ×5, first 2 shown]
	v_add_co_u32 v2, vcc_lo, s38, v14
	s_wait_alu 0xfffd
	v_add_co_ci_u32_e64 v3, null, s39, v15, vcc_lo
	v_dual_mov_b32 v4, s20 :: v_dual_mov_b32 v5, s21
	s_wait_alu 0xfffe
	v_dual_mov_b32 v6, s16 :: v_dual_mov_b32 v7, s17
	s_and_not1_b32 vcc_lo, exec_lo, s35
	s_wait_alu 0xfffe
	s_cbranch_vccnz .LBB42_69
; %bb.66:                               ;   in Loop: Header=BB42_65 Depth=1
	v_dual_mov_b32 v4, s20 :: v_dual_mov_b32 v5, s21
	v_dual_mov_b32 v6, s16 :: v_dual_mov_b32 v7, s17
	s_mov_b32 s40, 0
.LBB42_67:                              ;   Parent Loop BB42_65 Depth=1
                                        ; =>  This Inner Loop Header: Depth=2
	s_delay_alu instid0(VALU_DEP_1) | instskip(SKIP_1) | instid1(VALU_DEP_2)
	v_add_co_u32 v8, vcc_lo, v6, v4
	s_wait_alu 0xfffd
	v_add_co_ci_u32_e64 v9, null, v7, v5, vcc_lo
	s_delay_alu instid0(VALU_DEP_1) | instskip(NEXT) | instid1(VALU_DEP_1)
	v_lshrrev_b32_e32 v10, 31, v9
	v_add_co_u32 v8, vcc_lo, v8, v10
	s_wait_alu 0xfffd
	v_add_co_ci_u32_e64 v9, null, 0, v9, vcc_lo
	s_delay_alu instid0(VALU_DEP_1) | instskip(NEXT) | instid1(VALU_DEP_1)
	v_ashrrev_i64 v[8:9], 1, v[8:9]
	v_lshlrev_b64_e32 v[10:11], 3, v[8:9]
	s_delay_alu instid0(VALU_DEP_1) | instskip(SKIP_1) | instid1(VALU_DEP_2)
	v_add_co_u32 v10, vcc_lo, s12, v10
	s_wait_alu 0xfffd
	v_add_co_ci_u32_e64 v11, null, s13, v11, vcc_lo
	global_load_b64 v[10:11], v[10:11], off
	s_wait_loadcnt 0x0
	v_sub_co_u32 v10, vcc_lo, v10, s26
	s_wait_alu 0xfffd
	v_subrev_co_ci_u32_e64 v11, null, 0, v11, vcc_lo
	s_delay_alu instid0(VALU_DEP_1) | instskip(SKIP_3) | instid1(VALU_DEP_2)
	v_cmp_lt_i64_e32 vcc_lo, v[2:3], v[10:11]
	s_wait_alu 0xfffd
	v_dual_cndmask_b32 v7, v7, v9 :: v_dual_cndmask_b32 v6, v6, v8
	v_dual_cndmask_b32 v5, v9, v5 :: v_dual_cndmask_b32 v4, v8, v4
	v_add_co_u32 v8, vcc_lo, v6, -1
	s_wait_alu 0xfffd
	s_delay_alu instid0(VALU_DEP_3) | instskip(NEXT) | instid1(VALU_DEP_3)
	v_add_co_ci_u32_e64 v9, null, -1, v7, vcc_lo
	v_cmp_ge_i64_e32 vcc_lo, v[4:5], v[6:7]
	s_delay_alu instid0(VALU_DEP_2)
	v_cmp_eq_u64_e64 s0, v[4:5], v[8:9]
	s_or_b32 s0, vcc_lo, s0
	s_wait_alu 0xfffe
	s_and_b32 s0, exec_lo, s0
	s_wait_alu 0xfffe
	s_or_b32 s40, s0, s40
	s_delay_alu instid0(SALU_CYCLE_1)
	s_and_not1_b32 exec_lo, exec_lo, s40
	s_cbranch_execnz .LBB42_67
; %bb.68:                               ;   in Loop: Header=BB42_65 Depth=1
	s_or_b32 exec_lo, exec_lo, s40
.LBB42_69:                              ;   in Loop: Header=BB42_65 Depth=1
	s_delay_alu instid0(VALU_DEP_1) | instskip(SKIP_2) | instid1(VALU_DEP_3)
	v_lshlrev_b64_e32 v[8:9], 3, v[6:7]
	v_lshlrev_b64_e32 v[10:11], 3, v[2:3]
	v_add_co_u32 v24, null, s38, v0
                                        ; implicit-def: $vgpr18_vgpr19
	v_add_co_u32 v8, vcc_lo, s12, v8
	s_wait_alu 0xfffd
	s_delay_alu instid0(VALU_DEP_4) | instskip(NEXT) | instid1(VALU_DEP_4)
	v_add_co_ci_u32_e64 v9, null, s13, v9, vcc_lo
	v_add_co_u32 v10, vcc_lo, s14, v10
	s_wait_alu 0xfffd
	v_add_co_ci_u32_e64 v11, null, s15, v11, vcc_lo
	global_load_b64 v[8:9], v[8:9], off
	global_load_b64 v[10:11], v[10:11], off
	s_wait_loadcnt 0x1
	v_sub_co_u32 v8, vcc_lo, v8, s26
	s_wait_alu 0xfffd
	v_subrev_co_ci_u32_e64 v9, null, 0, v9, vcc_lo
	s_wait_loadcnt 0x0
	v_sub_co_u32 v16, s0, v10, s26
	s_wait_alu 0xf1ff
	v_subrev_co_ci_u32_e64 v17, null, 0, v11, s0
	v_cmp_lt_i64_e32 vcc_lo, v[2:3], v[8:9]
	v_cmp_le_i64_e64 s0, s[36:37], v[2:3]
	s_wait_alu 0xfffd
	v_dual_cndmask_b32 v7, v7, v5 :: v_dual_lshlrev_b32 v10, 4, v24
	v_cndmask_b32_e32 v6, v6, v4, vcc_lo
                                        ; implicit-def: $vgpr2_vgpr3
	s_delay_alu instid0(VALU_DEP_1) | instskip(SKIP_3) | instid1(SALU_CYCLE_1)
	v_cmp_eq_u64_e32 vcc_lo, v[16:17], v[6:7]
	s_or_b32 s0, vcc_lo, s0
	s_wait_alu 0xfffe
	s_and_saveexec_b32 s40, s0
	s_xor_b32 s0, exec_lo, s40
	s_cbranch_execz .LBB42_71
; %bb.70:                               ;   in Loop: Header=BB42_65 Depth=1
	ds_load_b128 v[2:5], v10
                                        ; implicit-def: $vgpr6_vgpr7
                                        ; implicit-def: $vgpr10
	s_wait_dscnt 0x0
	v_xor_b32_e32 v19, 0x80000000, v5
	v_mov_b32_e32 v18, v4
.LBB42_71:                              ;   in Loop: Header=BB42_65 Depth=1
	s_wait_alu 0xfffe
	s_and_not1_saveexec_b32 s40, s0
	s_cbranch_execz .LBB42_64
; %bb.72:                               ;   in Loop: Header=BB42_65 Depth=1
	v_cmp_gt_i64_e32 vcc_lo, s[2:3], v[16:17]
	v_cmp_le_i64_e64 s0, s[22:23], v[16:17]
	v_lshlrev_b64_e32 v[6:7], 4, v[6:7]
                                        ; implicit-def: $vgpr2_vgpr3
                                        ; implicit-def: $vgpr18_vgpr19
	s_or_b32 s0, vcc_lo, s0
	s_wait_alu 0xfffe
	s_and_saveexec_b32 s41, s0
	s_delay_alu instid0(SALU_CYCLE_1)
	s_xor_b32 s0, exec_lo, s41
	s_cbranch_execz .LBB42_78
; %bb.73:                               ;   in Loop: Header=BB42_65 Depth=1
	v_add_co_u32 v2, vcc_lo, s18, v6
	s_wait_alu 0xfffd
	v_add_co_ci_u32_e64 v3, null, s19, v7, vcc_lo
	s_mov_b32 s41, 0
	global_load_b128 v[6:9], v[2:3], off
	v_lshlrev_b64_e32 v[2:3], 4, v[16:17]
	s_delay_alu instid0(VALU_DEP_1) | instskip(SKIP_1) | instid1(VALU_DEP_2)
	v_add_co_u32 v20, vcc_lo, s10, v2
	s_wait_alu 0xfffd
	v_add_co_ci_u32_e64 v21, null, s11, v3, vcc_lo
	ds_load_b128 v[2:5], v10
	global_load_b64 v[12:13], v[20:21], off
	s_wait_dscnt 0x0
	v_xor_b32_e32 v19, 0x80000000, v5
	v_mov_b32_e32 v18, v4
	s_wait_loadcnt 0x1
	v_mul_f64_e64 v[10:11], v[8:9], -v[4:5]
	s_delay_alu instid0(VALU_DEP_1)
	v_fma_f64 v[22:23], v[2:3], v[6:7], v[10:11]
.LBB42_74:                              ;   Parent Loop BB42_65 Depth=1
                                        ; =>  This Inner Loop Header: Depth=2
	s_wait_loadcnt 0x0
	s_delay_alu instid0(VALU_DEP_1)
	v_add_f64_e32 v[10:11], v[12:13], v[22:23]
	global_atomic_cmpswap_b64 v[10:11], v[20:21], v[10:13], off th:TH_ATOMIC_RETURN scope:SCOPE_DEV
	s_wait_loadcnt 0x0
	v_cmp_eq_u64_e32 vcc_lo, v[10:11], v[12:13]
	v_dual_mov_b32 v13, v11 :: v_dual_mov_b32 v12, v10
	s_or_b32 s41, vcc_lo, s41
	s_delay_alu instid0(SALU_CYCLE_1)
	s_and_not1_b32 exec_lo, exec_lo, s41
	s_cbranch_execnz .LBB42_74
; %bb.75:                               ;   in Loop: Header=BB42_65 Depth=1
	s_or_b32 exec_lo, exec_lo, s41
	global_load_b64 v[10:11], v[20:21], off offset:8
	v_mul_f64_e32 v[8:9], v[8:9], v[2:3]
	s_mov_b32 s41, 0
	s_delay_alu instid0(VALU_DEP_1)
	v_fma_f64 v[6:7], v[4:5], v[6:7], v[8:9]
.LBB42_76:                              ;   Parent Loop BB42_65 Depth=1
                                        ; =>  This Inner Loop Header: Depth=2
	s_wait_loadcnt 0x0
	s_delay_alu instid0(VALU_DEP_1)
	v_add_f64_e32 v[8:9], v[10:11], v[6:7]
	global_atomic_cmpswap_b64 v[8:9], v[20:21], v[8:11], off offset:8 th:TH_ATOMIC_RETURN scope:SCOPE_DEV
	s_wait_loadcnt 0x0
	v_cmp_eq_u64_e32 vcc_lo, v[8:9], v[10:11]
	v_dual_mov_b32 v11, v9 :: v_dual_mov_b32 v10, v8
	s_or_b32 s41, vcc_lo, s41
	s_delay_alu instid0(SALU_CYCLE_1)
	s_and_not1_b32 exec_lo, exec_lo, s41
	s_cbranch_execnz .LBB42_76
; %bb.77:                               ;   in Loop: Header=BB42_65 Depth=1
	s_or_b32 exec_lo, exec_lo, s41
                                        ; implicit-def: $vgpr6_vgpr7
                                        ; implicit-def: $vgpr10
.LBB42_78:                              ;   in Loop: Header=BB42_65 Depth=1
	s_wait_alu 0xfffe
	s_and_not1_saveexec_b32 s0, s0
	s_cbranch_execz .LBB42_63
; %bb.79:                               ;   in Loop: Header=BB42_65 Depth=1
	v_add_co_u32 v2, vcc_lo, s18, v6
	s_wait_alu 0xfffd
	v_add_co_ci_u32_e64 v3, null, s19, v7, vcc_lo
	v_subrev_nc_u32_e32 v12, s2, v16
	s_mov_b32 s41, 0
	global_load_b128 v[6:9], v[2:3], off
	ds_load_b128 v[2:5], v10
	v_lshl_add_u32 v20, v12, 4, 0x4000
	ds_load_b64 v[12:13], v20
	s_wait_dscnt 0x1
	v_xor_b32_e32 v19, 0x80000000, v5
	v_mov_b32_e32 v18, v4
	s_wait_loadcnt 0x0
	v_mul_f64_e64 v[10:11], v[8:9], -v[4:5]
	s_delay_alu instid0(VALU_DEP_1)
	v_fma_f64 v[10:11], v[2:3], v[6:7], v[10:11]
.LBB42_80:                              ;   Parent Loop BB42_65 Depth=1
                                        ; =>  This Inner Loop Header: Depth=2
	s_wait_dscnt 0x0
	s_delay_alu instid0(VALU_DEP_1)
	v_add_f64_e32 v[21:22], v[12:13], v[10:11]
	ds_cmpstore_rtn_b64 v[21:22], v20, v[21:22], v[12:13]
	s_wait_dscnt 0x0
	v_cmp_eq_u64_e32 vcc_lo, v[21:22], v[12:13]
	v_dual_mov_b32 v12, v21 :: v_dual_mov_b32 v13, v22
	s_or_b32 s41, vcc_lo, s41
	s_delay_alu instid0(SALU_CYCLE_1)
	s_and_not1_b32 exec_lo, exec_lo, s41
	s_cbranch_execnz .LBB42_80
; %bb.81:                               ;   in Loop: Header=BB42_65 Depth=1
	s_or_b32 exec_lo, exec_lo, s41
	v_mul_f64_e32 v[8:9], v[8:9], v[2:3]
	s_mov_b32 s41, 0
	s_delay_alu instid0(VALU_DEP_1)
	v_fma_f64 v[6:7], v[4:5], v[6:7], v[8:9]
	ds_load_b64 v[8:9], v20 offset:8
.LBB42_82:                              ;   Parent Loop BB42_65 Depth=1
                                        ; =>  This Inner Loop Header: Depth=2
	s_wait_dscnt 0x0
	v_add_f64_e32 v[10:11], v[8:9], v[6:7]
	ds_cmpstore_rtn_b64 v[10:11], v20, v[10:11], v[8:9] offset:8
	s_wait_dscnt 0x0
	v_cmp_eq_u64_e32 vcc_lo, v[10:11], v[8:9]
	v_dual_mov_b32 v8, v10 :: v_dual_mov_b32 v9, v11
	s_or_b32 s41, vcc_lo, s41
	s_delay_alu instid0(SALU_CYCLE_1)
	s_and_not1_b32 exec_lo, exec_lo, s41
	s_cbranch_execnz .LBB42_82
; %bb.83:                               ;   in Loop: Header=BB42_65 Depth=1
	s_or_b32 exec_lo, exec_lo, s41
	s_branch .LBB42_63
.LBB42_84:
	s_or_b32 exec_lo, exec_lo, s33
                                        ; implicit-def: $vgpr16_vgpr17
                                        ; implicit-def: $vgpr14
.LBB42_85:
	s_wait_alu 0xfffe
	s_and_not1_saveexec_b32 s1, s29
	s_cbranch_execz .LBB42_159
; %bb.86:
	s_add_nc_u64 s[4:5], s[22:23], -1
	s_add_nc_u64 s[36:37], s[22:23], -2
	v_dual_mov_b32 v2, s20 :: v_dual_mov_b32 v3, s21
	s_wait_alu 0xfffe
	v_dual_mov_b32 v4, s4 :: v_dual_mov_b32 v5, s5
	s_cmp_lg_u64 s[20:21], s[36:37]
	s_cselect_b32 s16, -1, 0
	s_cmp_eq_u64 s[20:21], s[36:37]
	s_cbranch_scc1 .LBB42_90
; %bb.87:
	v_dual_mov_b32 v2, s20 :: v_dual_mov_b32 v3, s21
	v_dual_mov_b32 v4, s4 :: v_dual_mov_b32 v5, s5
	s_mov_b32 s17, 0
.LBB42_88:                              ; =>This Inner Loop Header: Depth=1
	s_delay_alu instid0(VALU_DEP_1) | instskip(SKIP_1) | instid1(VALU_DEP_2)
	v_add_co_u32 v6, vcc_lo, v4, v2
	s_wait_alu 0xfffd
	v_add_co_ci_u32_e64 v7, null, v5, v3, vcc_lo
	s_delay_alu instid0(VALU_DEP_1) | instskip(NEXT) | instid1(VALU_DEP_1)
	v_lshrrev_b32_e32 v8, 31, v7
	v_add_co_u32 v6, vcc_lo, v6, v8
	s_wait_alu 0xfffd
	v_add_co_ci_u32_e64 v7, null, 0, v7, vcc_lo
	s_delay_alu instid0(VALU_DEP_1) | instskip(NEXT) | instid1(VALU_DEP_1)
	v_ashrrev_i64 v[6:7], 1, v[6:7]
	v_lshlrev_b64_e32 v[8:9], 3, v[6:7]
	s_delay_alu instid0(VALU_DEP_1) | instskip(SKIP_1) | instid1(VALU_DEP_2)
	v_add_co_u32 v8, vcc_lo, s12, v8
	s_wait_alu 0xfffd
	v_add_co_ci_u32_e64 v9, null, s13, v9, vcc_lo
	global_load_b64 v[8:9], v[8:9], off
	s_wait_loadcnt 0x0
	v_sub_co_u32 v8, vcc_lo, v8, s26
	s_wait_alu 0xfffd
	v_subrev_co_ci_u32_e64 v9, null, 0, v9, vcc_lo
	s_delay_alu instid0(VALU_DEP_1) | instskip(SKIP_3) | instid1(VALU_DEP_2)
	v_cmp_lt_i64_e32 vcc_lo, v[14:15], v[8:9]
	s_wait_alu 0xfffd
	v_dual_cndmask_b32 v5, v5, v7 :: v_dual_cndmask_b32 v4, v4, v6
	v_dual_cndmask_b32 v3, v7, v3 :: v_dual_cndmask_b32 v2, v6, v2
	v_add_co_u32 v6, vcc_lo, v4, -1
	s_wait_alu 0xfffd
	s_delay_alu instid0(VALU_DEP_3) | instskip(NEXT) | instid1(VALU_DEP_3)
	v_add_co_ci_u32_e64 v7, null, -1, v5, vcc_lo
	v_cmp_ge_i64_e32 vcc_lo, v[2:3], v[4:5]
	s_delay_alu instid0(VALU_DEP_2)
	v_cmp_eq_u64_e64 s0, v[2:3], v[6:7]
	s_or_b32 s0, vcc_lo, s0
	s_wait_alu 0xfffe
	s_and_b32 s0, exec_lo, s0
	s_wait_alu 0xfffe
	s_or_b32 s17, s0, s17
	s_wait_alu 0xfffe
	s_and_not1_b32 exec_lo, exec_lo, s17
	s_cbranch_execnz .LBB42_88
; %bb.89:
	s_or_b32 exec_lo, exec_lo, s17
.LBB42_90:
	v_lshlrev_b64_e32 v[6:7], 3, v[4:5]
	v_lshlrev_b64_e32 v[8:9], 3, v[14:15]
	s_mov_b32 s17, exec_lo
	s_delay_alu instid0(VALU_DEP_2) | instskip(SKIP_1) | instid1(VALU_DEP_3)
	v_add_co_u32 v6, vcc_lo, s12, v6
	s_wait_alu 0xfffd
	v_add_co_ci_u32_e64 v7, null, s13, v7, vcc_lo
	s_delay_alu instid0(VALU_DEP_3)
	v_add_co_u32 v18, vcc_lo, s14, v8
	s_wait_alu 0xfffd
	v_add_co_ci_u32_e64 v19, null, s15, v9, vcc_lo
	global_load_b64 v[6:7], v[6:7], off
	s_lshl_b64 s[14:15], s[22:23], 3
	global_load_b64 v[8:9], v[18:19], off
	s_wait_alu 0xfffe
	s_add_nc_u64 s[14:15], s[12:13], s[14:15]
	s_wait_loadcnt 0x1
	v_sub_co_u32 v6, vcc_lo, v6, s26
	s_wait_alu 0xfffd
	v_subrev_co_ci_u32_e64 v7, null, 0, v7, vcc_lo
	s_delay_alu instid0(VALU_DEP_1)
	v_cmp_lt_i64_e32 vcc_lo, v[14:15], v[6:7]
	s_wait_alu 0xfffd
	v_dual_cndmask_b32 v3, v5, v3 :: v_dual_cndmask_b32 v2, v4, v2
	s_wait_loadcnt 0x0
	v_sub_co_u32 v20, vcc_lo, v8, s26
	s_wait_alu 0xfffd
	v_subrev_co_ci_u32_e64 v21, null, 0, v9, vcc_lo
	s_delay_alu instid0(VALU_DEP_1)
	v_cmpx_ne_u64_e64 v[20:21], v[2:3]
	s_cbranch_execz .LBB42_104
; %bb.91:
	s_load_b64 s[36:37], s[14:15], 0x0
	s_wait_kmcnt 0x0
	s_sub_nc_u64 s[36:37], s[36:37], s[26:27]
	s_wait_alu 0xfffe
	v_cmp_gt_i64_e32 vcc_lo, s[36:37], v[14:15]
	s_and_b32 exec_lo, exec_lo, vcc_lo
	s_cbranch_execz .LBB42_104
; %bb.92:
	v_cmp_gt_i64_e32 vcc_lo, s[2:3], v[20:21]
	v_cmp_le_i64_e64 s0, s[22:23], v[20:21]
	v_lshlrev_b64_e32 v[2:3], 4, v[2:3]
	s_or_b32 s0, vcc_lo, s0
	s_wait_alu 0xfffe
	s_and_saveexec_b32 s29, s0
	s_wait_alu 0xfffe
	s_xor_b32 s0, exec_lo, s29
	s_cbranch_execz .LBB42_98
; %bb.93:
	v_add_co_u32 v2, vcc_lo, s18, v2
	s_wait_alu 0xfffd
	v_add_co_ci_u32_e64 v3, null, s19, v3, vcc_lo
	v_lshlrev_b64_e32 v[6:7], 4, v[20:21]
	s_mov_b32 s29, 0
	global_load_b128 v[2:5], v[2:3], off
	v_add_co_u32 v22, vcc_lo, s10, v6
	s_wait_alu 0xfffd
	v_add_co_ci_u32_e64 v23, null, s11, v7, vcc_lo
	ds_load_b128 v[6:9], v26
	global_load_b64 v[12:13], v[22:23], off
	s_wait_loadcnt_dscnt 0x100
	v_mul_f64_e64 v[10:11], v[4:5], -v[8:9]
	s_delay_alu instid0(VALU_DEP_1)
	v_fma_f64 v[24:25], v[6:7], v[2:3], v[10:11]
.LBB42_94:                              ; =>This Inner Loop Header: Depth=1
	s_wait_loadcnt 0x0
	s_delay_alu instid0(VALU_DEP_1)
	v_add_f64_e32 v[10:11], v[12:13], v[24:25]
	global_atomic_cmpswap_b64 v[10:11], v[22:23], v[10:13], off th:TH_ATOMIC_RETURN scope:SCOPE_DEV
	s_wait_loadcnt 0x0
	v_cmp_eq_u64_e32 vcc_lo, v[10:11], v[12:13]
	v_dual_mov_b32 v13, v11 :: v_dual_mov_b32 v12, v10
	s_wait_alu 0xfffe
	s_or_b32 s29, vcc_lo, s29
	s_wait_alu 0xfffe
	s_and_not1_b32 exec_lo, exec_lo, s29
	s_cbranch_execnz .LBB42_94
; %bb.95:
	s_or_b32 exec_lo, exec_lo, s29
	global_load_b64 v[10:11], v[22:23], off offset:8
	v_mul_f64_e32 v[4:5], v[4:5], v[6:7]
	s_mov_b32 s29, 0
	s_delay_alu instid0(VALU_DEP_1)
	v_fma_f64 v[2:3], v[8:9], v[2:3], v[4:5]
.LBB42_96:                              ; =>This Inner Loop Header: Depth=1
	s_wait_loadcnt 0x0
	s_delay_alu instid0(VALU_DEP_1)
	v_add_f64_e32 v[8:9], v[10:11], v[2:3]
	global_atomic_cmpswap_b64 v[4:5], v[22:23], v[8:11], off offset:8 th:TH_ATOMIC_RETURN scope:SCOPE_DEV
	s_wait_loadcnt 0x0
	v_cmp_eq_u64_e32 vcc_lo, v[4:5], v[10:11]
	v_dual_mov_b32 v11, v5 :: v_dual_mov_b32 v10, v4
	s_wait_alu 0xfffe
	s_or_b32 s29, vcc_lo, s29
	s_wait_alu 0xfffe
	s_and_not1_b32 exec_lo, exec_lo, s29
	s_cbranch_execnz .LBB42_96
; %bb.97:
	s_or_b32 exec_lo, exec_lo, s29
                                        ; implicit-def: $vgpr2_vgpr3
.LBB42_98:
	s_wait_alu 0xfffe
	s_and_not1_saveexec_b32 s0, s0
	s_cbranch_execz .LBB42_104
; %bb.99:
	v_add_co_u32 v2, vcc_lo, s18, v2
	s_wait_alu 0xfffd
	v_add_co_ci_u32_e64 v3, null, s19, v3, vcc_lo
	ds_load_b128 v[6:9], v26
	v_subrev_nc_u32_e32 v12, s2, v20
	s_mov_b32 s0, 0
	global_load_b128 v[2:5], v[2:3], off
	v_lshl_add_u32 v22, v12, 4, 0x4000
	ds_load_b64 v[12:13], v22
	s_wait_loadcnt_dscnt 0x1
	v_mul_f64_e64 v[10:11], v[4:5], -v[8:9]
	s_delay_alu instid0(VALU_DEP_1)
	v_fma_f64 v[10:11], v[6:7], v[2:3], v[10:11]
.LBB42_100:                             ; =>This Inner Loop Header: Depth=1
	s_wait_dscnt 0x0
	s_delay_alu instid0(VALU_DEP_1)
	v_add_f64_e32 v[23:24], v[12:13], v[10:11]
	ds_cmpstore_rtn_b64 v[23:24], v22, v[23:24], v[12:13]
	s_wait_dscnt 0x0
	v_cmp_eq_u64_e32 vcc_lo, v[23:24], v[12:13]
	v_dual_mov_b32 v12, v23 :: v_dual_mov_b32 v13, v24
	s_wait_alu 0xfffe
	s_or_b32 s0, vcc_lo, s0
	s_wait_alu 0xfffe
	s_and_not1_b32 exec_lo, exec_lo, s0
	s_cbranch_execnz .LBB42_100
; %bb.101:
	s_or_b32 exec_lo, exec_lo, s0
	v_mul_f64_e32 v[4:5], v[4:5], v[6:7]
	s_mov_b32 s0, 0
	s_delay_alu instid0(VALU_DEP_1)
	v_fma_f64 v[2:3], v[8:9], v[2:3], v[4:5]
	ds_load_b64 v[4:5], v22 offset:8
.LBB42_102:                             ; =>This Inner Loop Header: Depth=1
	s_wait_dscnt 0x0
	v_add_f64_e32 v[6:7], v[4:5], v[2:3]
	ds_cmpstore_rtn_b64 v[6:7], v22, v[6:7], v[4:5] offset:8
	s_wait_dscnt 0x0
	v_cmp_eq_u64_e32 vcc_lo, v[6:7], v[4:5]
	v_dual_mov_b32 v4, v6 :: v_dual_mov_b32 v5, v7
	s_wait_alu 0xfffe
	s_or_b32 s0, vcc_lo, s0
	s_wait_alu 0xfffe
	s_and_not1_b32 exec_lo, exec_lo, s0
	s_cbranch_execnz .LBB42_102
; %bb.103:
	s_or_b32 exec_lo, exec_lo, s0
.LBB42_104:
	s_delay_alu instid0(SALU_CYCLE_1)
	s_or_b32 exec_lo, exec_lo, s17
	v_lshlrev_b64_e32 v[2:3], 4, v[20:21]
	ds_load_b128 v[6:9], v26
	v_cndmask_b32_e64 v27, 0, 1, s16
	v_add_co_u32 v2, vcc_lo, s18, v2
	s_wait_alu 0xfffd
	v_add_co_ci_u32_e64 v3, null, s19, v3, vcc_lo
	global_load_b128 v[2:5], v[2:3], off
	s_wait_loadcnt_dscnt 0x0
	v_mul_f64_e64 v[10:11], v[4:5], -v[8:9]
	v_mul_f64_e32 v[4:5], v[4:5], v[6:7]
	s_delay_alu instid0(VALU_DEP_2) | instskip(NEXT) | instid1(VALU_DEP_2)
	v_fma_f64 v[10:11], v[6:7], v[2:3], v[10:11]
	v_fma_f64 v[12:13], v[8:9], v[2:3], v[4:5]
	v_add_co_u32 v2, vcc_lo, 0x100, v14
	s_wait_alu 0xfffd
	v_add_co_ci_u32_e64 v3, null, 0, v15, vcc_lo
	v_dual_mov_b32 v4, s20 :: v_dual_mov_b32 v5, s21
	v_dual_mov_b32 v7, s5 :: v_dual_mov_b32 v6, s4
	s_and_not1_b32 vcc_lo, exec_lo, s16
	ds_store_b128 v26, v[10:13]
	s_wait_alu 0xfffe
	s_cbranch_vccnz .LBB42_108
; %bb.105:
	v_dual_mov_b32 v4, s20 :: v_dual_mov_b32 v5, s21
	v_dual_mov_b32 v7, s5 :: v_dual_mov_b32 v6, s4
	s_mov_b32 s16, 0
.LBB42_106:                             ; =>This Inner Loop Header: Depth=1
	s_delay_alu instid0(VALU_DEP_1) | instskip(SKIP_1) | instid1(VALU_DEP_2)
	v_add_co_u32 v8, vcc_lo, v6, v4
	s_wait_alu 0xfffd
	v_add_co_ci_u32_e64 v9, null, v7, v5, vcc_lo
	s_delay_alu instid0(VALU_DEP_1) | instskip(NEXT) | instid1(VALU_DEP_1)
	v_lshrrev_b32_e32 v10, 31, v9
	v_add_co_u32 v8, vcc_lo, v8, v10
	s_wait_alu 0xfffd
	v_add_co_ci_u32_e64 v9, null, 0, v9, vcc_lo
	s_delay_alu instid0(VALU_DEP_1) | instskip(NEXT) | instid1(VALU_DEP_1)
	v_ashrrev_i64 v[8:9], 1, v[8:9]
	v_lshlrev_b64_e32 v[10:11], 3, v[8:9]
	s_delay_alu instid0(VALU_DEP_1) | instskip(SKIP_1) | instid1(VALU_DEP_2)
	v_add_co_u32 v10, vcc_lo, s12, v10
	s_wait_alu 0xfffd
	v_add_co_ci_u32_e64 v11, null, s13, v11, vcc_lo
	global_load_b64 v[10:11], v[10:11], off
	s_wait_loadcnt 0x0
	v_sub_co_u32 v10, vcc_lo, v10, s26
	s_wait_alu 0xfffd
	v_subrev_co_ci_u32_e64 v11, null, 0, v11, vcc_lo
	s_delay_alu instid0(VALU_DEP_1) | instskip(SKIP_3) | instid1(VALU_DEP_2)
	v_cmp_lt_i64_e32 vcc_lo, v[2:3], v[10:11]
	s_wait_alu 0xfffd
	v_dual_cndmask_b32 v7, v7, v9 :: v_dual_cndmask_b32 v6, v6, v8
	v_dual_cndmask_b32 v5, v9, v5 :: v_dual_cndmask_b32 v4, v8, v4
	v_add_co_u32 v8, vcc_lo, v6, -1
	s_wait_alu 0xfffd
	s_delay_alu instid0(VALU_DEP_3) | instskip(NEXT) | instid1(VALU_DEP_3)
	v_add_co_ci_u32_e64 v9, null, -1, v7, vcc_lo
	v_cmp_ge_i64_e32 vcc_lo, v[4:5], v[6:7]
	s_delay_alu instid0(VALU_DEP_2)
	v_cmp_eq_u64_e64 s0, v[4:5], v[8:9]
	s_or_b32 s0, vcc_lo, s0
	s_wait_alu 0xfffe
	s_and_b32 s0, exec_lo, s0
	s_wait_alu 0xfffe
	s_or_b32 s16, s0, s16
	s_wait_alu 0xfffe
	s_and_not1_b32 exec_lo, exec_lo, s16
	s_cbranch_execnz .LBB42_106
; %bb.107:
	s_or_b32 exec_lo, exec_lo, s16
.LBB42_108:
	v_lshlrev_b64_e32 v[8:9], 3, v[6:7]
	s_mov_b32 s16, exec_lo
	s_delay_alu instid0(VALU_DEP_1) | instskip(SKIP_1) | instid1(VALU_DEP_2)
	v_add_co_u32 v8, vcc_lo, s12, v8
	s_wait_alu 0xfffd
	v_add_co_ci_u32_e64 v9, null, s13, v9, vcc_lo
	global_load_b64 v[8:9], v[8:9], off
	global_load_b64 v[10:11], v[18:19], off offset:2048
	s_wait_loadcnt 0x1
	v_sub_co_u32 v8, vcc_lo, v8, s26
	s_wait_alu 0xfffd
	v_subrev_co_ci_u32_e64 v9, null, 0, v9, vcc_lo
	s_delay_alu instid0(VALU_DEP_1)
	v_cmp_lt_i64_e32 vcc_lo, v[2:3], v[8:9]
	s_wait_alu 0xfffd
	v_dual_cndmask_b32 v5, v7, v5 :: v_dual_cndmask_b32 v4, v6, v4
	s_wait_loadcnt 0x0
	v_sub_co_u32 v20, vcc_lo, v10, s26
	s_wait_alu 0xfffd
	v_subrev_co_ci_u32_e64 v21, null, 0, v11, vcc_lo
	s_delay_alu instid0(VALU_DEP_1)
	v_cmpx_ne_u64_e64 v[20:21], v[4:5]
	s_cbranch_execz .LBB42_122
; %bb.109:
	s_load_b64 s[36:37], s[14:15], 0x0
	s_wait_kmcnt 0x0
	s_sub_nc_u64 s[36:37], s[36:37], s[26:27]
	s_wait_alu 0xfffe
	v_cmp_gt_i64_e32 vcc_lo, s[36:37], v[2:3]
	s_and_b32 exec_lo, exec_lo, vcc_lo
	s_cbranch_execz .LBB42_122
; %bb.110:
	v_cmp_gt_i64_e32 vcc_lo, s[2:3], v[20:21]
	v_cmp_le_i64_e64 s0, s[22:23], v[20:21]
	v_lshlrev_b64_e32 v[2:3], 4, v[4:5]
	s_or_b32 s0, vcc_lo, s0
	s_wait_alu 0xfffe
	s_and_saveexec_b32 s17, s0
	s_wait_alu 0xfffe
	s_xor_b32 s0, exec_lo, s17
	s_cbranch_execz .LBB42_116
; %bb.111:
	v_add_co_u32 v2, vcc_lo, s18, v2
	s_wait_alu 0xfffd
	v_add_co_ci_u32_e64 v3, null, s19, v3, vcc_lo
	v_lshlrev_b64_e32 v[6:7], 4, v[20:21]
	s_mov_b32 s17, 0
	global_load_b128 v[2:5], v[2:3], off
	v_add_co_u32 v22, vcc_lo, s10, v6
	s_wait_alu 0xfffd
	v_add_co_ci_u32_e64 v23, null, s11, v7, vcc_lo
	ds_load_b128 v[6:9], v26 offset:4096
	global_load_b64 v[12:13], v[22:23], off
	s_wait_loadcnt_dscnt 0x100
	v_mul_f64_e64 v[10:11], v[4:5], -v[8:9]
	s_delay_alu instid0(VALU_DEP_1)
	v_fma_f64 v[24:25], v[6:7], v[2:3], v[10:11]
.LBB42_112:                             ; =>This Inner Loop Header: Depth=1
	s_wait_loadcnt 0x0
	s_delay_alu instid0(VALU_DEP_1)
	v_add_f64_e32 v[10:11], v[12:13], v[24:25]
	global_atomic_cmpswap_b64 v[10:11], v[22:23], v[10:13], off th:TH_ATOMIC_RETURN scope:SCOPE_DEV
	s_wait_loadcnt 0x0
	v_cmp_eq_u64_e32 vcc_lo, v[10:11], v[12:13]
	v_dual_mov_b32 v13, v11 :: v_dual_mov_b32 v12, v10
	s_wait_alu 0xfffe
	s_or_b32 s17, vcc_lo, s17
	s_wait_alu 0xfffe
	s_and_not1_b32 exec_lo, exec_lo, s17
	s_cbranch_execnz .LBB42_112
; %bb.113:
	s_or_b32 exec_lo, exec_lo, s17
	global_load_b64 v[10:11], v[22:23], off offset:8
	v_mul_f64_e32 v[4:5], v[4:5], v[6:7]
	s_mov_b32 s17, 0
	s_delay_alu instid0(VALU_DEP_1)
	v_fma_f64 v[2:3], v[8:9], v[2:3], v[4:5]
.LBB42_114:                             ; =>This Inner Loop Header: Depth=1
	s_wait_loadcnt 0x0
	s_delay_alu instid0(VALU_DEP_1)
	v_add_f64_e32 v[8:9], v[10:11], v[2:3]
	global_atomic_cmpswap_b64 v[4:5], v[22:23], v[8:11], off offset:8 th:TH_ATOMIC_RETURN scope:SCOPE_DEV
	s_wait_loadcnt 0x0
	v_cmp_eq_u64_e32 vcc_lo, v[4:5], v[10:11]
	v_dual_mov_b32 v11, v5 :: v_dual_mov_b32 v10, v4
	s_wait_alu 0xfffe
	s_or_b32 s17, vcc_lo, s17
	s_wait_alu 0xfffe
	s_and_not1_b32 exec_lo, exec_lo, s17
	s_cbranch_execnz .LBB42_114
; %bb.115:
	s_or_b32 exec_lo, exec_lo, s17
                                        ; implicit-def: $vgpr2_vgpr3
.LBB42_116:
	s_wait_alu 0xfffe
	s_and_not1_saveexec_b32 s0, s0
	s_cbranch_execz .LBB42_122
; %bb.117:
	v_add_co_u32 v2, vcc_lo, s18, v2
	s_wait_alu 0xfffd
	v_add_co_ci_u32_e64 v3, null, s19, v3, vcc_lo
	ds_load_b128 v[6:9], v26 offset:4096
	v_subrev_nc_u32_e32 v12, s2, v20
	s_mov_b32 s0, 0
	global_load_b128 v[2:5], v[2:3], off
	v_lshl_add_u32 v22, v12, 4, 0x4000
	ds_load_b64 v[12:13], v22
	s_wait_loadcnt_dscnt 0x1
	v_mul_f64_e64 v[10:11], v[4:5], -v[8:9]
	s_delay_alu instid0(VALU_DEP_1)
	v_fma_f64 v[10:11], v[6:7], v[2:3], v[10:11]
.LBB42_118:                             ; =>This Inner Loop Header: Depth=1
	s_wait_dscnt 0x0
	s_delay_alu instid0(VALU_DEP_1)
	v_add_f64_e32 v[23:24], v[12:13], v[10:11]
	ds_cmpstore_rtn_b64 v[23:24], v22, v[23:24], v[12:13]
	s_wait_dscnt 0x0
	v_cmp_eq_u64_e32 vcc_lo, v[23:24], v[12:13]
	v_dual_mov_b32 v12, v23 :: v_dual_mov_b32 v13, v24
	s_wait_alu 0xfffe
	s_or_b32 s0, vcc_lo, s0
	s_wait_alu 0xfffe
	s_and_not1_b32 exec_lo, exec_lo, s0
	s_cbranch_execnz .LBB42_118
; %bb.119:
	s_or_b32 exec_lo, exec_lo, s0
	v_mul_f64_e32 v[4:5], v[4:5], v[6:7]
	s_mov_b32 s0, 0
	s_delay_alu instid0(VALU_DEP_1)
	v_fma_f64 v[2:3], v[8:9], v[2:3], v[4:5]
	ds_load_b64 v[4:5], v22 offset:8
.LBB42_120:                             ; =>This Inner Loop Header: Depth=1
	s_wait_dscnt 0x0
	v_add_f64_e32 v[6:7], v[4:5], v[2:3]
	ds_cmpstore_rtn_b64 v[6:7], v22, v[6:7], v[4:5] offset:8
	s_wait_dscnt 0x0
	v_cmp_eq_u64_e32 vcc_lo, v[6:7], v[4:5]
	v_dual_mov_b32 v4, v6 :: v_dual_mov_b32 v5, v7
	s_wait_alu 0xfffe
	s_or_b32 s0, vcc_lo, s0
	s_wait_alu 0xfffe
	s_and_not1_b32 exec_lo, exec_lo, s0
	s_cbranch_execnz .LBB42_120
; %bb.121:
	s_or_b32 exec_lo, exec_lo, s0
.LBB42_122:
	s_wait_alu 0xfffe
	s_or_b32 exec_lo, exec_lo, s16
	v_lshlrev_b64_e32 v[2:3], 4, v[20:21]
	ds_load_b128 v[6:9], v26 offset:4096
	v_add_co_u32 v2, vcc_lo, s18, v2
	s_wait_alu 0xfffd
	v_add_co_ci_u32_e64 v3, null, s19, v3, vcc_lo
	v_cmp_ne_u32_e32 vcc_lo, 1, v27
	global_load_b128 v[2:5], v[2:3], off
	s_and_b32 vcc_lo, exec_lo, vcc_lo
	s_wait_loadcnt_dscnt 0x0
	v_mul_f64_e64 v[10:11], v[4:5], -v[8:9]
	v_mul_f64_e32 v[4:5], v[4:5], v[6:7]
	s_delay_alu instid0(VALU_DEP_2) | instskip(NEXT) | instid1(VALU_DEP_2)
	v_fma_f64 v[10:11], v[6:7], v[2:3], v[10:11]
	v_fma_f64 v[12:13], v[8:9], v[2:3], v[4:5]
	v_add_co_u32 v2, s0, 0x200, v14
	s_wait_alu 0xf1ff
	v_add_co_ci_u32_e64 v3, null, 0, v15, s0
	v_dual_mov_b32 v4, s20 :: v_dual_mov_b32 v5, s21
	v_dual_mov_b32 v7, s5 :: v_dual_mov_b32 v6, s4
	ds_store_b128 v26, v[10:13] offset:4096
	s_wait_alu 0xfffe
	s_cbranch_vccnz .LBB42_126
; %bb.123:
	v_dual_mov_b32 v4, s20 :: v_dual_mov_b32 v5, s21
	v_dual_mov_b32 v7, s5 :: v_dual_mov_b32 v6, s4
	s_mov_b32 s16, 0
.LBB42_124:                             ; =>This Inner Loop Header: Depth=1
	s_delay_alu instid0(VALU_DEP_1) | instskip(SKIP_1) | instid1(VALU_DEP_2)
	v_add_co_u32 v8, vcc_lo, v6, v4
	s_wait_alu 0xfffd
	v_add_co_ci_u32_e64 v9, null, v7, v5, vcc_lo
	s_delay_alu instid0(VALU_DEP_1) | instskip(NEXT) | instid1(VALU_DEP_1)
	v_lshrrev_b32_e32 v10, 31, v9
	v_add_co_u32 v8, vcc_lo, v8, v10
	s_wait_alu 0xfffd
	v_add_co_ci_u32_e64 v9, null, 0, v9, vcc_lo
	s_delay_alu instid0(VALU_DEP_1) | instskip(NEXT) | instid1(VALU_DEP_1)
	v_ashrrev_i64 v[8:9], 1, v[8:9]
	v_lshlrev_b64_e32 v[10:11], 3, v[8:9]
	s_delay_alu instid0(VALU_DEP_1) | instskip(SKIP_1) | instid1(VALU_DEP_2)
	v_add_co_u32 v10, vcc_lo, s12, v10
	s_wait_alu 0xfffd
	v_add_co_ci_u32_e64 v11, null, s13, v11, vcc_lo
	global_load_b64 v[10:11], v[10:11], off
	s_wait_loadcnt 0x0
	v_sub_co_u32 v10, vcc_lo, v10, s26
	s_wait_alu 0xfffd
	v_subrev_co_ci_u32_e64 v11, null, 0, v11, vcc_lo
	s_delay_alu instid0(VALU_DEP_1) | instskip(SKIP_3) | instid1(VALU_DEP_2)
	v_cmp_lt_i64_e32 vcc_lo, v[2:3], v[10:11]
	s_wait_alu 0xfffd
	v_dual_cndmask_b32 v7, v7, v9 :: v_dual_cndmask_b32 v6, v6, v8
	v_dual_cndmask_b32 v5, v9, v5 :: v_dual_cndmask_b32 v4, v8, v4
	v_add_co_u32 v8, vcc_lo, v6, -1
	s_wait_alu 0xfffd
	s_delay_alu instid0(VALU_DEP_3) | instskip(NEXT) | instid1(VALU_DEP_3)
	v_add_co_ci_u32_e64 v9, null, -1, v7, vcc_lo
	v_cmp_ge_i64_e32 vcc_lo, v[4:5], v[6:7]
	s_delay_alu instid0(VALU_DEP_2)
	v_cmp_eq_u64_e64 s0, v[4:5], v[8:9]
	s_or_b32 s0, vcc_lo, s0
	s_wait_alu 0xfffe
	s_and_b32 s0, exec_lo, s0
	s_wait_alu 0xfffe
	s_or_b32 s16, s0, s16
	s_wait_alu 0xfffe
	s_and_not1_b32 exec_lo, exec_lo, s16
	s_cbranch_execnz .LBB42_124
; %bb.125:
	s_or_b32 exec_lo, exec_lo, s16
.LBB42_126:
	v_lshlrev_b64_e32 v[8:9], 3, v[6:7]
	s_mov_b32 s16, exec_lo
	s_delay_alu instid0(VALU_DEP_1) | instskip(SKIP_1) | instid1(VALU_DEP_2)
	v_add_co_u32 v8, vcc_lo, s12, v8
	s_wait_alu 0xfffd
	v_add_co_ci_u32_e64 v9, null, s13, v9, vcc_lo
	global_load_b64 v[8:9], v[8:9], off
	global_load_b64 v[10:11], v[18:19], off offset:4096
	s_wait_loadcnt 0x1
	v_sub_co_u32 v8, vcc_lo, v8, s26
	s_wait_alu 0xfffd
	v_subrev_co_ci_u32_e64 v9, null, 0, v9, vcc_lo
	s_delay_alu instid0(VALU_DEP_1)
	v_cmp_lt_i64_e32 vcc_lo, v[2:3], v[8:9]
	s_wait_alu 0xfffd
	v_dual_cndmask_b32 v5, v7, v5 :: v_dual_cndmask_b32 v4, v6, v4
	s_wait_loadcnt 0x0
	v_sub_co_u32 v14, vcc_lo, v10, s26
	s_wait_alu 0xfffd
	v_subrev_co_ci_u32_e64 v15, null, 0, v11, vcc_lo
	s_delay_alu instid0(VALU_DEP_1)
	v_cmpx_ne_u64_e64 v[14:15], v[4:5]
	s_cbranch_execz .LBB42_140
; %bb.127:
	s_load_b64 s[36:37], s[14:15], 0x0
	s_wait_kmcnt 0x0
	s_sub_nc_u64 s[36:37], s[36:37], s[26:27]
	s_wait_alu 0xfffe
	v_cmp_gt_i64_e32 vcc_lo, s[36:37], v[2:3]
	s_and_b32 exec_lo, exec_lo, vcc_lo
	s_cbranch_execz .LBB42_140
; %bb.128:
	v_cmp_gt_i64_e32 vcc_lo, s[2:3], v[14:15]
	v_cmp_le_i64_e64 s0, s[22:23], v[14:15]
	v_lshlrev_b64_e32 v[2:3], 4, v[4:5]
	s_or_b32 s0, vcc_lo, s0
	s_wait_alu 0xfffe
	s_and_saveexec_b32 s17, s0
	s_wait_alu 0xfffe
	s_xor_b32 s0, exec_lo, s17
	s_cbranch_execz .LBB42_134
; %bb.129:
	v_add_co_u32 v2, vcc_lo, s18, v2
	s_wait_alu 0xfffd
	v_add_co_ci_u32_e64 v3, null, s19, v3, vcc_lo
	v_lshlrev_b64_e32 v[6:7], 4, v[14:15]
	s_mov_b32 s17, 0
	global_load_b128 v[2:5], v[2:3], off
	v_add_co_u32 v20, vcc_lo, s10, v6
	s_wait_alu 0xfffd
	v_add_co_ci_u32_e64 v21, null, s11, v7, vcc_lo
	ds_load_b128 v[6:9], v26 offset:8192
	global_load_b64 v[12:13], v[20:21], off
	s_wait_loadcnt_dscnt 0x100
	v_mul_f64_e64 v[10:11], v[4:5], -v[8:9]
	s_delay_alu instid0(VALU_DEP_1)
	v_fma_f64 v[22:23], v[6:7], v[2:3], v[10:11]
.LBB42_130:                             ; =>This Inner Loop Header: Depth=1
	s_wait_loadcnt 0x0
	s_delay_alu instid0(VALU_DEP_1)
	v_add_f64_e32 v[10:11], v[12:13], v[22:23]
	global_atomic_cmpswap_b64 v[10:11], v[20:21], v[10:13], off th:TH_ATOMIC_RETURN scope:SCOPE_DEV
	s_wait_loadcnt 0x0
	v_cmp_eq_u64_e32 vcc_lo, v[10:11], v[12:13]
	v_dual_mov_b32 v13, v11 :: v_dual_mov_b32 v12, v10
	s_wait_alu 0xfffe
	s_or_b32 s17, vcc_lo, s17
	s_wait_alu 0xfffe
	s_and_not1_b32 exec_lo, exec_lo, s17
	s_cbranch_execnz .LBB42_130
; %bb.131:
	s_or_b32 exec_lo, exec_lo, s17
	global_load_b64 v[10:11], v[20:21], off offset:8
	v_mul_f64_e32 v[4:5], v[4:5], v[6:7]
	s_mov_b32 s17, 0
	s_delay_alu instid0(VALU_DEP_1)
	v_fma_f64 v[2:3], v[8:9], v[2:3], v[4:5]
.LBB42_132:                             ; =>This Inner Loop Header: Depth=1
	s_wait_loadcnt 0x0
	s_delay_alu instid0(VALU_DEP_1)
	v_add_f64_e32 v[8:9], v[10:11], v[2:3]
	global_atomic_cmpswap_b64 v[4:5], v[20:21], v[8:11], off offset:8 th:TH_ATOMIC_RETURN scope:SCOPE_DEV
	s_wait_loadcnt 0x0
	v_cmp_eq_u64_e32 vcc_lo, v[4:5], v[10:11]
	v_dual_mov_b32 v11, v5 :: v_dual_mov_b32 v10, v4
	s_wait_alu 0xfffe
	s_or_b32 s17, vcc_lo, s17
	s_wait_alu 0xfffe
	s_and_not1_b32 exec_lo, exec_lo, s17
	s_cbranch_execnz .LBB42_132
; %bb.133:
	s_or_b32 exec_lo, exec_lo, s17
                                        ; implicit-def: $vgpr2_vgpr3
.LBB42_134:
	s_wait_alu 0xfffe
	s_and_not1_saveexec_b32 s0, s0
	s_cbranch_execz .LBB42_140
; %bb.135:
	v_add_co_u32 v2, vcc_lo, s18, v2
	s_wait_alu 0xfffd
	v_add_co_ci_u32_e64 v3, null, s19, v3, vcc_lo
	ds_load_b128 v[6:9], v26 offset:8192
	v_subrev_nc_u32_e32 v12, s2, v14
	s_mov_b32 s0, 0
	global_load_b128 v[2:5], v[2:3], off
	v_lshl_add_u32 v20, v12, 4, 0x4000
	ds_load_b64 v[12:13], v20
	s_wait_loadcnt_dscnt 0x1
	v_mul_f64_e64 v[10:11], v[4:5], -v[8:9]
	s_delay_alu instid0(VALU_DEP_1)
	v_fma_f64 v[10:11], v[6:7], v[2:3], v[10:11]
.LBB42_136:                             ; =>This Inner Loop Header: Depth=1
	s_wait_dscnt 0x0
	s_delay_alu instid0(VALU_DEP_1)
	v_add_f64_e32 v[21:22], v[12:13], v[10:11]
	ds_cmpstore_rtn_b64 v[21:22], v20, v[21:22], v[12:13]
	s_wait_dscnt 0x0
	v_cmp_eq_u64_e32 vcc_lo, v[21:22], v[12:13]
	v_dual_mov_b32 v12, v21 :: v_dual_mov_b32 v13, v22
	s_wait_alu 0xfffe
	s_or_b32 s0, vcc_lo, s0
	s_wait_alu 0xfffe
	s_and_not1_b32 exec_lo, exec_lo, s0
	s_cbranch_execnz .LBB42_136
; %bb.137:
	s_or_b32 exec_lo, exec_lo, s0
	v_mul_f64_e32 v[4:5], v[4:5], v[6:7]
	s_mov_b32 s0, 0
	s_delay_alu instid0(VALU_DEP_1)
	v_fma_f64 v[2:3], v[8:9], v[2:3], v[4:5]
	ds_load_b64 v[4:5], v20 offset:8
.LBB42_138:                             ; =>This Inner Loop Header: Depth=1
	s_wait_dscnt 0x0
	v_add_f64_e32 v[6:7], v[4:5], v[2:3]
	ds_cmpstore_rtn_b64 v[6:7], v20, v[6:7], v[4:5] offset:8
	s_wait_dscnt 0x0
	v_cmp_eq_u64_e32 vcc_lo, v[6:7], v[4:5]
	v_dual_mov_b32 v4, v6 :: v_dual_mov_b32 v5, v7
	s_wait_alu 0xfffe
	s_or_b32 s0, vcc_lo, s0
	s_wait_alu 0xfffe
	s_and_not1_b32 exec_lo, exec_lo, s0
	s_cbranch_execnz .LBB42_138
; %bb.139:
	s_or_b32 exec_lo, exec_lo, s0
.LBB42_140:
	s_wait_alu 0xfffe
	s_or_b32 exec_lo, exec_lo, s16
	v_lshlrev_b64_e32 v[2:3], 4, v[14:15]
	ds_load_b128 v[6:9], v26 offset:8192
	v_add_co_u32 v2, vcc_lo, s18, v2
	s_wait_alu 0xfffd
	v_add_co_ci_u32_e64 v3, null, s19, v3, vcc_lo
	v_cmp_ne_u32_e32 vcc_lo, 1, v27
	global_load_b128 v[2:5], v[2:3], off
	s_and_b32 vcc_lo, exec_lo, vcc_lo
	s_wait_loadcnt_dscnt 0x0
	v_mul_f64_e64 v[10:11], v[4:5], -v[8:9]
	v_mul_f64_e32 v[4:5], v[4:5], v[6:7]
	s_delay_alu instid0(VALU_DEP_2) | instskip(NEXT) | instid1(VALU_DEP_2)
	v_fma_f64 v[6:7], v[6:7], v[2:3], v[10:11]
	v_fma_f64 v[8:9], v[8:9], v[2:3], v[4:5]
	v_dual_mov_b32 v2, s20 :: v_dual_mov_b32 v3, s21
	v_dual_mov_b32 v4, s4 :: v_dual_mov_b32 v5, s5
	ds_store_b128 v26, v[6:9] offset:8192
	s_wait_alu 0xfffe
	s_cbranch_vccnz .LBB42_144
; %bb.141:
	v_dual_mov_b32 v2, s20 :: v_dual_mov_b32 v3, s21
	v_dual_mov_b32 v4, s4 :: v_dual_mov_b32 v5, s5
	s_mov_b32 s4, 0
.LBB42_142:                             ; =>This Inner Loop Header: Depth=1
	s_delay_alu instid0(VALU_DEP_1) | instskip(SKIP_1) | instid1(VALU_DEP_2)
	v_add_co_u32 v6, vcc_lo, v4, v2
	s_wait_alu 0xfffd
	v_add_co_ci_u32_e64 v7, null, v5, v3, vcc_lo
	s_delay_alu instid0(VALU_DEP_1) | instskip(NEXT) | instid1(VALU_DEP_1)
	v_lshrrev_b32_e32 v8, 31, v7
	v_add_co_u32 v6, vcc_lo, v6, v8
	s_wait_alu 0xfffd
	v_add_co_ci_u32_e64 v7, null, 0, v7, vcc_lo
	s_delay_alu instid0(VALU_DEP_1) | instskip(NEXT) | instid1(VALU_DEP_1)
	v_ashrrev_i64 v[6:7], 1, v[6:7]
	v_lshlrev_b64_e32 v[8:9], 3, v[6:7]
	s_delay_alu instid0(VALU_DEP_1) | instskip(SKIP_1) | instid1(VALU_DEP_2)
	v_add_co_u32 v8, vcc_lo, s12, v8
	s_wait_alu 0xfffd
	v_add_co_ci_u32_e64 v9, null, s13, v9, vcc_lo
	global_load_b64 v[8:9], v[8:9], off
	s_wait_loadcnt 0x0
	v_sub_co_u32 v8, vcc_lo, v8, s26
	s_wait_alu 0xfffd
	v_subrev_co_ci_u32_e64 v9, null, 0, v9, vcc_lo
	s_delay_alu instid0(VALU_DEP_1) | instskip(SKIP_3) | instid1(VALU_DEP_2)
	v_cmp_lt_i64_e32 vcc_lo, v[16:17], v[8:9]
	s_wait_alu 0xfffd
	v_dual_cndmask_b32 v5, v5, v7 :: v_dual_cndmask_b32 v4, v4, v6
	v_dual_cndmask_b32 v3, v7, v3 :: v_dual_cndmask_b32 v2, v6, v2
	v_add_co_u32 v6, vcc_lo, v4, -1
	s_wait_alu 0xfffd
	s_delay_alu instid0(VALU_DEP_3) | instskip(NEXT) | instid1(VALU_DEP_3)
	v_add_co_ci_u32_e64 v7, null, -1, v5, vcc_lo
	v_cmp_ge_i64_e32 vcc_lo, v[2:3], v[4:5]
	s_delay_alu instid0(VALU_DEP_2)
	v_cmp_eq_u64_e64 s0, v[2:3], v[6:7]
	s_or_b32 s0, vcc_lo, s0
	s_wait_alu 0xfffe
	s_and_b32 s0, exec_lo, s0
	s_wait_alu 0xfffe
	s_or_b32 s4, s0, s4
	s_wait_alu 0xfffe
	s_and_not1_b32 exec_lo, exec_lo, s4
	s_cbranch_execnz .LBB42_142
; %bb.143:
	s_or_b32 exec_lo, exec_lo, s4
.LBB42_144:
	v_lshlrev_b64_e32 v[6:7], 3, v[4:5]
	s_mov_b32 s4, exec_lo
	s_delay_alu instid0(VALU_DEP_1) | instskip(SKIP_1) | instid1(VALU_DEP_2)
	v_add_co_u32 v6, vcc_lo, s12, v6
	s_wait_alu 0xfffd
	v_add_co_ci_u32_e64 v7, null, s13, v7, vcc_lo
	global_load_b64 v[6:7], v[6:7], off
	global_load_b64 v[8:9], v[18:19], off offset:6144
	s_wait_loadcnt 0x1
	v_sub_co_u32 v6, vcc_lo, v6, s26
	s_wait_alu 0xfffd
	v_subrev_co_ci_u32_e64 v7, null, 0, v7, vcc_lo
	s_delay_alu instid0(VALU_DEP_1)
	v_cmp_lt_i64_e32 vcc_lo, v[16:17], v[6:7]
	s_wait_alu 0xfffd
	v_dual_cndmask_b32 v3, v5, v3 :: v_dual_cndmask_b32 v2, v4, v2
	s_wait_loadcnt 0x0
	v_sub_co_u32 v14, vcc_lo, v8, s26
	s_wait_alu 0xfffd
	v_subrev_co_ci_u32_e64 v15, null, 0, v9, vcc_lo
	s_delay_alu instid0(VALU_DEP_1)
	v_cmpx_ne_u64_e64 v[14:15], v[2:3]
	s_cbranch_execz .LBB42_158
; %bb.145:
	s_load_b64 s[14:15], s[14:15], 0x0
	s_wait_kmcnt 0x0
	s_sub_nc_u64 s[14:15], s[14:15], s[26:27]
	s_wait_alu 0xfffe
	v_cmp_gt_i64_e32 vcc_lo, s[14:15], v[16:17]
	s_and_b32 exec_lo, exec_lo, vcc_lo
	s_cbranch_execz .LBB42_158
; %bb.146:
	v_cmp_gt_i64_e32 vcc_lo, s[2:3], v[14:15]
	v_cmp_le_i64_e64 s0, s[22:23], v[14:15]
	v_lshlrev_b64_e32 v[2:3], 4, v[2:3]
	s_or_b32 s0, vcc_lo, s0
	s_wait_alu 0xfffe
	s_and_saveexec_b32 s5, s0
	s_wait_alu 0xfffe
	s_xor_b32 s0, exec_lo, s5
	s_cbranch_execz .LBB42_152
; %bb.147:
	v_add_co_u32 v2, vcc_lo, s18, v2
	s_wait_alu 0xfffd
	v_add_co_ci_u32_e64 v3, null, s19, v3, vcc_lo
	v_lshlrev_b64_e32 v[6:7], 4, v[14:15]
	s_mov_b32 s5, 0
	global_load_b128 v[2:5], v[2:3], off
	v_add_co_u32 v16, vcc_lo, s10, v6
	s_wait_alu 0xfffd
	v_add_co_ci_u32_e64 v17, null, s11, v7, vcc_lo
	ds_load_b128 v[6:9], v26 offset:12288
	global_load_b64 v[12:13], v[16:17], off
	s_wait_loadcnt_dscnt 0x100
	v_mul_f64_e64 v[10:11], v[4:5], -v[8:9]
	s_delay_alu instid0(VALU_DEP_1)
	v_fma_f64 v[18:19], v[6:7], v[2:3], v[10:11]
.LBB42_148:                             ; =>This Inner Loop Header: Depth=1
	s_wait_loadcnt 0x0
	s_delay_alu instid0(VALU_DEP_1)
	v_add_f64_e32 v[10:11], v[12:13], v[18:19]
	global_atomic_cmpswap_b64 v[10:11], v[16:17], v[10:13], off th:TH_ATOMIC_RETURN scope:SCOPE_DEV
	s_wait_loadcnt 0x0
	v_cmp_eq_u64_e32 vcc_lo, v[10:11], v[12:13]
	v_dual_mov_b32 v13, v11 :: v_dual_mov_b32 v12, v10
	s_wait_alu 0xfffe
	s_or_b32 s5, vcc_lo, s5
	s_wait_alu 0xfffe
	s_and_not1_b32 exec_lo, exec_lo, s5
	s_cbranch_execnz .LBB42_148
; %bb.149:
	s_or_b32 exec_lo, exec_lo, s5
	global_load_b64 v[10:11], v[16:17], off offset:8
	v_mul_f64_e32 v[4:5], v[4:5], v[6:7]
	s_mov_b32 s5, 0
	s_delay_alu instid0(VALU_DEP_1)
	v_fma_f64 v[2:3], v[8:9], v[2:3], v[4:5]
.LBB42_150:                             ; =>This Inner Loop Header: Depth=1
	s_wait_loadcnt 0x0
	s_delay_alu instid0(VALU_DEP_1)
	v_add_f64_e32 v[8:9], v[10:11], v[2:3]
	global_atomic_cmpswap_b64 v[4:5], v[16:17], v[8:11], off offset:8 th:TH_ATOMIC_RETURN scope:SCOPE_DEV
	s_wait_loadcnt 0x0
	v_cmp_eq_u64_e32 vcc_lo, v[4:5], v[10:11]
	v_dual_mov_b32 v11, v5 :: v_dual_mov_b32 v10, v4
	s_wait_alu 0xfffe
	s_or_b32 s5, vcc_lo, s5
	s_wait_alu 0xfffe
	s_and_not1_b32 exec_lo, exec_lo, s5
	s_cbranch_execnz .LBB42_150
; %bb.151:
	s_or_b32 exec_lo, exec_lo, s5
                                        ; implicit-def: $vgpr2_vgpr3
.LBB42_152:
	s_wait_alu 0xfffe
	s_and_not1_saveexec_b32 s0, s0
	s_cbranch_execz .LBB42_158
; %bb.153:
	v_add_co_u32 v2, vcc_lo, s18, v2
	s_wait_alu 0xfffd
	v_add_co_ci_u32_e64 v3, null, s19, v3, vcc_lo
	ds_load_b128 v[6:9], v26 offset:12288
	v_subrev_nc_u32_e32 v12, s2, v14
	s_mov_b32 s0, 0
	global_load_b128 v[2:5], v[2:3], off
	v_lshl_add_u32 v16, v12, 4, 0x4000
	ds_load_b64 v[12:13], v16
	s_wait_loadcnt_dscnt 0x1
	v_mul_f64_e64 v[10:11], v[4:5], -v[8:9]
	s_delay_alu instid0(VALU_DEP_1)
	v_fma_f64 v[10:11], v[6:7], v[2:3], v[10:11]
.LBB42_154:                             ; =>This Inner Loop Header: Depth=1
	s_wait_dscnt 0x0
	s_delay_alu instid0(VALU_DEP_1)
	v_add_f64_e32 v[17:18], v[12:13], v[10:11]
	ds_cmpstore_rtn_b64 v[17:18], v16, v[17:18], v[12:13]
	s_wait_dscnt 0x0
	v_cmp_eq_u64_e32 vcc_lo, v[17:18], v[12:13]
	v_dual_mov_b32 v12, v17 :: v_dual_mov_b32 v13, v18
	s_wait_alu 0xfffe
	s_or_b32 s0, vcc_lo, s0
	s_wait_alu 0xfffe
	s_and_not1_b32 exec_lo, exec_lo, s0
	s_cbranch_execnz .LBB42_154
; %bb.155:
	s_or_b32 exec_lo, exec_lo, s0
	v_mul_f64_e32 v[4:5], v[4:5], v[6:7]
	s_mov_b32 s0, 0
	s_delay_alu instid0(VALU_DEP_1)
	v_fma_f64 v[2:3], v[8:9], v[2:3], v[4:5]
	ds_load_b64 v[4:5], v16 offset:8
.LBB42_156:                             ; =>This Inner Loop Header: Depth=1
	s_wait_dscnt 0x0
	v_add_f64_e32 v[6:7], v[4:5], v[2:3]
	ds_cmpstore_rtn_b64 v[6:7], v16, v[6:7], v[4:5] offset:8
	s_wait_dscnt 0x0
	v_cmp_eq_u64_e32 vcc_lo, v[6:7], v[4:5]
	v_dual_mov_b32 v4, v6 :: v_dual_mov_b32 v5, v7
	s_wait_alu 0xfffe
	s_or_b32 s0, vcc_lo, s0
	s_wait_alu 0xfffe
	s_and_not1_b32 exec_lo, exec_lo, s0
	s_cbranch_execnz .LBB42_156
; %bb.157:
	s_or_b32 exec_lo, exec_lo, s0
.LBB42_158:
	s_wait_alu 0xfffe
	s_or_b32 exec_lo, exec_lo, s4
	v_lshlrev_b64_e32 v[2:3], 4, v[14:15]
	ds_load_b128 v[6:9], v26 offset:12288
	v_add_co_u32 v2, vcc_lo, s18, v2
	s_wait_alu 0xfffd
	v_add_co_ci_u32_e64 v3, null, s19, v3, vcc_lo
	global_load_b128 v[2:5], v[2:3], off
	s_wait_loadcnt_dscnt 0x0
	v_mul_f64_e64 v[10:11], v[4:5], -v[8:9]
	v_mul_f64_e32 v[12:13], v[4:5], v[6:7]
	s_delay_alu instid0(VALU_DEP_2) | instskip(NEXT) | instid1(VALU_DEP_2)
	v_fma_f64 v[4:5], v[6:7], v[2:3], v[10:11]
	v_fma_f64 v[6:7], v[8:9], v[2:3], v[12:13]
	ds_store_b128 v26, v[4:7] offset:12288
.LBB42_159:
	s_wait_alu 0xfffe
	s_or_b32 exec_lo, exec_lo, s1
	v_cmp_lt_i64_e64 s0, s[22:23], s[6:7]
	s_wait_loadcnt_dscnt 0x0
	s_barrier_signal -1
	s_barrier_wait -1
	global_inv scope:SCOPE_SE
	s_and_b32 s0, s0, exec_lo
	s_cselect_b32 s1, s23, s7
	s_cselect_b32 s0, s22, s6
	s_wait_alu 0xfffe
	s_sub_nc_u64 s[4:5], s[0:1], s[24:25]
	s_mov_b32 s1, exec_lo
	s_wait_alu 0xfffe
	v_cmpx_gt_i64_e64 s[4:5], v[0:1]
	s_cbranch_execz .LBB42_166
; %bb.160:
	v_dual_mov_b32 v11, v1 :: v_dual_mov_b32 v10, v0
	s_lshl_b64 s[2:3], s[2:3], 4
	s_mov_b32 s6, 0
	s_wait_alu 0xfffe
	s_add_nc_u64 s[2:3], s[10:11], s[2:3]
.LBB42_161:                             ; =>This Loop Header: Depth=1
                                        ;     Child Loop BB42_162 Depth 2
                                        ;     Child Loop BB42_164 Depth 2
	v_lshlrev_b64_e32 v[2:3], 4, v[10:11]
	s_mov_b32 s7, 0
	s_wait_alu 0xfffe
	s_delay_alu instid0(VALU_DEP_1) | instskip(SKIP_1) | instid1(VALU_DEP_2)
	v_add_co_u32 v12, vcc_lo, s2, v2
	s_wait_alu 0xfffd
	v_add_co_ci_u32_e64 v13, null, s3, v3, vcc_lo
	v_lshl_add_u32 v2, v10, 4, 0x4000
	global_load_b64 v[8:9], v[12:13], off
	ds_load_2addr_b64 v[2:5], v2 offset1:1
.LBB42_162:                             ;   Parent Loop BB42_161 Depth=1
                                        ; =>  This Inner Loop Header: Depth=2
	s_wait_loadcnt_dscnt 0x0
	v_add_f64_e32 v[6:7], v[8:9], v[2:3]
	global_atomic_cmpswap_b64 v[6:7], v[12:13], v[6:9], off th:TH_ATOMIC_RETURN scope:SCOPE_DEV
	s_wait_loadcnt 0x0
	v_cmp_eq_u64_e32 vcc_lo, v[6:7], v[8:9]
	v_dual_mov_b32 v9, v7 :: v_dual_mov_b32 v8, v6
	s_or_b32 s7, vcc_lo, s7
	s_wait_alu 0xfffe
	s_and_not1_b32 exec_lo, exec_lo, s7
	s_cbranch_execnz .LBB42_162
; %bb.163:                              ;   in Loop: Header=BB42_161 Depth=1
	s_or_b32 exec_lo, exec_lo, s7
	global_load_b64 v[8:9], v[12:13], off offset:8
	s_mov_b32 s7, 0
.LBB42_164:                             ;   Parent Loop BB42_161 Depth=1
                                        ; =>  This Inner Loop Header: Depth=2
	s_wait_loadcnt 0x0
	v_add_f64_e32 v[6:7], v[8:9], v[4:5]
	global_atomic_cmpswap_b64 v[2:3], v[12:13], v[6:9], off offset:8 th:TH_ATOMIC_RETURN scope:SCOPE_DEV
	s_wait_loadcnt 0x0
	v_cmp_eq_u64_e32 vcc_lo, v[2:3], v[8:9]
	v_dual_mov_b32 v9, v3 :: v_dual_mov_b32 v8, v2
	s_wait_alu 0xfffe
	s_or_b32 s7, vcc_lo, s7
	s_wait_alu 0xfffe
	s_and_not1_b32 exec_lo, exec_lo, s7
	s_cbranch_execnz .LBB42_164
; %bb.165:                              ;   in Loop: Header=BB42_161 Depth=1
	s_or_b32 exec_lo, exec_lo, s7
	v_add_co_u32 v10, vcc_lo, 0x100, v10
	s_wait_alu 0xfffd
	v_add_co_ci_u32_e64 v11, null, 0, v11, vcc_lo
	s_delay_alu instid0(VALU_DEP_1)
	v_cmp_le_i64_e32 vcc_lo, s[4:5], v[10:11]
	s_or_b32 s6, vcc_lo, s6
	s_wait_alu 0xfffe
	s_and_not1_b32 exec_lo, exec_lo, s6
	s_cbranch_execnz .LBB42_161
.LBB42_166:
	s_or_b32 exec_lo, exec_lo, s1
	s_add_co_i32 s1, s34, -1
	v_add_co_u32 v10, s3, s20, v0
	s_wait_alu 0xfffe
	s_ashr_i32 s2, s1, 1
	v_add_co_ci_u32_e64 v11, null, s21, 0, s3
	s_wait_alu 0xfffe
	s_or_b32 s1, s2, s1
	s_wait_loadcnt 0x0
	s_wait_alu 0xfffe
	s_ashr_i32 s2, s1, 2
	s_barrier_signal -1
	s_wait_alu 0xfffe
	s_or_b32 s1, s2, s1
	s_barrier_wait -1
	s_wait_alu 0xfffe
	s_ashr_i32 s2, s1, 4
	global_inv scope:SCOPE_SE
	s_wait_alu 0xfffe
	s_or_b32 s1, s2, s1
	s_wait_alu 0xfffe
	s_ashr_i32 s2, s1, 8
	s_wait_alu 0xfffe
	s_or_b32 s1, s2, s1
	s_wait_alu 0xfffe
	s_ashr_i32 s2, s1, 16
	s_wait_alu 0xfffe
	s_or_b32 s2, s2, s1
	s_mov_b32 s1, -1
	s_wait_alu 0xfffe
	s_add_co_i32 s2, s2, 1
	s_wait_alu 0xfffe
	s_ashr_i32 s2, s2, 1
	s_wait_alu 0xfffe
	s_cmp_gt_i32 s2, 1
	s_cbranch_scc1 .LBB42_179
; %bb.167:
	s_mov_b32 s1, exec_lo
	v_cmpx_gt_i64_e64 s[22:23], v[10:11]
	s_cbranch_execz .LBB42_178
; %bb.168:
	s_sub_co_i32 s0, s0, s22
	v_dual_mov_b32 v13, v11 :: v_dual_mov_b32 v12, v10
	s_lshl_b32 s5, s8, 4
	s_wait_alu 0xfffe
	s_lshl_b32 s0, s0, 4
	s_mov_b32 s3, 0
	s_wait_alu 0xfffe
	s_addk_co_i32 s0, 0x4000
	s_sub_co_i32 s5, 0, s5
.LBB42_169:                             ; =>This Loop Header: Depth=1
                                        ;     Child Loop BB42_171 Depth 2
                                        ;     Child Loop BB42_174 Depth 2
	;; [unrolled: 1-line block ×3, first 2 shown]
	v_lshlrev_b64_e32 v[2:3], 3, v[12:13]
	v_mov_b32_e32 v14, 0
	v_dual_mov_b32 v15, 0 :: v_dual_mov_b32 v6, 0
	v_mov_b32_e32 v7, 0
	s_mov_b32 s6, exec_lo
	s_delay_alu instid0(VALU_DEP_4)
	v_add_co_u32 v2, vcc_lo, s12, v2
	s_wait_alu 0xfffd
	v_add_co_ci_u32_e64 v3, null, s13, v3, vcc_lo
	global_load_b128 v[2:5], v[2:3], off
	s_wait_loadcnt 0x0
	v_cmpx_lt_i64_e64 v[2:3], v[4:5]
	s_cbranch_execz .LBB42_173
; %bb.170:                              ;   in Loop: Header=BB42_169 Depth=1
	v_sub_co_u32 v4, vcc_lo, v4, s8
	s_wait_alu 0xfffd
	v_subrev_co_ci_u32_e64 v5, null, s9, v5, vcc_lo
	v_sub_co_u32 v8, vcc_lo, v2, s8
	v_mov_b32_e32 v14, 0
	v_dual_mov_b32 v15, 0 :: v_dual_mov_b32 v6, 0
	s_wait_alu 0xfffd
	v_subrev_co_ci_u32_e64 v9, null, s9, v3, vcc_lo
	v_mov_b32_e32 v7, 0
	s_wait_alu 0xfffe
	v_lshl_add_u32 v2, v2, 4, s5
	s_mov_b32 s7, 0
.LBB42_171:                             ;   Parent Loop BB42_169 Depth=1
                                        ; =>  This Inner Loop Header: Depth=2
	ds_load_b128 v[16:19], v2
	v_add_co_u32 v8, vcc_lo, v8, 1
	s_wait_alu 0xfffd
	v_add_co_ci_u32_e64 v9, null, 0, v9, vcc_lo
	v_add_nc_u32_e32 v2, 16, v2
	s_delay_alu instid0(VALU_DEP_2)
	v_cmp_ge_i64_e32 vcc_lo, v[8:9], v[4:5]
	s_wait_alu 0xfffe
	s_or_b32 s7, vcc_lo, s7
	s_wait_dscnt 0x0
	v_add_f64_e32 v[6:7], v[6:7], v[16:17]
	v_add_f64_e32 v[14:15], v[14:15], v[18:19]
	s_wait_alu 0xfffe
	s_and_not1_b32 exec_lo, exec_lo, s7
	s_cbranch_execnz .LBB42_171
; %bb.172:                              ;   in Loop: Header=BB42_169 Depth=1
	s_or_b32 exec_lo, exec_lo, s7
.LBB42_173:                             ;   in Loop: Header=BB42_169 Depth=1
	s_wait_alu 0xfffe
	s_or_b32 exec_lo, exec_lo, s6
	v_lshlrev_b64_e32 v[2:3], 4, v[12:13]
	s_mov_b32 s6, 0
	s_delay_alu instid0(VALU_DEP_1) | instskip(SKIP_1) | instid1(VALU_DEP_2)
	v_add_co_u32 v16, vcc_lo, s10, v2
	s_wait_alu 0xfffd
	v_add_co_ci_u32_e64 v17, null, s11, v3, vcc_lo
	v_lshl_add_u32 v2, v12, 4, s0
	global_load_b64 v[8:9], v[16:17], off
	ds_load_2addr_b64 v[2:5], v2 offset1:1
	s_wait_dscnt 0x0
	v_add_f64_e32 v[2:3], v[6:7], v[2:3]
.LBB42_174:                             ;   Parent Loop BB42_169 Depth=1
                                        ; =>  This Inner Loop Header: Depth=2
	s_wait_loadcnt 0x0
	s_delay_alu instid0(VALU_DEP_1)
	v_add_f64_e32 v[6:7], v[8:9], v[2:3]
	global_atomic_cmpswap_b64 v[6:7], v[16:17], v[6:9], off th:TH_ATOMIC_RETURN scope:SCOPE_DEV
	s_wait_loadcnt 0x0
	v_cmp_eq_u64_e32 vcc_lo, v[6:7], v[8:9]
	v_dual_mov_b32 v9, v7 :: v_dual_mov_b32 v8, v6
	s_wait_alu 0xfffe
	s_or_b32 s6, vcc_lo, s6
	s_wait_alu 0xfffe
	s_and_not1_b32 exec_lo, exec_lo, s6
	s_cbranch_execnz .LBB42_174
; %bb.175:                              ;   in Loop: Header=BB42_169 Depth=1
	s_or_b32 exec_lo, exec_lo, s6
	global_load_b64 v[6:7], v[16:17], off offset:8
	v_add_f64_e32 v[2:3], v[14:15], v[4:5]
	s_mov_b32 s6, 0
.LBB42_176:                             ;   Parent Loop BB42_169 Depth=1
                                        ; =>  This Inner Loop Header: Depth=2
	s_wait_loadcnt 0x0
	s_delay_alu instid0(VALU_DEP_1)
	v_add_f64_e32 v[4:5], v[6:7], v[2:3]
	global_atomic_cmpswap_b64 v[4:5], v[16:17], v[4:7], off offset:8 th:TH_ATOMIC_RETURN scope:SCOPE_DEV
	s_wait_loadcnt 0x0
	v_cmp_eq_u64_e32 vcc_lo, v[4:5], v[6:7]
	v_dual_mov_b32 v7, v5 :: v_dual_mov_b32 v6, v4
	s_wait_alu 0xfffe
	s_or_b32 s6, vcc_lo, s6
	s_wait_alu 0xfffe
	s_and_not1_b32 exec_lo, exec_lo, s6
	s_cbranch_execnz .LBB42_176
; %bb.177:                              ;   in Loop: Header=BB42_169 Depth=1
	s_or_b32 exec_lo, exec_lo, s6
	v_add_co_u32 v12, vcc_lo, v12, s28
	s_wait_alu 0xfffd
	v_add_co_ci_u32_e64 v13, null, 0, v13, vcc_lo
	s_delay_alu instid0(VALU_DEP_1)
	v_cmp_le_i64_e32 vcc_lo, s[22:23], v[12:13]
	s_or_b32 s3, vcc_lo, s3
	s_wait_alu 0xfffe
	s_and_not1_b32 exec_lo, exec_lo, s3
	s_cbranch_execnz .LBB42_169
.LBB42_178:
	s_wait_alu 0xfffe
	s_or_b32 exec_lo, exec_lo, s1
	s_mov_b32 s1, 0
.LBB42_179:
	s_wait_alu 0xfffe
	s_and_not1_b32 vcc_lo, exec_lo, s1
	s_wait_alu 0xfffe
	s_cbranch_vccnz .LBB42_199
; %bb.180:
	s_cvt_f32_u32 s0, s2
	s_sub_co_i32 s1, 0, s2
	s_wait_alu 0xfffe
	s_delay_alu instid0(SALU_CYCLE_1) | instskip(NEXT) | instid1(TRANS32_DEP_1)
	v_rcp_iflag_f32_e32 v2, s0
	v_readfirstlane_b32 s0, v2
	s_mul_f32 s0, s0, 0x4f7ffffe
	s_wait_alu 0xfffe
	s_delay_alu instid0(SALU_CYCLE_2) | instskip(SKIP_1) | instid1(SALU_CYCLE_2)
	s_cvt_u32_f32 s0, s0
	s_wait_alu 0xfffe
	s_mul_i32 s3, s1, s0
	s_wait_alu 0xfffe
	s_mul_hi_u32 s3, s0, s3
	s_wait_alu 0xfffe
	s_add_co_i32 s0, s0, s3
	s_mov_b32 s3, 0
	s_wait_alu 0xfffe
	v_mul_hi_u32 v2, v0, s0
	s_mov_b32 s0, exec_lo
	s_delay_alu instid0(VALU_DEP_1) | instskip(SKIP_1) | instid1(VALU_DEP_2)
	v_mul_lo_u32 v3, v2, s2
	v_add_nc_u32_e32 v4, 1, v2
	v_sub_nc_u32_e32 v3, v0, v3
	s_delay_alu instid0(VALU_DEP_1) | instskip(SKIP_3) | instid1(VALU_DEP_3)
	v_subrev_nc_u32_e32 v5, s2, v3
	v_cmp_le_u32_e32 vcc_lo, s2, v3
	s_wait_alu 0xfffd
	v_cndmask_b32_e32 v2, v2, v4, vcc_lo
	v_dual_cndmask_b32 v4, v3, v5 :: v_dual_mov_b32 v3, 0
	s_delay_alu instid0(VALU_DEP_2) | instskip(NEXT) | instid1(VALU_DEP_2)
	v_add_nc_u32_e32 v5, 1, v2
	v_cmp_le_u32_e32 vcc_lo, s2, v4
	s_wait_alu 0xfffd
	s_delay_alu instid0(VALU_DEP_2) | instskip(NEXT) | instid1(VALU_DEP_1)
	v_cndmask_b32_e32 v2, v2, v5, vcc_lo
	v_lshlrev_b64_e32 v[4:5], 3, v[2:3]
	s_delay_alu instid0(VALU_DEP_1) | instskip(SKIP_1) | instid1(VALU_DEP_2)
	v_add_co_u32 v4, vcc_lo, s30, v4
	s_wait_alu 0xfffd
	v_add_co_ci_u32_e64 v5, null, s31, v5, vcc_lo
	global_load_b128 v[6:9], v[4:5], off
	v_mov_b32_e32 v4, v3
	s_wait_loadcnt 0x0
	v_sub_co_u32 v6, vcc_lo, v6, s8
	s_wait_alu 0xfffd
	v_subrev_co_ci_u32_e64 v7, null, s9, v7, vcc_lo
	v_sub_co_u32 v15, vcc_lo, v8, s8
	s_wait_alu 0xfffd
	v_subrev_co_ci_u32_e64 v16, null, s9, v9, vcc_lo
                                        ; implicit-def: $vgpr8_vgpr9
	s_delay_alu instid0(VALU_DEP_2) | instskip(SKIP_1) | instid1(VALU_DEP_2)
	v_sub_co_u32 v12, vcc_lo, v15, v6
	s_wait_alu 0xfffd
	v_sub_co_ci_u32_e64 v5, null, v16, v7, vcc_lo
	s_delay_alu instid0(VALU_DEP_1)
	v_cmpx_ne_u64_e32 0, v[4:5]
	s_wait_alu 0xfffe
	s_xor_b32 s5, exec_lo, s0
	s_cbranch_execz .LBB42_182
; %bb.181:
	s_add_nc_u64 s[6:7], s[2:3], 0
	s_mov_b32 s15, s3
	s_wait_alu 0xfffe
	s_xor_b64 s[6:7], s[6:7], 0
	s_mov_b32 s19, s3
	s_wait_alu 0xfffe
	s_cvt_f32_u32 s0, s6
	s_cvt_f32_u32 s8, s7
	s_sub_nc_u64 s[12:13], 0, s[6:7]
	v_ashrrev_i32_e32 v14, 31, v5
	s_wait_alu 0xfffe
	s_fmamk_f32 s0, s8, 0x4f800000, s0
	s_delay_alu instid0(VALU_DEP_1) | instskip(SKIP_1) | instid1(SALU_CYCLE_1)
	v_add_co_u32 v4, vcc_lo, v12, v14
	s_wait_alu 0xfffe
	v_s_rcp_f32 s0, s0
	s_wait_alu 0xfffd
	v_add_co_ci_u32_e64 v5, null, v5, v14, vcc_lo
	v_xor_b32_e32 v17, v4, v14
	s_delay_alu instid0(VALU_DEP_2) | instskip(NEXT) | instid1(TRANS32_DEP_1)
	v_xor_b32_e32 v18, v5, v14
	s_mul_f32 s0, s0, 0x5f7ffffc
	s_wait_alu 0xfffe
	s_delay_alu instid0(SALU_CYCLE_2) | instskip(SKIP_1) | instid1(SALU_CYCLE_2)
	s_mul_f32 s8, s0, 0x2f800000
	s_wait_alu 0xfffe
	s_trunc_f32 s8, s8
	s_wait_alu 0xfffe
	s_delay_alu instid0(SALU_CYCLE_2) | instskip(SKIP_2) | instid1(SALU_CYCLE_1)
	s_fmamk_f32 s0, s8, 0xcf800000, s0
	s_cvt_u32_f32 s9, s8
	s_wait_alu 0xfffe
	s_cvt_u32_f32 s8, s0
	s_wait_alu 0xfffe
	s_delay_alu instid0(SALU_CYCLE_2)
	s_mul_u64 s[16:17], s[12:13], s[8:9]
	s_wait_alu 0xfffe
	s_mul_hi_u32 s21, s8, s17
	s_mul_i32 s20, s8, s17
	s_mul_hi_u32 s14, s8, s16
	s_mul_i32 s18, s9, s16
	s_wait_alu 0xfffe
	s_add_nc_u64 s[14:15], s[14:15], s[20:21]
	s_mul_hi_u32 s0, s9, s16
	s_mul_hi_u32 s22, s9, s17
	s_wait_alu 0xfffe
	s_add_co_u32 s14, s14, s18
	s_add_co_ci_u32 s18, s15, s0
	s_mul_i32 s16, s9, s17
	s_add_co_ci_u32 s17, s22, 0
	s_wait_alu 0xfffe
	s_add_nc_u64 s[14:15], s[18:19], s[16:17]
	s_mov_b32 s17, s3
	s_wait_alu 0xfffe
	s_add_co_u32 s8, s8, s14
	s_cselect_b32 s0, -1, 0
	s_wait_alu 0xfffe
	s_cmp_lg_u32 s0, 0
	s_add_co_ci_u32 s9, s9, s15
	s_mov_b32 s15, s3
	s_wait_alu 0xfffe
	s_mul_u64 s[12:13], s[12:13], s[8:9]
	s_wait_alu 0xfffe
	s_mul_hi_u32 s19, s8, s13
	s_mul_i32 s18, s8, s13
	s_mul_hi_u32 s16, s8, s12
	s_mul_i32 s3, s9, s12
	s_wait_alu 0xfffe
	s_add_nc_u64 s[16:17], s[16:17], s[18:19]
	s_mul_hi_u32 s0, s9, s12
	s_mul_hi_u32 s20, s9, s13
	s_wait_alu 0xfffe
	s_add_co_u32 s3, s16, s3
	s_add_co_ci_u32 s14, s17, s0
	s_mul_i32 s12, s9, s13
	s_add_co_ci_u32 s13, s20, 0
	s_wait_alu 0xfffe
	s_add_nc_u64 s[12:13], s[14:15], s[12:13]
	s_wait_alu 0xfffe
	s_add_co_u32 s0, s8, s12
	s_cselect_b32 s3, -1, 0
	s_wait_alu 0xfffe
	v_mul_hi_u32 v19, v17, s0
	s_cmp_lg_u32 s3, 0
	v_mad_co_u64_u32 v[8:9], null, v18, s0, 0
	s_add_co_ci_u32 s3, s9, s13
	s_wait_alu 0xfffe
	v_mad_co_u64_u32 v[4:5], null, v17, s3, 0
	v_mad_co_u64_u32 v[12:13], null, v18, s3, 0
	s_delay_alu instid0(VALU_DEP_2) | instskip(SKIP_1) | instid1(VALU_DEP_3)
	v_add_co_u32 v4, vcc_lo, v19, v4
	s_wait_alu 0xfffd
	v_add_co_ci_u32_e64 v5, null, 0, v5, vcc_lo
	s_delay_alu instid0(VALU_DEP_2) | instskip(SKIP_1) | instid1(VALU_DEP_2)
	v_add_co_u32 v4, vcc_lo, v4, v8
	s_wait_alu 0xfffd
	v_add_co_ci_u32_e32 v4, vcc_lo, v5, v9, vcc_lo
	s_wait_alu 0xfffd
	v_add_co_ci_u32_e32 v5, vcc_lo, 0, v13, vcc_lo
	s_delay_alu instid0(VALU_DEP_2) | instskip(SKIP_1) | instid1(VALU_DEP_2)
	v_add_co_u32 v8, vcc_lo, v4, v12
	s_wait_alu 0xfffd
	v_add_co_ci_u32_e64 v9, null, 0, v5, vcc_lo
	s_delay_alu instid0(VALU_DEP_2) | instskip(SKIP_1) | instid1(VALU_DEP_3)
	v_mul_lo_u32 v12, s7, v8
	v_mad_co_u64_u32 v[4:5], null, s6, v8, 0
	v_mul_lo_u32 v13, s6, v9
	s_delay_alu instid0(VALU_DEP_2) | instskip(NEXT) | instid1(VALU_DEP_2)
	v_sub_co_u32 v4, vcc_lo, v17, v4
	v_add3_u32 v5, v5, v13, v12
	v_add_co_u32 v13, s0, v8, 2
	s_wait_alu 0xf1ff
	v_add_co_ci_u32_e64 v17, null, 0, v9, s0
	s_delay_alu instid0(VALU_DEP_3) | instskip(SKIP_3) | instid1(VALU_DEP_3)
	v_sub_nc_u32_e32 v12, v18, v5
	v_sub_co_u32 v19, s0, v4, s6
	s_wait_alu 0xfffd
	v_sub_co_ci_u32_e64 v5, null, v18, v5, vcc_lo
	v_subrev_co_ci_u32_e64 v12, null, s7, v12, vcc_lo
	s_delay_alu instid0(VALU_DEP_3) | instskip(SKIP_1) | instid1(VALU_DEP_2)
	v_cmp_le_u32_e32 vcc_lo, s6, v19
	s_wait_alu 0xf1ff
	v_subrev_co_ci_u32_e64 v12, null, 0, v12, s0
	s_wait_alu 0xfffd
	v_cndmask_b32_e64 v18, 0, -1, vcc_lo
	v_cmp_eq_u32_e64 s0, s7, v5
	s_delay_alu instid0(VALU_DEP_3)
	v_cmp_le_u32_e32 vcc_lo, s7, v12
	s_wait_alu 0xfffd
	v_cndmask_b32_e64 v19, 0, -1, vcc_lo
	v_cmp_le_u32_e32 vcc_lo, s6, v4
	s_wait_alu 0xfffd
	v_cndmask_b32_e64 v4, 0, -1, vcc_lo
	;; [unrolled: 3-line block ×3, first 2 shown]
	v_cmp_eq_u32_e32 vcc_lo, s7, v12
	s_wait_alu 0xf1ff
	s_delay_alu instid0(VALU_DEP_2)
	v_cndmask_b32_e64 v4, v20, v4, s0
	s_wait_alu 0xfffd
	v_cndmask_b32_e32 v12, v19, v18, vcc_lo
	v_add_co_u32 v18, vcc_lo, v8, 1
	s_wait_alu 0xfffd
	v_add_co_ci_u32_e64 v19, null, 0, v9, vcc_lo
	s_delay_alu instid0(VALU_DEP_3) | instskip(SKIP_1) | instid1(VALU_DEP_2)
	v_cmp_ne_u32_e32 vcc_lo, 0, v12
	s_wait_alu 0xfffd
	v_cndmask_b32_e32 v5, v19, v17, vcc_lo
	v_cndmask_b32_e32 v12, v18, v13, vcc_lo
	v_cmp_ne_u32_e32 vcc_lo, 0, v4
	s_wait_alu 0xfffd
	s_delay_alu instid0(VALU_DEP_2) | instskip(NEXT) | instid1(VALU_DEP_1)
	v_dual_cndmask_b32 v4, v9, v5 :: v_dual_cndmask_b32 v5, v8, v12
                                        ; implicit-def: $vgpr12
	v_xor_b32_e32 v4, v4, v14
	s_delay_alu instid0(VALU_DEP_2) | instskip(NEXT) | instid1(VALU_DEP_1)
	v_xor_b32_e32 v5, v5, v14
	v_sub_co_u32 v8, vcc_lo, v5, v14
	s_wait_alu 0xfffd
	s_delay_alu instid0(VALU_DEP_3)
	v_sub_co_ci_u32_e64 v9, null, v4, v14, vcc_lo
.LBB42_182:
	s_wait_alu 0xfffe
	s_and_not1_saveexec_b32 s0, s5
	s_cbranch_execz .LBB42_184
; %bb.183:
	v_cvt_f32_u32_e32 v4, s2
	s_delay_alu instid0(VALU_DEP_1) | instskip(NEXT) | instid1(TRANS32_DEP_1)
	v_rcp_iflag_f32_e32 v4, v4
	v_mul_f32_e32 v4, 0x4f7ffffe, v4
	s_delay_alu instid0(VALU_DEP_1) | instskip(NEXT) | instid1(VALU_DEP_1)
	v_cvt_u32_f32_e32 v4, v4
	v_mul_lo_u32 v5, s1, v4
	s_delay_alu instid0(VALU_DEP_1) | instskip(NEXT) | instid1(VALU_DEP_1)
	v_mul_hi_u32 v5, v4, v5
	v_add_nc_u32_e32 v4, v4, v5
	s_delay_alu instid0(VALU_DEP_1) | instskip(NEXT) | instid1(VALU_DEP_1)
	v_mul_hi_u32 v4, v12, v4
	v_mul_lo_u32 v5, v4, s2
	v_add_nc_u32_e32 v8, 1, v4
	s_delay_alu instid0(VALU_DEP_2) | instskip(NEXT) | instid1(VALU_DEP_1)
	v_sub_nc_u32_e32 v5, v12, v5
	v_subrev_nc_u32_e32 v9, s2, v5
	v_cmp_le_u32_e32 vcc_lo, s2, v5
	s_wait_alu 0xfffd
	s_delay_alu instid0(VALU_DEP_2) | instskip(SKIP_1) | instid1(VALU_DEP_2)
	v_dual_cndmask_b32 v5, v5, v9 :: v_dual_cndmask_b32 v4, v4, v8
	v_mov_b32_e32 v9, 0
	v_cmp_le_u32_e32 vcc_lo, s2, v5
	s_delay_alu instid0(VALU_DEP_3) | instskip(SKIP_1) | instid1(VALU_DEP_1)
	v_add_nc_u32_e32 v8, 1, v4
	s_wait_alu 0xfffd
	v_cndmask_b32_e32 v8, v4, v8, vcc_lo
.LBB42_184:
	s_wait_alu 0xfffe
	s_or_b32 exec_lo, exec_lo, s0
	v_mov_b32_e32 v4, 0
	v_cmp_gt_i64_e32 vcc_lo, s[24:25], v[2:3]
	v_dual_mov_b32 v5, 0 :: v_dual_mov_b32 v2, 0
	v_mov_b32_e32 v3, 0
	s_and_saveexec_b32 s0, vcc_lo
	s_cbranch_execz .LBB42_192
; %bb.185:
	s_add_co_i32 s1, s2, -1
	v_mov_b32_e32 v4, 0
	s_wait_alu 0xfffe
	v_dual_mov_b32 v5, 0 :: v_dual_and_b32 v12, s1, v0
	v_mov_b32_e32 v2, 0
	v_mov_b32_e32 v3, 0
	s_mov_b32 s1, exec_lo
	s_delay_alu instid0(VALU_DEP_3)
	v_lshlrev_b32_e32 v17, 4, v12
	v_cmpx_lt_i64_e32 0, v[8:9]
	s_cbranch_execz .LBB42_189
; %bb.186:
	v_mov_b32_e32 v4, 0
	v_dual_mov_b32 v5, 0 :: v_dual_mov_b32 v14, v9
	v_lshl_add_u32 v18, v6, 4, v17
	s_delay_alu instid0(VALU_DEP_3) | instskip(NEXT) | instid1(VALU_DEP_3)
	v_dual_mov_b32 v13, v8 :: v_dual_mov_b32 v2, v4
	v_mov_b32_e32 v3, v5
	s_lshl_b32 s5, s2, 4
	s_mov_b32 s3, 0
.LBB42_187:                             ; =>This Inner Loop Header: Depth=1
	ds_load_b128 v[19:22], v18
	v_add_co_u32 v13, vcc_lo, v13, -1
	s_wait_alu 0xfffd
	v_add_co_ci_u32_e64 v14, null, -1, v14, vcc_lo
	s_wait_alu 0xfffe
	v_add_nc_u32_e32 v18, s5, v18
	s_delay_alu instid0(VALU_DEP_2)
	v_cmp_eq_u64_e32 vcc_lo, 0, v[13:14]
	s_or_b32 s3, vcc_lo, s3
	s_wait_dscnt 0x0
	v_add_f64_e32 v[2:3], v[2:3], v[19:20]
	v_add_f64_e32 v[4:5], v[4:5], v[21:22]
	s_wait_alu 0xfffe
	s_and_not1_b32 exec_lo, exec_lo, s3
	s_cbranch_execnz .LBB42_187
; %bb.188:
	s_or_b32 exec_lo, exec_lo, s3
.LBB42_189:
	s_wait_alu 0xfffe
	s_or_b32 exec_lo, exec_lo, s1
	v_mad_co_u64_u32 v[6:7], null, v8, s2, v[6:7]
	v_mov_b32_e32 v13, 0
	s_mov_b32 s1, exec_lo
	s_delay_alu instid0(VALU_DEP_2) | instskip(NEXT) | instid1(VALU_DEP_3)
	v_mad_co_u64_u32 v[7:8], null, v9, s2, v[7:8]
	v_sub_co_u32 v8, vcc_lo, v15, v6
	s_wait_alu 0xfffd
	s_delay_alu instid0(VALU_DEP_2) | instskip(NEXT) | instid1(VALU_DEP_1)
	v_sub_co_ci_u32_e64 v9, null, v16, v7, vcc_lo
	v_cmpx_gt_i64_e64 v[8:9], v[12:13]
	s_cbranch_execz .LBB42_191
; %bb.190:
	v_lshl_add_u32 v6, v6, 4, v17
	ds_load_b128 v[6:9], v6
	s_wait_dscnt 0x0
	v_add_f64_e32 v[2:3], v[2:3], v[6:7]
	v_add_f64_e32 v[4:5], v[4:5], v[8:9]
.LBB42_191:
	s_wait_alu 0xfffe
	s_or_b32 exec_lo, exec_lo, s1
.LBB42_192:
	s_wait_alu 0xfffe
	s_or_b32 exec_lo, exec_lo, s0
	v_cmp_gt_i64_e32 vcc_lo, s[24:25], v[0:1]
	s_barrier_signal -1
	s_barrier_wait -1
	global_inv scope:SCOPE_SE
	ds_store_b128 v26, v[2:5]
	s_wait_loadcnt_dscnt 0x0
	s_barrier_signal -1
	s_barrier_wait -1
	global_inv scope:SCOPE_SE
	s_and_b32 exec_lo, exec_lo, vcc_lo
	s_cbranch_execz .LBB42_199
; %bb.193:
	v_mul_lo_u32 v1, s2, v0
	v_mov_b32_e32 v8, 0
	v_dual_mov_b32 v9, 0 :: v_dual_mov_b32 v4, 0
	v_mov_b32_e32 v5, 0
	s_delay_alu instid0(VALU_DEP_4)
	v_lshlrev_b32_e32 v1, 4, v1
.LBB42_194:                             ; =>This Inner Loop Header: Depth=1
	ds_load_b128 v[12:15], v1
	v_add_nc_u32_e32 v1, 16, v1
	s_add_co_i32 s2, s2, -1
	s_wait_alu 0xfffe
	s_cmp_eq_u32 s2, 0
	s_wait_dscnt 0x0
	v_add_f64_e32 v[4:5], v[4:5], v[12:13]
	v_add_f64_e32 v[8:9], v[8:9], v[14:15]
	s_cbranch_scc0 .LBB42_194
; %bb.195:
	v_lshlrev_b64_e32 v[1:2], 4, v[10:11]
	v_lshlrev_b32_e32 v0, 4, v0
	s_lshl_b32 s0, s4, 4
	s_wait_alu 0xfffe
	s_delay_alu instid0(VALU_DEP_1) | instskip(NEXT) | instid1(VALU_DEP_3)
	v_add3_u32 v0, 0x4000, s0, v0
	v_add_co_u32 v10, vcc_lo, s10, v1
	s_wait_alu 0xfffd
	v_add_co_ci_u32_e64 v11, null, s11, v2, vcc_lo
	ds_load_2addr_b64 v[0:3], v0 offset1:1
	s_mov_b32 s0, 0
	global_load_b64 v[6:7], v[10:11], off
	s_wait_dscnt 0x0
	v_add_f64_e32 v[0:1], v[4:5], v[0:1]
.LBB42_196:                             ; =>This Inner Loop Header: Depth=1
	s_wait_loadcnt 0x0
	s_delay_alu instid0(VALU_DEP_1)
	v_add_f64_e32 v[4:5], v[6:7], v[0:1]
	global_atomic_cmpswap_b64 v[4:5], v[10:11], v[4:7], off th:TH_ATOMIC_RETURN scope:SCOPE_DEV
	s_wait_loadcnt 0x0
	v_cmp_eq_u64_e32 vcc_lo, v[4:5], v[6:7]
	v_dual_mov_b32 v7, v5 :: v_dual_mov_b32 v6, v4
	s_wait_alu 0xfffe
	s_or_b32 s0, vcc_lo, s0
	s_wait_alu 0xfffe
	s_and_not1_b32 exec_lo, exec_lo, s0
	s_cbranch_execnz .LBB42_196
; %bb.197:
	s_or_b32 exec_lo, exec_lo, s0
	global_load_b64 v[4:5], v[10:11], off offset:8
	v_add_f64_e32 v[0:1], v[8:9], v[2:3]
	s_mov_b32 s0, 0
.LBB42_198:                             ; =>This Inner Loop Header: Depth=1
	s_wait_loadcnt 0x0
	s_delay_alu instid0(VALU_DEP_1)
	v_add_f64_e32 v[2:3], v[4:5], v[0:1]
	global_atomic_cmpswap_b64 v[2:3], v[10:11], v[2:5], off offset:8 th:TH_ATOMIC_RETURN scope:SCOPE_DEV
	s_wait_loadcnt 0x0
	v_cmp_eq_u64_e32 vcc_lo, v[2:3], v[4:5]
	v_dual_mov_b32 v5, v3 :: v_dual_mov_b32 v4, v2
	s_wait_alu 0xfffe
	s_or_b32 s0, vcc_lo, s0
	s_wait_alu 0xfffe
	s_and_not1_b32 exec_lo, exec_lo, s0
	s_cbranch_execnz .LBB42_198
.LBB42_199:
	s_endpgm
	.section	.rodata,"a",@progbits
	.p2align	6, 0x0
	.amdhsa_kernel _ZN9rocsparseL27csrmvn_symm_adaptive_kernelIll21rocsparse_complex_numIdES2_S2_S2_EEvbT_S3_PKS3_NS_24const_host_device_scalarIT4_EES5_PKT0_PKT1_PKT2_S8_PT3_21rocsparse_index_base_b
		.amdhsa_group_segment_fixed_size 16384
		.amdhsa_private_segment_fixed_size 0
		.amdhsa_kernarg_size 368
		.amdhsa_user_sgpr_count 2
		.amdhsa_user_sgpr_dispatch_ptr 0
		.amdhsa_user_sgpr_queue_ptr 0
		.amdhsa_user_sgpr_kernarg_segment_ptr 1
		.amdhsa_user_sgpr_dispatch_id 0
		.amdhsa_user_sgpr_private_segment_size 0
		.amdhsa_wavefront_size32 1
		.amdhsa_uses_dynamic_stack 0
		.amdhsa_enable_private_segment 0
		.amdhsa_system_sgpr_workgroup_id_x 1
		.amdhsa_system_sgpr_workgroup_id_y 0
		.amdhsa_system_sgpr_workgroup_id_z 0
		.amdhsa_system_sgpr_workgroup_info 0
		.amdhsa_system_vgpr_workitem_id 0
		.amdhsa_next_free_vgpr 37
		.amdhsa_next_free_sgpr 42
		.amdhsa_reserve_vcc 1
		.amdhsa_float_round_mode_32 0
		.amdhsa_float_round_mode_16_64 0
		.amdhsa_float_denorm_mode_32 3
		.amdhsa_float_denorm_mode_16_64 3
		.amdhsa_fp16_overflow 0
		.amdhsa_workgroup_processor_mode 1
		.amdhsa_memory_ordered 1
		.amdhsa_forward_progress 1
		.amdhsa_inst_pref_size 103
		.amdhsa_round_robin_scheduling 0
		.amdhsa_exception_fp_ieee_invalid_op 0
		.amdhsa_exception_fp_denorm_src 0
		.amdhsa_exception_fp_ieee_div_zero 0
		.amdhsa_exception_fp_ieee_overflow 0
		.amdhsa_exception_fp_ieee_underflow 0
		.amdhsa_exception_fp_ieee_inexact 0
		.amdhsa_exception_int_div_zero 0
	.end_amdhsa_kernel
	.section	.text._ZN9rocsparseL27csrmvn_symm_adaptive_kernelIll21rocsparse_complex_numIdES2_S2_S2_EEvbT_S3_PKS3_NS_24const_host_device_scalarIT4_EES5_PKT0_PKT1_PKT2_S8_PT3_21rocsparse_index_base_b,"axG",@progbits,_ZN9rocsparseL27csrmvn_symm_adaptive_kernelIll21rocsparse_complex_numIdES2_S2_S2_EEvbT_S3_PKS3_NS_24const_host_device_scalarIT4_EES5_PKT0_PKT1_PKT2_S8_PT3_21rocsparse_index_base_b,comdat
.Lfunc_end42:
	.size	_ZN9rocsparseL27csrmvn_symm_adaptive_kernelIll21rocsparse_complex_numIdES2_S2_S2_EEvbT_S3_PKS3_NS_24const_host_device_scalarIT4_EES5_PKT0_PKT1_PKT2_S8_PT3_21rocsparse_index_base_b, .Lfunc_end42-_ZN9rocsparseL27csrmvn_symm_adaptive_kernelIll21rocsparse_complex_numIdES2_S2_S2_EEvbT_S3_PKS3_NS_24const_host_device_scalarIT4_EES5_PKT0_PKT1_PKT2_S8_PT3_21rocsparse_index_base_b
                                        ; -- End function
	.set _ZN9rocsparseL27csrmvn_symm_adaptive_kernelIll21rocsparse_complex_numIdES2_S2_S2_EEvbT_S3_PKS3_NS_24const_host_device_scalarIT4_EES5_PKT0_PKT1_PKT2_S8_PT3_21rocsparse_index_base_b.num_vgpr, 37
	.set _ZN9rocsparseL27csrmvn_symm_adaptive_kernelIll21rocsparse_complex_numIdES2_S2_S2_EEvbT_S3_PKS3_NS_24const_host_device_scalarIT4_EES5_PKT0_PKT1_PKT2_S8_PT3_21rocsparse_index_base_b.num_agpr, 0
	.set _ZN9rocsparseL27csrmvn_symm_adaptive_kernelIll21rocsparse_complex_numIdES2_S2_S2_EEvbT_S3_PKS3_NS_24const_host_device_scalarIT4_EES5_PKT0_PKT1_PKT2_S8_PT3_21rocsparse_index_base_b.numbered_sgpr, 42
	.set _ZN9rocsparseL27csrmvn_symm_adaptive_kernelIll21rocsparse_complex_numIdES2_S2_S2_EEvbT_S3_PKS3_NS_24const_host_device_scalarIT4_EES5_PKT0_PKT1_PKT2_S8_PT3_21rocsparse_index_base_b.num_named_barrier, 0
	.set _ZN9rocsparseL27csrmvn_symm_adaptive_kernelIll21rocsparse_complex_numIdES2_S2_S2_EEvbT_S3_PKS3_NS_24const_host_device_scalarIT4_EES5_PKT0_PKT1_PKT2_S8_PT3_21rocsparse_index_base_b.private_seg_size, 0
	.set _ZN9rocsparseL27csrmvn_symm_adaptive_kernelIll21rocsparse_complex_numIdES2_S2_S2_EEvbT_S3_PKS3_NS_24const_host_device_scalarIT4_EES5_PKT0_PKT1_PKT2_S8_PT3_21rocsparse_index_base_b.uses_vcc, 1
	.set _ZN9rocsparseL27csrmvn_symm_adaptive_kernelIll21rocsparse_complex_numIdES2_S2_S2_EEvbT_S3_PKS3_NS_24const_host_device_scalarIT4_EES5_PKT0_PKT1_PKT2_S8_PT3_21rocsparse_index_base_b.uses_flat_scratch, 0
	.set _ZN9rocsparseL27csrmvn_symm_adaptive_kernelIll21rocsparse_complex_numIdES2_S2_S2_EEvbT_S3_PKS3_NS_24const_host_device_scalarIT4_EES5_PKT0_PKT1_PKT2_S8_PT3_21rocsparse_index_base_b.has_dyn_sized_stack, 0
	.set _ZN9rocsparseL27csrmvn_symm_adaptive_kernelIll21rocsparse_complex_numIdES2_S2_S2_EEvbT_S3_PKS3_NS_24const_host_device_scalarIT4_EES5_PKT0_PKT1_PKT2_S8_PT3_21rocsparse_index_base_b.has_recursion, 0
	.set _ZN9rocsparseL27csrmvn_symm_adaptive_kernelIll21rocsparse_complex_numIdES2_S2_S2_EEvbT_S3_PKS3_NS_24const_host_device_scalarIT4_EES5_PKT0_PKT1_PKT2_S8_PT3_21rocsparse_index_base_b.has_indirect_call, 0
	.section	.AMDGPU.csdata,"",@progbits
; Kernel info:
; codeLenInByte = 13136
; TotalNumSgprs: 44
; NumVgprs: 37
; ScratchSize: 0
; MemoryBound: 0
; FloatMode: 240
; IeeeMode: 1
; LDSByteSize: 16384 bytes/workgroup (compile time only)
; SGPRBlocks: 0
; VGPRBlocks: 4
; NumSGPRsForWavesPerEU: 44
; NumVGPRsForWavesPerEU: 37
; Occupancy: 16
; WaveLimiterHint : 1
; COMPUTE_PGM_RSRC2:SCRATCH_EN: 0
; COMPUTE_PGM_RSRC2:USER_SGPR: 2
; COMPUTE_PGM_RSRC2:TRAP_HANDLER: 0
; COMPUTE_PGM_RSRC2:TGID_X_EN: 1
; COMPUTE_PGM_RSRC2:TGID_Y_EN: 0
; COMPUTE_PGM_RSRC2:TGID_Z_EN: 0
; COMPUTE_PGM_RSRC2:TIDIG_COMP_CNT: 0
	.section	.text._ZL33csrmvn_symm_large_adaptive_kernelIll21rocsparse_complex_numIdES1_S1_S1_EvbT_PKS2_N9rocsparse24const_host_device_scalarIT4_EES4_PKT0_PKT1_PKT2_S8_PT3_21rocsparse_index_base_b,"axG",@progbits,_ZL33csrmvn_symm_large_adaptive_kernelIll21rocsparse_complex_numIdES1_S1_S1_EvbT_PKS2_N9rocsparse24const_host_device_scalarIT4_EES4_PKT0_PKT1_PKT2_S8_PT3_21rocsparse_index_base_b,comdat
	.globl	_ZL33csrmvn_symm_large_adaptive_kernelIll21rocsparse_complex_numIdES1_S1_S1_EvbT_PKS2_N9rocsparse24const_host_device_scalarIT4_EES4_PKT0_PKT1_PKT2_S8_PT3_21rocsparse_index_base_b ; -- Begin function _ZL33csrmvn_symm_large_adaptive_kernelIll21rocsparse_complex_numIdES1_S1_S1_EvbT_PKS2_N9rocsparse24const_host_device_scalarIT4_EES4_PKT0_PKT1_PKT2_S8_PT3_21rocsparse_index_base_b
	.p2align	8
	.type	_ZL33csrmvn_symm_large_adaptive_kernelIll21rocsparse_complex_numIdES1_S1_S1_EvbT_PKS2_N9rocsparse24const_host_device_scalarIT4_EES4_PKT0_PKT1_PKT2_S8_PT3_21rocsparse_index_base_b,@function
_ZL33csrmvn_symm_large_adaptive_kernelIll21rocsparse_complex_numIdES1_S1_S1_EvbT_PKS2_N9rocsparse24const_host_device_scalarIT4_EES4_PKT0_PKT1_PKT2_S8_PT3_21rocsparse_index_base_b: ; @_ZL33csrmvn_symm_large_adaptive_kernelIll21rocsparse_complex_numIdES1_S1_S1_EvbT_PKS2_N9rocsparse24const_host_device_scalarIT4_EES4_PKT0_PKT1_PKT2_S8_PT3_21rocsparse_index_base_b
; %bb.0:
	s_clause 0x1
	s_load_b64 s[20:21], s[0:1], 0x60
	s_load_b64 s[4:5], s[0:1], 0x18
	s_add_nc_u64 s[6:7], s[0:1], 24
	s_wait_kmcnt 0x0
	s_bitcmp1_b32 s21, 0
	s_cselect_b32 s3, -1, 0
	s_delay_alu instid0(SALU_CYCLE_1) | instskip(SKIP_2) | instid1(SALU_CYCLE_1)
	s_and_b32 s2, s3, exec_lo
	s_cselect_b32 s2, s6, s4
	s_cselect_b32 s4, s7, s5
	v_dual_mov_b32 v1, s2 :: v_dual_mov_b32 v2, s4
	flat_load_b128 v[1:4], v[1:2]
	s_wait_loadcnt_dscnt 0x0
	v_cmp_eq_f64_e32 vcc_lo, 0, v[1:2]
	v_cmp_eq_f64_e64 s2, 0, v[3:4]
	s_and_b32 s5, vcc_lo, s2
	s_mov_b32 s2, -1
	s_wait_alu 0xfffe
	s_and_saveexec_b32 s4, s5
	s_cbranch_execz .LBB43_2
; %bb.1:
	s_load_b64 s[6:7], s[0:1], 0x48
	s_add_nc_u64 s[8:9], s[0:1], 0x48
	s_and_b32 s2, s3, exec_lo
	s_wait_kmcnt 0x0
	s_cselect_b32 s2, s8, s6
	s_cselect_b32 s3, s9, s7
	s_wait_alu 0xfffe
	v_dual_mov_b32 v5, s2 :: v_dual_mov_b32 v6, s3
	flat_load_b128 v[5:8], v[5:6]
	s_wait_loadcnt_dscnt 0x0
	v_cmp_neq_f64_e32 vcc_lo, 1.0, v[5:6]
	v_cmp_neq_f64_e64 s2, 0, v[7:8]
	s_or_b32 s2, vcc_lo, s2
	s_wait_alu 0xfffe
	s_or_not1_b32 s2, s2, exec_lo
.LBB43_2:
	s_wait_alu 0xfffe
	s_or_b32 exec_lo, exec_lo, s4
	s_and_saveexec_b32 s3, s2
	s_cbranch_execz .LBB43_45
; %bb.3:
	s_clause 0x1
	s_load_b32 s2, s[0:1], 0x0
	s_load_b64 s[10:11], s[0:1], 0x10
	s_mov_b32 s4, 0
	s_mov_b32 s8, ttmp9
	s_wait_alu 0xfffe
	s_mov_b32 s7, s4
	s_mov_b32 s5, s4
	;; [unrolled: 1-line block ×3, first 2 shown]
	v_dual_mov_b32 v8, s7 :: v_dual_lshlrev_b32 v15, 4, v0
	s_wait_alu 0xfffe
	v_dual_mov_b32 v7, s6 :: v_dual_mov_b32 v6, s5
	v_dual_mov_b32 v5, s4 :: v_dual_mov_b32 v18, 0
	ds_store_b128 v15, v[5:8]
	ds_store_b128 v15, v[5:8] offset:4096
	ds_store_b128 v15, v[5:8] offset:8192
	;; [unrolled: 1-line block ×3, first 2 shown]
	s_wait_dscnt 0x0
	s_barrier_signal -1
	s_barrier_wait -1
	s_wait_kmcnt 0x0
	s_bitcmp1_b32 s2, 0
	global_inv scope:SCOPE_SE
	s_cselect_b32 s2, -1, 0
	s_ashr_i32 s9, ttmp9, 31
	s_mov_b32 s21, s4
	s_lshl_b64 s[6:7], s[8:9], 3
	s_wait_alu 0xfffe
	s_add_nc_u64 s[6:7], s[10:11], s[6:7]
	s_load_b128 s[16:19], s[6:7], 0x0
	s_clause 0x1
	s_load_b64 s[22:23], s[0:1], 0x58
	s_load_b256 s[8:15], s[0:1], 0x28
	v_sub_co_u32 v16, s1, v0, s20
	s_delay_alu instid0(VALU_DEP_1)
	v_sub_co_ci_u32_e64 v17, null, 0, 0, s1
	s_wait_kmcnt 0x0
	v_cmp_ge_i64_e64 s0, s[16:17], s[18:19]
	s_and_b32 vcc_lo, exec_lo, s0
	s_cbranch_vccnz .LBB43_33
; %bb.4:
	v_cmp_gt_u32_e64 s0, 0x100, v0
	v_cmp_gt_u32_e64 s1, 64, v0
	;; [unrolled: 1-line block ×4, first 2 shown]
	v_cmp_eq_u32_e64 s5, 0, v0
	s_add_nc_u64 s[24:25], s[12:13], 8
	s_mov_b64 s[26:27], s[16:17]
	s_branch .LBB43_6
.LBB43_5:                               ;   in Loop: Header=BB43_6 Depth=1
	s_wait_alu 0xfffe
	s_or_b32 exec_lo, exec_lo, s28
	s_add_nc_u64 s[26:27], s[26:27], 1
	s_wait_alu 0xfffe
	v_cmp_ge_i64_e64 s6, s[26:27], s[18:19]
	s_and_b32 vcc_lo, exec_lo, s6
	s_wait_alu 0xfffe
	s_cbranch_vccnz .LBB43_33
.LBB43_6:                               ; =>This Loop Header: Depth=1
                                        ;     Child Loop BB43_8 Depth 2
                                        ;     Child Loop BB43_22 Depth 2
	;; [unrolled: 1-line block ×5, first 2 shown]
	s_lshl_b64 s[6:7], s[26:27], 3
	v_mov_b32_e32 v7, 0
	s_wait_alu 0xfffe
	s_add_nc_u64 s[6:7], s[8:9], s[6:7]
	v_dual_mov_b32 v8, 0 :: v_dual_mov_b32 v5, 0
	s_load_b128 s[28:31], s[6:7], 0x0
	v_mov_b32_e32 v6, 0
	s_mov_b32 s7, exec_lo
	s_wait_kmcnt 0x0
	v_add_co_u32 v9, vcc_lo, s28, v16
	s_wait_alu 0xfffd
	v_add_co_ci_u32_e64 v10, null, s29, v17, vcc_lo
	s_sub_nc_u64 s[28:29], s[30:31], s[20:21]
	s_wait_alu 0xfffe
	v_cmpx_gt_i64_e64 s[28:29], v[9:10]
	s_cbranch_execz .LBB43_10
; %bb.7:                                ;   in Loop: Header=BB43_6 Depth=1
	v_lshlrev_b64_e32 v[5:6], 3, v[9:10]
	v_lshlrev_b64_e32 v[13:14], 4, v[9:10]
	v_mov_b32_e32 v7, 0
	v_mov_b32_e32 v8, 0
	s_mov_b32 s30, 0
	s_delay_alu instid0(VALU_DEP_4)
	v_add_co_u32 v11, vcc_lo, s10, v5
	s_wait_alu 0xfffd
	v_add_co_ci_u32_e64 v12, null, s11, v6, vcc_lo
	v_add_co_u32 v13, vcc_lo, s24, v13
	s_wait_alu 0xfffd
	v_add_co_ci_u32_e64 v14, null, s25, v14, vcc_lo
	v_dual_mov_b32 v5, v7 :: v_dual_mov_b32 v6, v8
.LBB43_8:                               ;   Parent Loop BB43_6 Depth=1
                                        ; =>  This Inner Loop Header: Depth=2
	global_load_b64 v[19:20], v[11:12], off
	s_wait_loadcnt 0x0
	v_sub_co_u32 v19, vcc_lo, v19, s20
	s_wait_alu 0xfffd
	v_subrev_co_ci_u32_e64 v20, null, 0, v20, vcc_lo
	s_delay_alu instid0(VALU_DEP_1)
	v_lshlrev_b64_e32 v[23:24], 4, v[19:20]
	global_load_b128 v[19:22], v[13:14], off offset:-8
	v_add_co_u32 v13, s6, 0x1000, v13
	s_wait_alu 0xf1ff
	v_add_co_ci_u32_e64 v14, null, 0, v14, s6
	v_add_co_u32 v23, vcc_lo, s14, v23
	s_wait_alu 0xfffd
	v_add_co_ci_u32_e64 v24, null, s15, v24, vcc_lo
	v_add_co_u32 v9, vcc_lo, 0x100, v9
	s_wait_alu 0xfffd
	v_add_co_ci_u32_e64 v10, null, 0, v10, vcc_lo
	global_load_b128 v[23:26], v[23:24], off
	v_add_co_u32 v11, vcc_lo, 0x800, v11
	s_wait_alu 0xfffd
	v_add_co_ci_u32_e64 v12, null, 0, v12, vcc_lo
	v_cmp_le_i64_e32 vcc_lo, s[28:29], v[9:10]
	s_wait_alu 0xfffe
	s_or_b32 s30, vcc_lo, s30
	s_wait_loadcnt 0x1
	v_xor_b32_e32 v0, 0x80000000, v22
	s_delay_alu instid0(VALU_DEP_1) | instskip(SKIP_2) | instid1(VALU_DEP_2)
	v_cndmask_b32_e64 v22, v22, v0, s2
	s_wait_loadcnt 0x0
	v_fma_f64 v[5:6], v[19:20], v[23:24], v[5:6]
	v_fma_f64 v[7:8], v[21:22], v[23:24], v[7:8]
	s_delay_alu instid0(VALU_DEP_2) | instskip(NEXT) | instid1(VALU_DEP_2)
	v_fma_f64 v[5:6], -v[21:22], v[25:26], v[5:6]
	v_fma_f64 v[7:8], v[19:20], v[25:26], v[7:8]
	s_wait_alu 0xfffe
	s_and_not1_b32 exec_lo, exec_lo, s30
	s_cbranch_execnz .LBB43_8
; %bb.9:                                ;   in Loop: Header=BB43_6 Depth=1
	s_or_b32 exec_lo, exec_lo, s30
.LBB43_10:                              ;   in Loop: Header=BB43_6 Depth=1
	s_delay_alu instid0(SALU_CYCLE_1)
	s_or_b32 exec_lo, exec_lo, s7
	ds_store_b128 v15, v[5:8]
	s_wait_loadcnt_dscnt 0x0
	s_barrier_signal -1
	s_barrier_wait -1
	global_inv scope:SCOPE_SE
	s_and_saveexec_b32 s6, s0
	s_cbranch_execz .LBB43_12
; %bb.11:                               ;   in Loop: Header=BB43_6 Depth=1
	ds_load_b128 v[5:8], v15 offset:4096
	ds_load_b128 v[9:12], v15 offset:8192
	ds_load_b128 v[19:22], v15 offset:12288
	ds_load_b128 v[23:26], v15
	s_wait_dscnt 0x2
	v_add_f64_e32 v[5:6], v[9:10], v[5:6]
	v_add_f64_e32 v[7:8], v[11:12], v[7:8]
	s_wait_dscnt 0x1
	s_delay_alu instid0(VALU_DEP_2) | instskip(NEXT) | instid1(VALU_DEP_2)
	v_add_f64_e32 v[5:6], v[5:6], v[19:20]
	v_add_f64_e32 v[7:8], v[7:8], v[21:22]
	s_wait_dscnt 0x0
	s_delay_alu instid0(VALU_DEP_2) | instskip(NEXT) | instid1(VALU_DEP_2)
	v_add_f64_e32 v[5:6], v[5:6], v[23:24]
	v_add_f64_e32 v[7:8], v[7:8], v[25:26]
	ds_store_b128 v15, v[5:8]
.LBB43_12:                              ;   in Loop: Header=BB43_6 Depth=1
	s_wait_alu 0xfffe
	s_or_b32 exec_lo, exec_lo, s6
	s_wait_loadcnt_dscnt 0x0
	s_barrier_signal -1
	s_barrier_wait -1
	global_inv scope:SCOPE_SE
	s_and_saveexec_b32 s6, s1
	s_cbranch_execz .LBB43_14
; %bb.13:                               ;   in Loop: Header=BB43_6 Depth=1
	ds_load_b128 v[5:8], v15 offset:1024
	ds_load_b128 v[9:12], v15 offset:2048
	ds_load_b128 v[19:22], v15 offset:3072
	ds_load_b128 v[23:26], v15
	s_wait_dscnt 0x2
	v_add_f64_e32 v[5:6], v[9:10], v[5:6]
	v_add_f64_e32 v[7:8], v[11:12], v[7:8]
	s_wait_dscnt 0x1
	s_delay_alu instid0(VALU_DEP_2) | instskip(NEXT) | instid1(VALU_DEP_2)
	v_add_f64_e32 v[5:6], v[5:6], v[19:20]
	v_add_f64_e32 v[7:8], v[7:8], v[21:22]
	s_wait_dscnt 0x0
	s_delay_alu instid0(VALU_DEP_2) | instskip(NEXT) | instid1(VALU_DEP_2)
	v_add_f64_e32 v[5:6], v[5:6], v[23:24]
	v_add_f64_e32 v[7:8], v[7:8], v[25:26]
	ds_store_b128 v15, v[5:8]
.LBB43_14:                              ;   in Loop: Header=BB43_6 Depth=1
	s_wait_alu 0xfffe
	s_or_b32 exec_lo, exec_lo, s6
	;; [unrolled: 26-line block ×5, first 2 shown]
	s_wait_loadcnt_dscnt 0x0
	s_barrier_signal -1
	s_barrier_wait -1
	global_inv scope:SCOPE_SE
	s_and_saveexec_b32 s28, s5
	s_cbranch_execz .LBB43_5
; %bb.21:                               ;   in Loop: Header=BB43_6 Depth=1
	ds_load_b128 v[5:8], v18
	v_mov_b32_e32 v13, 0
	v_bfrev_b32_e32 v14, 1
	s_mov_b32 s6, exec_lo
	s_wait_dscnt 0x0
	v_mul_f64_e64 v[9:10], v[7:8], -v[3:4]
	s_delay_alu instid0(VALU_DEP_1)
	v_fma_f64 v[9:10], v[1:2], v[5:6], v[9:10]
.LBB43_22:                              ;   Parent Loop BB43_6 Depth=1
                                        ; =>  This Inner Loop Header: Depth=2
	s_wait_alu 0xfffe
	s_ctz_i32_b32 s7, s6
	s_wait_alu 0xfffe
	s_delay_alu instid0(VALU_DEP_1) | instskip(NEXT) | instid1(VALU_DEP_2)
	v_readlane_b32 s31, v10, s7
	v_readlane_b32 s30, v9, s7
	s_lshl_b32 s7, 1, s7
	s_wait_alu 0xfffe
	s_and_not1_b32 s6, s6, s7
	v_add_f64_e32 v[13:14], s[30:31], v[13:14]
	s_wait_alu 0xfffe
	s_cmp_lg_u32 s6, 0
	s_cbranch_scc1 .LBB43_22
; %bb.23:                               ;   in Loop: Header=BB43_6 Depth=1
	v_mbcnt_lo_u32_b32 v0, exec_lo, 0
	s_lshl_b64 s[6:7], s[26:27], 4
	s_mov_b32 s29, exec_lo
	s_wait_alu 0xfffe
	s_add_nc_u64 s[6:7], s[22:23], s[6:7]
	v_cmpx_eq_u32_e32 0, v0
	s_xor_b32 s29, exec_lo, s29
	s_cbranch_execz .LBB43_27
; %bb.24:                               ;   in Loop: Header=BB43_6 Depth=1
	global_load_b64 v[11:12], v18, s[6:7]
	s_mov_b32 s30, 0
.LBB43_25:                              ;   Parent Loop BB43_6 Depth=1
                                        ; =>  This Inner Loop Header: Depth=2
	s_wait_loadcnt 0x0
	v_add_f64_e32 v[9:10], v[11:12], v[13:14]
	global_atomic_cmpswap_b64 v[9:10], v18, v[9:12], s[6:7] th:TH_ATOMIC_RETURN scope:SCOPE_DEV
	s_wait_loadcnt 0x0
	v_cmp_eq_u64_e32 vcc_lo, v[9:10], v[11:12]
	v_dual_mov_b32 v12, v10 :: v_dual_mov_b32 v11, v9
	s_wait_alu 0xfffe
	s_or_b32 s30, vcc_lo, s30
	s_wait_alu 0xfffe
	s_and_not1_b32 exec_lo, exec_lo, s30
	s_cbranch_execnz .LBB43_25
; %bb.26:                               ;   in Loop: Header=BB43_6 Depth=1
	s_or_b32 exec_lo, exec_lo, s30
.LBB43_27:                              ;   in Loop: Header=BB43_6 Depth=1
	s_wait_alu 0xfffe
	s_or_b32 exec_lo, exec_lo, s29
	v_mul_f64_e32 v[7:8], v[1:2], v[7:8]
	v_mov_b32_e32 v9, 0
	v_bfrev_b32_e32 v10, 1
	s_mov_b32 s29, exec_lo
	s_delay_alu instid0(VALU_DEP_3)
	v_fma_f64 v[5:6], v[3:4], v[5:6], v[7:8]
.LBB43_28:                              ;   Parent Loop BB43_6 Depth=1
                                        ; =>  This Inner Loop Header: Depth=2
	s_wait_alu 0xfffe
	s_ctz_i32_b32 s33, s29
	s_wait_alu 0xfffe
	s_delay_alu instid0(VALU_DEP_1) | instskip(NEXT) | instid1(VALU_DEP_2)
	v_readlane_b32 s31, v6, s33
	v_readlane_b32 s30, v5, s33
	s_wait_alu 0xf1ff
	s_delay_alu instid0(VALU_DEP_1)
	v_add_f64_e32 v[9:10], s[30:31], v[9:10]
	s_lshl_b32 s30, 1, s33
	s_wait_alu 0xfffe
	s_and_not1_b32 s29, s29, s30
	s_wait_alu 0xfffe
	s_cmp_lg_u32 s29, 0
	s_cbranch_scc1 .LBB43_28
; %bb.29:                               ;   in Loop: Header=BB43_6 Depth=1
	v_mbcnt_lo_u32_b32 v0, exec_lo, 0
	s_mov_b32 s29, exec_lo
	s_delay_alu instid0(VALU_DEP_1)
	v_cmpx_eq_u32_e32 0, v0
	s_wait_alu 0xfffe
	s_xor_b32 s29, exec_lo, s29
	s_cbranch_execz .LBB43_5
; %bb.30:                               ;   in Loop: Header=BB43_6 Depth=1
	global_load_b64 v[7:8], v18, s[6:7] offset:8
	s_mov_b32 s29, 0
.LBB43_31:                              ;   Parent Loop BB43_6 Depth=1
                                        ; =>  This Inner Loop Header: Depth=2
	s_wait_loadcnt 0x0
	v_add_f64_e32 v[5:6], v[7:8], v[9:10]
	global_atomic_cmpswap_b64 v[5:6], v18, v[5:8], s[6:7] offset:8 th:TH_ATOMIC_RETURN scope:SCOPE_DEV
	s_wait_loadcnt 0x0
	v_cmp_eq_u64_e32 vcc_lo, v[5:6], v[7:8]
	v_dual_mov_b32 v8, v6 :: v_dual_mov_b32 v7, v5
	s_wait_alu 0xfffe
	s_or_b32 s29, vcc_lo, s29
	s_wait_alu 0xfffe
	s_and_not1_b32 exec_lo, exec_lo, s29
	s_cbranch_execnz .LBB43_31
; %bb.32:                               ;   in Loop: Header=BB43_6 Depth=1
	s_or_b32 exec_lo, exec_lo, s29
	s_branch .LBB43_5
.LBB43_33:
	s_lshl_b64 s[0:1], s[16:17], 3
	s_lshl_b64 s[4:5], s[18:19], 3
	s_wait_alu 0xfffe
	s_add_nc_u64 s[0:1], s[8:9], s[0:1]
	s_add_nc_u64 s[4:5], s[8:9], s[4:5]
	s_clause 0x1
	s_load_b64 s[0:1], s[0:1], 0x0
	s_load_b64 s[4:5], s[4:5], 0x0
	s_wait_kmcnt 0x0
	v_add_co_u32 v13, vcc_lo, s0, v16
	s_wait_alu 0xfffd
	v_add_co_ci_u32_e64 v14, null, s1, v17, vcc_lo
	s_sub_nc_u64 s[4:5], s[4:5], s[20:21]
	s_wait_alu 0xfffe
	v_cmp_gt_i64_e32 vcc_lo, s[4:5], v[13:14]
	s_and_b32 exec_lo, exec_lo, vcc_lo
	s_cbranch_execz .LBB43_45
; %bb.34:
	s_add_nc_u64 s[6:7], s[18:19], -1
	s_add_nc_u64 s[0:1], s[18:19], -2
	s_wait_alu 0xfffe
	v_cmp_lt_i64_e64 s3, s[16:17], s[6:7]
	s_cmp_lg_u64 s[16:17], s[0:1]
	s_cselect_b32 s0, -1, 0
	s_wait_alu 0xfffe
	s_and_b32 s1, s3, s0
	s_mov_b32 s3, 0
	s_branch .LBB43_36
.LBB43_35:                              ;   in Loop: Header=BB43_36 Depth=1
	s_wait_alu 0xfffe
	s_or_b32 exec_lo, exec_lo, s0
	v_add_co_u32 v13, vcc_lo, 0x100, v13
	s_wait_alu 0xfffd
	v_add_co_ci_u32_e64 v14, null, 0, v14, vcc_lo
	s_delay_alu instid0(VALU_DEP_1)
	v_cmp_le_i64_e32 vcc_lo, s[4:5], v[13:14]
	s_or_b32 s3, vcc_lo, s3
	s_wait_alu 0xfffe
	s_and_not1_b32 exec_lo, exec_lo, s3
	s_cbranch_execz .LBB43_45
.LBB43_36:                              ; =>This Loop Header: Depth=1
                                        ;     Child Loop BB43_38 Depth 2
                                        ;     Child Loop BB43_42 Depth 2
	;; [unrolled: 1-line block ×3, first 2 shown]
	v_dual_mov_b32 v5, s16 :: v_dual_mov_b32 v6, s17
	v_dual_mov_b32 v8, s7 :: v_dual_mov_b32 v7, s6
	s_wait_alu 0xfffe
	s_and_not1_b32 vcc_lo, exec_lo, s1
	s_wait_alu 0xfffe
	s_cbranch_vccnz .LBB43_40
; %bb.37:                               ;   in Loop: Header=BB43_36 Depth=1
	v_dual_mov_b32 v5, s16 :: v_dual_mov_b32 v6, s17
	v_dual_mov_b32 v8, s7 :: v_dual_mov_b32 v7, s6
	s_mov_b32 s18, 0
.LBB43_38:                              ;   Parent Loop BB43_36 Depth=1
                                        ; =>  This Inner Loop Header: Depth=2
	s_delay_alu instid0(VALU_DEP_1) | instskip(SKIP_1) | instid1(VALU_DEP_2)
	v_add_co_u32 v0, vcc_lo, v7, v5
	s_wait_alu 0xfffd
	v_add_co_ci_u32_e64 v10, null, v8, v6, vcc_lo
	s_delay_alu instid0(VALU_DEP_1) | instskip(NEXT) | instid1(VALU_DEP_1)
	v_lshrrev_b32_e32 v9, 31, v10
	v_add_co_u32 v9, vcc_lo, v0, v9
	s_wait_alu 0xfffd
	v_add_co_ci_u32_e64 v10, null, 0, v10, vcc_lo
	s_delay_alu instid0(VALU_DEP_1) | instskip(NEXT) | instid1(VALU_DEP_1)
	v_ashrrev_i64 v[9:10], 1, v[9:10]
	v_lshlrev_b64_e32 v[11:12], 3, v[9:10]
	s_delay_alu instid0(VALU_DEP_1) | instskip(SKIP_1) | instid1(VALU_DEP_2)
	v_add_co_u32 v11, vcc_lo, s8, v11
	s_wait_alu 0xfffd
	v_add_co_ci_u32_e64 v12, null, s9, v12, vcc_lo
	global_load_b64 v[11:12], v[11:12], off
	s_wait_loadcnt 0x0
	v_sub_co_u32 v11, vcc_lo, v11, s20
	s_wait_alu 0xfffd
	v_subrev_co_ci_u32_e64 v12, null, 0, v12, vcc_lo
	s_delay_alu instid0(VALU_DEP_1) | instskip(SKIP_3) | instid1(VALU_DEP_2)
	v_cmp_lt_i64_e32 vcc_lo, v[13:14], v[11:12]
	s_wait_alu 0xfffd
	v_dual_cndmask_b32 v8, v8, v10 :: v_dual_cndmask_b32 v7, v7, v9
	v_dual_cndmask_b32 v6, v10, v6 :: v_dual_cndmask_b32 v5, v9, v5
	v_add_co_u32 v9, vcc_lo, v7, -1
	s_wait_alu 0xfffd
	s_delay_alu instid0(VALU_DEP_3) | instskip(NEXT) | instid1(VALU_DEP_3)
	v_add_co_ci_u32_e64 v10, null, -1, v8, vcc_lo
	v_cmp_ge_i64_e32 vcc_lo, v[5:6], v[7:8]
	s_delay_alu instid0(VALU_DEP_2)
	v_cmp_eq_u64_e64 s0, v[5:6], v[9:10]
	s_or_b32 s0, vcc_lo, s0
	s_wait_alu 0xfffe
	s_and_b32 s0, exec_lo, s0
	s_wait_alu 0xfffe
	s_or_b32 s18, s0, s18
	s_wait_alu 0xfffe
	s_and_not1_b32 exec_lo, exec_lo, s18
	s_cbranch_execnz .LBB43_38
; %bb.39:                               ;   in Loop: Header=BB43_36 Depth=1
	s_or_b32 exec_lo, exec_lo, s18
.LBB43_40:                              ;   in Loop: Header=BB43_36 Depth=1
	v_lshlrev_b64_e32 v[9:10], 3, v[7:8]
	v_lshlrev_b64_e32 v[11:12], 3, v[13:14]
	s_mov_b32 s0, exec_lo
	s_delay_alu instid0(VALU_DEP_2) | instskip(SKIP_1) | instid1(VALU_DEP_3)
	v_add_co_u32 v9, vcc_lo, s8, v9
	s_wait_alu 0xfffd
	v_add_co_ci_u32_e64 v10, null, s9, v10, vcc_lo
	s_delay_alu instid0(VALU_DEP_3)
	v_add_co_u32 v11, vcc_lo, s10, v11
	s_wait_alu 0xfffd
	v_add_co_ci_u32_e64 v12, null, s11, v12, vcc_lo
	global_load_b64 v[9:10], v[9:10], off
	global_load_b64 v[11:12], v[11:12], off
	s_wait_loadcnt 0x1
	v_sub_co_u32 v9, vcc_lo, v9, s20
	s_wait_alu 0xfffd
	v_subrev_co_ci_u32_e64 v10, null, 0, v10, vcc_lo
	s_delay_alu instid0(VALU_DEP_1)
	v_cmp_lt_i64_e32 vcc_lo, v[13:14], v[9:10]
	s_wait_alu 0xfffd
	v_dual_cndmask_b32 v6, v8, v6 :: v_dual_cndmask_b32 v5, v7, v5
	s_wait_loadcnt 0x0
	v_sub_co_u32 v9, vcc_lo, v11, s20
	s_wait_alu 0xfffd
	v_subrev_co_ci_u32_e64 v10, null, 0, v12, vcc_lo
	s_delay_alu instid0(VALU_DEP_1)
	v_cmpx_ne_u64_e64 v[9:10], v[5:6]
	s_cbranch_execz .LBB43_35
; %bb.41:                               ;   in Loop: Header=BB43_36 Depth=1
	v_lshlrev_b64_e32 v[7:8], 4, v[13:14]
	v_lshlrev_b64_e32 v[5:6], 4, v[5:6]
	;; [unrolled: 1-line block ×3, first 2 shown]
	s_mov_b32 s18, 0
	s_delay_alu instid0(VALU_DEP_3)
	v_add_co_u32 v7, vcc_lo, s12, v7
	s_wait_alu 0xfffd
	v_add_co_ci_u32_e64 v8, null, s13, v8, vcc_lo
	v_add_co_u32 v5, vcc_lo, s14, v5
	s_wait_alu 0xfffd
	v_add_co_ci_u32_e64 v6, null, s15, v6, vcc_lo
	global_load_b128 v[19:22], v[7:8], off
	v_add_co_u32 v15, vcc_lo, s22, v9
	global_load_b128 v[5:8], v[5:6], off
	s_wait_alu 0xfffd
	v_add_co_ci_u32_e64 v16, null, s23, v10, vcc_lo
	global_load_b64 v[11:12], v[15:16], off
	s_wait_loadcnt 0x2
	v_xor_b32_e32 v0, 0x80000000, v22
	s_delay_alu instid0(VALU_DEP_1) | instskip(NEXT) | instid1(VALU_DEP_1)
	v_cndmask_b32_e64 v22, v22, v0, s2
	v_mul_f64_e32 v[9:10], v[1:2], v[21:22]
	v_mul_f64_e64 v[21:22], v[21:22], -v[3:4]
	s_delay_alu instid0(VALU_DEP_2) | instskip(NEXT) | instid1(VALU_DEP_2)
	v_fma_f64 v[17:18], v[3:4], v[19:20], v[9:10]
	v_fma_f64 v[19:20], v[1:2], v[19:20], v[21:22]
	s_wait_loadcnt 0x1
	s_delay_alu instid0(VALU_DEP_2) | instskip(NEXT) | instid1(VALU_DEP_1)
	v_mul_f64_e64 v[9:10], v[7:8], -v[17:18]
	v_fma_f64 v[21:22], v[19:20], v[5:6], v[9:10]
.LBB43_42:                              ;   Parent Loop BB43_36 Depth=1
                                        ; =>  This Inner Loop Header: Depth=2
	s_wait_loadcnt 0x0
	s_delay_alu instid0(VALU_DEP_1)
	v_add_f64_e32 v[9:10], v[11:12], v[21:22]
	global_atomic_cmpswap_b64 v[9:10], v[15:16], v[9:12], off th:TH_ATOMIC_RETURN scope:SCOPE_DEV
	s_wait_loadcnt 0x0
	v_cmp_eq_u64_e32 vcc_lo, v[9:10], v[11:12]
	v_dual_mov_b32 v12, v10 :: v_dual_mov_b32 v11, v9
	s_wait_alu 0xfffe
	s_or_b32 s18, vcc_lo, s18
	s_wait_alu 0xfffe
	s_and_not1_b32 exec_lo, exec_lo, s18
	s_cbranch_execnz .LBB43_42
; %bb.43:                               ;   in Loop: Header=BB43_36 Depth=1
	s_or_b32 exec_lo, exec_lo, s18
	global_load_b64 v[9:10], v[15:16], off offset:8
	v_mul_f64_e32 v[7:8], v[7:8], v[19:20]
	s_mov_b32 s18, 0
	s_delay_alu instid0(VALU_DEP_1)
	v_fma_f64 v[5:6], v[17:18], v[5:6], v[7:8]
.LBB43_44:                              ;   Parent Loop BB43_36 Depth=1
                                        ; =>  This Inner Loop Header: Depth=2
	s_wait_loadcnt 0x0
	s_delay_alu instid0(VALU_DEP_1)
	v_add_f64_e32 v[7:8], v[9:10], v[5:6]
	global_atomic_cmpswap_b64 v[7:8], v[15:16], v[7:10], off offset:8 th:TH_ATOMIC_RETURN scope:SCOPE_DEV
	s_wait_loadcnt 0x0
	v_cmp_eq_u64_e32 vcc_lo, v[7:8], v[9:10]
	v_dual_mov_b32 v10, v8 :: v_dual_mov_b32 v9, v7
	s_wait_alu 0xfffe
	s_or_b32 s18, vcc_lo, s18
	s_wait_alu 0xfffe
	s_and_not1_b32 exec_lo, exec_lo, s18
	s_cbranch_execnz .LBB43_44
	s_branch .LBB43_35
.LBB43_45:
	s_endpgm
	.section	.rodata,"a",@progbits
	.p2align	6, 0x0
	.amdhsa_kernel _ZL33csrmvn_symm_large_adaptive_kernelIll21rocsparse_complex_numIdES1_S1_S1_EvbT_PKS2_N9rocsparse24const_host_device_scalarIT4_EES4_PKT0_PKT1_PKT2_S8_PT3_21rocsparse_index_base_b
		.amdhsa_group_segment_fixed_size 16384
		.amdhsa_private_segment_fixed_size 0
		.amdhsa_kernarg_size 104
		.amdhsa_user_sgpr_count 2
		.amdhsa_user_sgpr_dispatch_ptr 0
		.amdhsa_user_sgpr_queue_ptr 0
		.amdhsa_user_sgpr_kernarg_segment_ptr 1
		.amdhsa_user_sgpr_dispatch_id 0
		.amdhsa_user_sgpr_private_segment_size 0
		.amdhsa_wavefront_size32 1
		.amdhsa_uses_dynamic_stack 0
		.amdhsa_enable_private_segment 0
		.amdhsa_system_sgpr_workgroup_id_x 1
		.amdhsa_system_sgpr_workgroup_id_y 0
		.amdhsa_system_sgpr_workgroup_id_z 0
		.amdhsa_system_sgpr_workgroup_info 0
		.amdhsa_system_vgpr_workitem_id 0
		.amdhsa_next_free_vgpr 27
		.amdhsa_next_free_sgpr 34
		.amdhsa_reserve_vcc 1
		.amdhsa_float_round_mode_32 0
		.amdhsa_float_round_mode_16_64 0
		.amdhsa_float_denorm_mode_32 3
		.amdhsa_float_denorm_mode_16_64 3
		.amdhsa_fp16_overflow 0
		.amdhsa_workgroup_processor_mode 1
		.amdhsa_memory_ordered 1
		.amdhsa_forward_progress 1
		.amdhsa_inst_pref_size 24
		.amdhsa_round_robin_scheduling 0
		.amdhsa_exception_fp_ieee_invalid_op 0
		.amdhsa_exception_fp_denorm_src 0
		.amdhsa_exception_fp_ieee_div_zero 0
		.amdhsa_exception_fp_ieee_overflow 0
		.amdhsa_exception_fp_ieee_underflow 0
		.amdhsa_exception_fp_ieee_inexact 0
		.amdhsa_exception_int_div_zero 0
	.end_amdhsa_kernel
	.section	.text._ZL33csrmvn_symm_large_adaptive_kernelIll21rocsparse_complex_numIdES1_S1_S1_EvbT_PKS2_N9rocsparse24const_host_device_scalarIT4_EES4_PKT0_PKT1_PKT2_S8_PT3_21rocsparse_index_base_b,"axG",@progbits,_ZL33csrmvn_symm_large_adaptive_kernelIll21rocsparse_complex_numIdES1_S1_S1_EvbT_PKS2_N9rocsparse24const_host_device_scalarIT4_EES4_PKT0_PKT1_PKT2_S8_PT3_21rocsparse_index_base_b,comdat
.Lfunc_end43:
	.size	_ZL33csrmvn_symm_large_adaptive_kernelIll21rocsparse_complex_numIdES1_S1_S1_EvbT_PKS2_N9rocsparse24const_host_device_scalarIT4_EES4_PKT0_PKT1_PKT2_S8_PT3_21rocsparse_index_base_b, .Lfunc_end43-_ZL33csrmvn_symm_large_adaptive_kernelIll21rocsparse_complex_numIdES1_S1_S1_EvbT_PKS2_N9rocsparse24const_host_device_scalarIT4_EES4_PKT0_PKT1_PKT2_S8_PT3_21rocsparse_index_base_b
                                        ; -- End function
	.set _ZL33csrmvn_symm_large_adaptive_kernelIll21rocsparse_complex_numIdES1_S1_S1_EvbT_PKS2_N9rocsparse24const_host_device_scalarIT4_EES4_PKT0_PKT1_PKT2_S8_PT3_21rocsparse_index_base_b.num_vgpr, 27
	.set _ZL33csrmvn_symm_large_adaptive_kernelIll21rocsparse_complex_numIdES1_S1_S1_EvbT_PKS2_N9rocsparse24const_host_device_scalarIT4_EES4_PKT0_PKT1_PKT2_S8_PT3_21rocsparse_index_base_b.num_agpr, 0
	.set _ZL33csrmvn_symm_large_adaptive_kernelIll21rocsparse_complex_numIdES1_S1_S1_EvbT_PKS2_N9rocsparse24const_host_device_scalarIT4_EES4_PKT0_PKT1_PKT2_S8_PT3_21rocsparse_index_base_b.numbered_sgpr, 34
	.set _ZL33csrmvn_symm_large_adaptive_kernelIll21rocsparse_complex_numIdES1_S1_S1_EvbT_PKS2_N9rocsparse24const_host_device_scalarIT4_EES4_PKT0_PKT1_PKT2_S8_PT3_21rocsparse_index_base_b.num_named_barrier, 0
	.set _ZL33csrmvn_symm_large_adaptive_kernelIll21rocsparse_complex_numIdES1_S1_S1_EvbT_PKS2_N9rocsparse24const_host_device_scalarIT4_EES4_PKT0_PKT1_PKT2_S8_PT3_21rocsparse_index_base_b.private_seg_size, 0
	.set _ZL33csrmvn_symm_large_adaptive_kernelIll21rocsparse_complex_numIdES1_S1_S1_EvbT_PKS2_N9rocsparse24const_host_device_scalarIT4_EES4_PKT0_PKT1_PKT2_S8_PT3_21rocsparse_index_base_b.uses_vcc, 1
	.set _ZL33csrmvn_symm_large_adaptive_kernelIll21rocsparse_complex_numIdES1_S1_S1_EvbT_PKS2_N9rocsparse24const_host_device_scalarIT4_EES4_PKT0_PKT1_PKT2_S8_PT3_21rocsparse_index_base_b.uses_flat_scratch, 0
	.set _ZL33csrmvn_symm_large_adaptive_kernelIll21rocsparse_complex_numIdES1_S1_S1_EvbT_PKS2_N9rocsparse24const_host_device_scalarIT4_EES4_PKT0_PKT1_PKT2_S8_PT3_21rocsparse_index_base_b.has_dyn_sized_stack, 0
	.set _ZL33csrmvn_symm_large_adaptive_kernelIll21rocsparse_complex_numIdES1_S1_S1_EvbT_PKS2_N9rocsparse24const_host_device_scalarIT4_EES4_PKT0_PKT1_PKT2_S8_PT3_21rocsparse_index_base_b.has_recursion, 0
	.set _ZL33csrmvn_symm_large_adaptive_kernelIll21rocsparse_complex_numIdES1_S1_S1_EvbT_PKS2_N9rocsparse24const_host_device_scalarIT4_EES4_PKT0_PKT1_PKT2_S8_PT3_21rocsparse_index_base_b.has_indirect_call, 0
	.section	.AMDGPU.csdata,"",@progbits
; Kernel info:
; codeLenInByte = 3032
; TotalNumSgprs: 36
; NumVgprs: 27
; ScratchSize: 0
; MemoryBound: 0
; FloatMode: 240
; IeeeMode: 1
; LDSByteSize: 16384 bytes/workgroup (compile time only)
; SGPRBlocks: 0
; VGPRBlocks: 3
; NumSGPRsForWavesPerEU: 36
; NumVGPRsForWavesPerEU: 27
; Occupancy: 16
; WaveLimiterHint : 1
; COMPUTE_PGM_RSRC2:SCRATCH_EN: 0
; COMPUTE_PGM_RSRC2:USER_SGPR: 2
; COMPUTE_PGM_RSRC2:TRAP_HANDLER: 0
; COMPUTE_PGM_RSRC2:TGID_X_EN: 1
; COMPUTE_PGM_RSRC2:TGID_Y_EN: 0
; COMPUTE_PGM_RSRC2:TGID_Z_EN: 0
; COMPUTE_PGM_RSRC2:TIDIG_COMP_CNT: 0
	.section	.text._ZN9rocsparseL22csrmvn_adaptive_kernelIiiaaiiEEvbT_PKS1_PjPKT0_NS_24const_host_device_scalarIT4_EES3_S7_PKT1_PKT2_SA_PT3_21rocsparse_index_base_b,"axG",@progbits,_ZN9rocsparseL22csrmvn_adaptive_kernelIiiaaiiEEvbT_PKS1_PjPKT0_NS_24const_host_device_scalarIT4_EES3_S7_PKT1_PKT2_SA_PT3_21rocsparse_index_base_b,comdat
	.globl	_ZN9rocsparseL22csrmvn_adaptive_kernelIiiaaiiEEvbT_PKS1_PjPKT0_NS_24const_host_device_scalarIT4_EES3_S7_PKT1_PKT2_SA_PT3_21rocsparse_index_base_b ; -- Begin function _ZN9rocsparseL22csrmvn_adaptive_kernelIiiaaiiEEvbT_PKS1_PjPKT0_NS_24const_host_device_scalarIT4_EES3_S7_PKT1_PKT2_SA_PT3_21rocsparse_index_base_b
	.p2align	8
	.type	_ZN9rocsparseL22csrmvn_adaptive_kernelIiiaaiiEEvbT_PKS1_PjPKT0_NS_24const_host_device_scalarIT4_EES3_S7_PKT1_PKT2_SA_PT3_21rocsparse_index_base_b,@function
_ZN9rocsparseL22csrmvn_adaptive_kernelIiiaaiiEEvbT_PKS1_PjPKT0_NS_24const_host_device_scalarIT4_EES3_S7_PKT1_PKT2_SA_PT3_21rocsparse_index_base_b: ; @_ZN9rocsparseL22csrmvn_adaptive_kernelIiiaaiiEEvbT_PKS1_PjPKT0_NS_24const_host_device_scalarIT4_EES3_S7_PKT1_PKT2_SA_PT3_21rocsparse_index_base_b
; %bb.0:
	s_clause 0x1
	s_load_b64 s[26:27], s[0:1], 0x58
	s_load_b64 s[4:5], s[0:1], 0x20
	s_mov_b32 s7, -1
                                        ; implicit-def: $sgpr40
	s_wait_kmcnt 0x0
	s_bitcmp1_b32 s27, 0
	s_cselect_b32 s2, -1, 0
	s_delay_alu instid0(SALU_CYCLE_1) | instskip(NEXT) | instid1(SALU_CYCLE_1)
	s_xor_b32 s6, s2, -1
	s_and_b32 vcc_lo, exec_lo, s6
	s_cbranch_vccnz .LBB44_4
; %bb.1:
	s_load_b64 s[2:3], s[0:1], 0x48
	s_and_not1_b32 vcc_lo, exec_lo, s7
	s_cbranch_vccz .LBB44_5
.LBB44_2:
	s_and_b32 vcc_lo, exec_lo, s6
	s_cbranch_vccz .LBB44_6
.LBB44_3:
	s_wait_kmcnt 0x0
	s_load_b32 s27, s[2:3], 0x0
	s_cbranch_execz .LBB44_7
	s_branch .LBB44_8
.LBB44_4:
	s_load_b32 s40, s[4:5], 0x0
	s_load_b64 s[2:3], s[0:1], 0x48
	s_cbranch_execnz .LBB44_2
.LBB44_5:
	s_wait_kmcnt 0x0
	s_mov_b32 s40, s4
	s_and_b32 vcc_lo, exec_lo, s6
	s_cbranch_vccnz .LBB44_3
.LBB44_6:
	s_wait_kmcnt 0x0
                                        ; implicit-def: $sgpr27
.LBB44_7:
	s_wait_kmcnt 0x0
	s_mov_b32 s27, s2
.LBB44_8:
	s_cmp_lg_u32 s40, 0
	s_cselect_b32 s2, -1, 0
	s_wait_kmcnt 0x0
	s_cmp_lg_u32 s27, 1
	s_cselect_b32 s3, -1, 0
	s_delay_alu instid0(SALU_CYCLE_1) | instskip(NEXT) | instid1(SALU_CYCLE_1)
	s_or_b32 s2, s2, s3
	s_and_not1_b32 vcc_lo, exec_lo, s2
	s_cbranch_vccnz .LBB44_118
; %bb.9:
	s_clause 0x2
	s_load_b64 s[2:3], s[0:1], 0x8
	s_load_b64 s[4:5], s[0:1], 0x18
	;; [unrolled: 1-line block ×3, first 2 shown]
	s_mov_b32 s30, ttmp9
	s_ashr_i32 s31, ttmp9, 31
	s_delay_alu instid0(SALU_CYCLE_1)
	s_lshl_b64 s[34:35], s[30:31], 2
	s_wait_kmcnt 0x0
	s_add_nc_u64 s[2:3], s[2:3], s[34:35]
	s_load_b64 s[22:23], s[2:3], 0x0
	s_load_b256 s[12:19], s[0:1], 0x28
	s_wait_kmcnt 0x0
	s_ashr_i32 s3, s22, 31
	s_mov_b32 s2, s22
	s_delay_alu instid0(SALU_CYCLE_1)
	s_lshl_b64 s[28:29], s[2:3], 2
	s_add_nc_u64 s[2:3], s[4:5], s[34:35]
	s_add_nc_u64 s[24:25], s[12:13], s[28:29]
	s_load_b32 s31, s[2:3], 0x0
	s_load_b32 s33, s[24:25], 0x0
	s_sub_co_i32 s3, s23, s22
	s_mov_b32 s2, -1
	s_cmp_lt_i32 s3, 2
	s_cbranch_scc0 .LBB44_74
; %bb.10:
	s_cmp_lg_u32 s3, 1
	v_cmp_gt_u32_e64 s2, 0x80, v0
	s_cselect_b32 s4, -1, 0
	s_wait_kmcnt 0x0
	s_cmp_lg_u32 s31, 0
	v_cmp_gt_u32_e64 s3, 64, v0
	s_cselect_b32 s5, -1, 0
	v_cmp_gt_u32_e64 s6, 8, v0
	s_or_b32 s5, s4, s5
	v_cmp_gt_u32_e64 s4, 32, v0
	s_and_b32 vcc_lo, exec_lo, s5
	v_cmp_gt_u32_e64 s5, 16, v0
	v_cmp_gt_u32_e64 s7, 4, v0
	v_cmp_gt_u32_e64 s8, 2, v0
	v_cmp_eq_u32_e64 s9, 0, v0
	s_mov_b32 s10, -1
	s_cbranch_vccnz .LBB44_38
; %bb.11:
	v_subrev_nc_u32_e32 v8, s26, v0
	v_dual_mov_b32 v10, 0 :: v_dual_lshlrev_b32 v9, 2, v0
	s_cmp_lg_u32 s27, 0
	s_mov_b32 s36, s22
	s_cselect_b32 s41, -1, 0
	s_branch .LBB44_14
.LBB44_12:                              ;   in Loop: Header=BB44_14 Depth=1
	s_wait_dscnt 0x0
	global_store_b32 v10, v1, s[10:11]
.LBB44_13:                              ;   in Loop: Header=BB44_14 Depth=1
	s_wait_alu 0xfffe
	s_or_b32 exec_lo, exec_lo, s37
	s_add_co_i32 s36, s36, 1
	s_wait_alu 0xfffe
	s_cmp_ge_i32 s36, s23
	s_cbranch_scc1 .LBB44_37
.LBB44_14:                              ; =>This Loop Header: Depth=1
                                        ;     Child Loop BB44_16 Depth 2
	s_ashr_i32 s37, s36, 31
	v_mov_b32_e32 v2, 0
	s_wait_alu 0xfffe
	s_lshl_b64 s[38:39], s[36:37], 2
	s_delay_alu instid0(SALU_CYCLE_1)
	s_add_nc_u64 s[10:11], s[12:13], s[38:39]
	s_load_b64 s[10:11], s[10:11], 0x0
	s_wait_kmcnt 0x0
	v_add_nc_u32_e32 v1, s10, v8
	s_sub_co_i32 s37, s11, s26
	s_mov_b32 s11, exec_lo
	s_wait_alu 0xfffe
	s_delay_alu instid0(VALU_DEP_1)
	v_cmpx_gt_i32_e64 s37, v1
	s_cbranch_execz .LBB44_18
; %bb.15:                               ;   in Loop: Header=BB44_14 Depth=1
	v_ashrrev_i32_e32 v2, 31, v1
	v_add_co_u32 v4, vcc_lo, s16, v1
	s_mov_b32 s42, 0
	v_lshlrev_b64_e32 v[6:7], 2, v[1:2]
	s_wait_alu 0xfffd
	v_add_co_ci_u32_e64 v5, null, s17, v2, vcc_lo
	v_mov_b32_e32 v2, 0
	s_delay_alu instid0(VALU_DEP_3)
	v_add_co_u32 v6, vcc_lo, s14, v6
	s_wait_alu 0xfffd
	v_add_co_ci_u32_e64 v7, null, s15, v7, vcc_lo
.LBB44_16:                              ;   Parent Loop BB44_14 Depth=1
                                        ; =>  This Inner Loop Header: Depth=2
	global_load_b32 v3, v[6:7], off
	global_load_i8 v13, v[4:5], off
	v_add_nc_u32_e32 v1, 0x100, v1
	v_add_co_u32 v6, s10, 0x400, v6
	s_wait_alu 0xf1ff
	v_add_co_ci_u32_e64 v7, null, 0, v7, s10
	s_wait_loadcnt 0x1
	v_subrev_nc_u32_e32 v3, s26, v3
	s_delay_alu instid0(VALU_DEP_1) | instskip(SKIP_2) | instid1(VALU_DEP_2)
	v_ashrrev_i32_e32 v12, 31, v3
	v_add_co_u32 v11, vcc_lo, s18, v3
	s_wait_alu 0xfffd
	v_add_co_ci_u32_e64 v12, null, s19, v12, vcc_lo
	v_add_co_u32 v4, vcc_lo, 0x100, v4
	s_wait_alu 0xfffd
	v_add_co_ci_u32_e64 v5, null, 0, v5, vcc_lo
	global_load_i8 v3, v[11:12], off
	s_wait_loadcnt 0x1
	v_mul_lo_u32 v11, s40, v13
	v_cmp_le_i32_e32 vcc_lo, s37, v1
	s_or_b32 s42, vcc_lo, s42
	s_wait_loadcnt 0x0
	s_delay_alu instid0(VALU_DEP_2)
	v_mad_co_u64_u32 v[2:3], null, v11, v3, v[2:3]
	s_and_not1_b32 exec_lo, exec_lo, s42
	s_cbranch_execnz .LBB44_16
; %bb.17:                               ;   in Loop: Header=BB44_14 Depth=1
	s_or_b32 exec_lo, exec_lo, s42
.LBB44_18:                              ;   in Loop: Header=BB44_14 Depth=1
	s_wait_alu 0xfffe
	s_or_b32 exec_lo, exec_lo, s11
	ds_store_b32 v9, v2
	s_wait_dscnt 0x0
	s_barrier_signal -1
	s_barrier_wait -1
	global_inv scope:SCOPE_SE
	s_and_saveexec_b32 s10, s2
	s_cbranch_execz .LBB44_20
; %bb.19:                               ;   in Loop: Header=BB44_14 Depth=1
	ds_load_2addr_stride64_b32 v[1:2], v9 offset1:2
	s_wait_dscnt 0x0
	v_add_nc_u32_e32 v1, v2, v1
	ds_store_b32 v9, v1
.LBB44_20:                              ;   in Loop: Header=BB44_14 Depth=1
	s_wait_alu 0xfffe
	s_or_b32 exec_lo, exec_lo, s10
	s_wait_loadcnt_dscnt 0x0
	s_barrier_signal -1
	s_barrier_wait -1
	global_inv scope:SCOPE_SE
	s_and_saveexec_b32 s10, s3
	s_cbranch_execz .LBB44_22
; %bb.21:                               ;   in Loop: Header=BB44_14 Depth=1
	ds_load_2addr_stride64_b32 v[1:2], v9 offset1:1
	s_wait_dscnt 0x0
	v_add_nc_u32_e32 v1, v2, v1
	ds_store_b32 v9, v1
.LBB44_22:                              ;   in Loop: Header=BB44_14 Depth=1
	s_wait_alu 0xfffe
	s_or_b32 exec_lo, exec_lo, s10
	s_wait_loadcnt_dscnt 0x0
	s_barrier_signal -1
	s_barrier_wait -1
	global_inv scope:SCOPE_SE
	s_and_saveexec_b32 s10, s4
	s_cbranch_execz .LBB44_24
; %bb.23:                               ;   in Loop: Header=BB44_14 Depth=1
	ds_load_2addr_b32 v[1:2], v9 offset1:32
	s_wait_dscnt 0x0
	v_add_nc_u32_e32 v1, v2, v1
	ds_store_b32 v9, v1
.LBB44_24:                              ;   in Loop: Header=BB44_14 Depth=1
	s_wait_alu 0xfffe
	s_or_b32 exec_lo, exec_lo, s10
	s_wait_loadcnt_dscnt 0x0
	s_barrier_signal -1
	s_barrier_wait -1
	global_inv scope:SCOPE_SE
	s_and_saveexec_b32 s10, s5
	s_cbranch_execz .LBB44_26
; %bb.25:                               ;   in Loop: Header=BB44_14 Depth=1
	ds_load_2addr_b32 v[1:2], v9 offset1:16
	s_wait_dscnt 0x0
	v_add_nc_u32_e32 v1, v2, v1
	ds_store_b32 v9, v1
.LBB44_26:                              ;   in Loop: Header=BB44_14 Depth=1
	;; [unrolled: 14-line block ×5, first 2 shown]
	s_wait_alu 0xfffe
	s_or_b32 exec_lo, exec_lo, s10
	s_wait_loadcnt_dscnt 0x0
	s_barrier_signal -1
	s_barrier_wait -1
	global_inv scope:SCOPE_SE
	s_and_saveexec_b32 s10, s9
	s_cbranch_execz .LBB44_34
; %bb.33:                               ;   in Loop: Header=BB44_14 Depth=1
	ds_load_b64 v[1:2], v10
	s_wait_dscnt 0x0
	v_add_nc_u32_e32 v1, v2, v1
	ds_store_b32 v10, v1
.LBB44_34:                              ;   in Loop: Header=BB44_14 Depth=1
	s_wait_alu 0xfffe
	s_or_b32 exec_lo, exec_lo, s10
	s_wait_loadcnt_dscnt 0x0
	s_barrier_signal -1
	s_barrier_wait -1
	global_inv scope:SCOPE_SE
	s_and_saveexec_b32 s37, s9
	s_cbranch_execz .LBB44_13
; %bb.35:                               ;   in Loop: Header=BB44_14 Depth=1
	ds_load_b32 v1, v10
	s_and_not1_b32 vcc_lo, exec_lo, s41
	s_add_nc_u64 s[10:11], s[20:21], s[38:39]
	s_wait_alu 0xfffe
	s_cbranch_vccnz .LBB44_12
; %bb.36:                               ;   in Loop: Header=BB44_14 Depth=1
	global_load_b32 v2, v10, s[10:11]
	s_wait_loadcnt 0x0
	v_mul_lo_u32 v2, v2, s27
	s_wait_dscnt 0x0
	s_delay_alu instid0(VALU_DEP_1)
	v_add_nc_u32_e32 v1, v2, v1
	s_branch .LBB44_12
.LBB44_37:
	s_mov_b32 s10, 0
.LBB44_38:
	s_wait_alu 0xfffe
	s_and_b32 vcc_lo, exec_lo, s10
	s_wait_alu 0xfffe
	s_cbranch_vccz .LBB44_73
; %bb.39:
	s_load_b64 s[6:7], s[0:1], 0x10
	v_mov_b32_e32 v1, 0
	v_or_b32_e32 v2, s31, v0
	s_sub_co_i32 s8, s30, s31
	s_mov_b32 s2, exec_lo
	s_wait_kmcnt 0x0
	s_add_nc_u64 s[4:5], s[6:7], s[34:35]
	global_load_b32 v9, v1, s[4:5]
	v_cmpx_eq_u32_e32 0, v2
	s_cbranch_execz .LBB44_43
; %bb.40:
	v_mov_b32_e32 v1, 0
	s_add_nc_u64 s[10:11], s[20:21], s[28:29]
	s_mov_b32 s3, exec_lo
	s_delay_alu instid0(SALU_CYCLE_1)
	v_mbcnt_lo_u32_b32 v3, s3, 0
	global_load_b32 v2, v1, s[10:11]
	s_add_co_i32 s10, s27, -1
	s_mov_b32 s11, exec_lo
	s_wait_loadcnt 0x0
	s_wait_storecnt 0x0
	global_inv scope:SCOPE_DEV
	v_cmpx_eq_u32_e32 0, v3
	s_cbranch_execz .LBB44_42
; %bb.41:
	s_bcnt1_i32_b32 s3, s3
	s_ashr_i32 s9, s8, 31
	s_wait_alu 0xfffe
	s_and_b32 s3, s3, 1
	s_lshl_b64 s[34:35], s[8:9], 2
	s_wait_alu 0xfffe
	v_mov_b32_e32 v3, s3
	s_add_nc_u64 s[34:35], s[6:7], s[34:35]
	global_atomic_xor_b32 v1, v3, s[34:35] scope:SCOPE_DEV
.LBB44_42:
	s_wait_alu 0xfffe
	s_or_b32 exec_lo, exec_lo, s11
	v_mul_lo_u32 v1, v2, s10
.LBB44_43:
	s_or_b32 exec_lo, exec_lo, s2
	s_load_b32 s2, s[24:25], 0x4
	s_mul_i32 s3, s31, 0xc00
	s_sub_co_i32 s9, s33, s26
	s_wait_alu 0xfffe
	s_add_co_i32 s9, s9, s3
	s_mov_b32 s3, exec_lo
	v_add_nc_u32_e32 v3, s9, v0
	s_wait_kmcnt 0x0
	s_sub_co_i32 s2, s2, s26
	s_wait_alu 0xfffe
	s_delay_alu instid0(VALU_DEP_1)
	v_cmpx_gt_i32_e64 s2, v3
	s_cbranch_execz .LBB44_47
; %bb.44:
	v_ashrrev_i32_e32 v4, 31, v3
	v_add_co_u32 v5, vcc_lo, s16, v3
	s_addk_co_i32 s9, 0xc00
	s_mov_b32 s10, 0
	v_lshlrev_b64_e32 v[7:8], 2, v[3:4]
	s_wait_alu 0xfffd
	v_add_co_ci_u32_e64 v6, null, s17, v4, vcc_lo
	s_wait_alu 0xfffe
	s_min_i32 s9, s9, s2
	s_delay_alu instid0(VALU_DEP_2)
	v_add_co_u32 v7, vcc_lo, s14, v7
	s_wait_alu 0xfffd
	v_add_co_ci_u32_e64 v8, null, s15, v8, vcc_lo
.LBB44_45:                              ; =>This Inner Loop Header: Depth=1
	global_load_b32 v2, v[7:8], off
	global_load_i8 v4, v[5:6], off
	v_add_nc_u32_e32 v3, 0x100, v3
	v_add_co_u32 v7, s2, 0x400, v7
	s_wait_alu 0xf1ff
	v_add_co_ci_u32_e64 v8, null, 0, v8, s2
	s_wait_loadcnt 0x1
	v_subrev_nc_u32_e32 v2, s26, v2
	s_wait_loadcnt 0x0
	v_mul_lo_u32 v4, s40, v4
	s_delay_alu instid0(VALU_DEP_2) | instskip(SKIP_2) | instid1(VALU_DEP_2)
	v_ashrrev_i32_e32 v11, 31, v2
	v_add_co_u32 v10, vcc_lo, s18, v2
	s_wait_alu 0xfffd
	v_add_co_ci_u32_e64 v11, null, s19, v11, vcc_lo
	v_add_co_u32 v5, vcc_lo, 0x100, v5
	s_wait_alu 0xfffd
	v_add_co_ci_u32_e64 v6, null, 0, v6, vcc_lo
	global_load_i8 v2, v[10:11], off
	s_wait_alu 0xfffe
	v_cmp_le_i32_e32 vcc_lo, s9, v3
	s_or_b32 s10, vcc_lo, s10
	s_wait_loadcnt 0x0
	v_mad_co_u64_u32 v[1:2], null, v4, v2, v[1:2]
	s_wait_alu 0xfffe
	s_and_not1_b32 exec_lo, exec_lo, s10
	s_cbranch_execnz .LBB44_45
; %bb.46:
	s_or_b32 exec_lo, exec_lo, s10
.LBB44_47:
	s_delay_alu instid0(SALU_CYCLE_1)
	s_or_b32 exec_lo, exec_lo, s3
	v_lshlrev_b32_e32 v2, 2, v0
	s_mov_b32 s2, exec_lo
	ds_store_b32 v2, v1
	s_wait_storecnt 0x0
	s_wait_loadcnt_dscnt 0x0
	s_barrier_signal -1
	s_barrier_wait -1
	global_inv scope:SCOPE_SE
	v_cmpx_gt_u32_e32 0x80, v0
	s_cbranch_execz .LBB44_49
; %bb.48:
	ds_load_2addr_stride64_b32 v[3:4], v2 offset1:2
	s_wait_dscnt 0x0
	v_add_nc_u32_e32 v1, v4, v3
	ds_store_b32 v2, v1
.LBB44_49:
	s_wait_alu 0xfffe
	s_or_b32 exec_lo, exec_lo, s2
	s_delay_alu instid0(SALU_CYCLE_1)
	s_mov_b32 s2, exec_lo
	s_wait_loadcnt_dscnt 0x0
	s_barrier_signal -1
	s_barrier_wait -1
	global_inv scope:SCOPE_SE
	v_cmpx_gt_u32_e32 64, v0
	s_cbranch_execz .LBB44_51
; %bb.50:
	ds_load_2addr_stride64_b32 v[3:4], v2 offset1:1
	s_wait_dscnt 0x0
	v_add_nc_u32_e32 v1, v4, v3
	ds_store_b32 v2, v1
.LBB44_51:
	s_wait_alu 0xfffe
	s_or_b32 exec_lo, exec_lo, s2
	s_delay_alu instid0(SALU_CYCLE_1)
	s_mov_b32 s2, exec_lo
	s_wait_loadcnt_dscnt 0x0
	s_barrier_signal -1
	s_barrier_wait -1
	global_inv scope:SCOPE_SE
	v_cmpx_gt_u32_e32 32, v0
	s_cbranch_execz .LBB44_53
; %bb.52:
	ds_load_2addr_b32 v[3:4], v2 offset1:32
	s_wait_dscnt 0x0
	v_add_nc_u32_e32 v1, v4, v3
	ds_store_b32 v2, v1
.LBB44_53:
	s_wait_alu 0xfffe
	s_or_b32 exec_lo, exec_lo, s2
	s_delay_alu instid0(SALU_CYCLE_1)
	s_mov_b32 s2, exec_lo
	s_wait_loadcnt_dscnt 0x0
	s_barrier_signal -1
	s_barrier_wait -1
	global_inv scope:SCOPE_SE
	v_cmpx_gt_u32_e32 16, v0
	s_cbranch_execz .LBB44_55
; %bb.54:
	ds_load_2addr_b32 v[3:4], v2 offset1:16
	s_wait_dscnt 0x0
	v_add_nc_u32_e32 v1, v4, v3
	ds_store_b32 v2, v1
.LBB44_55:
	;; [unrolled: 16-line block ×5, first 2 shown]
	s_wait_alu 0xfffe
	s_or_b32 exec_lo, exec_lo, s2
	v_cmp_eq_u32_e32 vcc_lo, 0, v0
	s_wait_loadcnt_dscnt 0x0
	s_barrier_signal -1
	s_barrier_wait -1
	global_inv scope:SCOPE_SE
	s_and_saveexec_b32 s2, vcc_lo
	s_cbranch_execz .LBB44_63
; %bb.62:
	v_mov_b32_e32 v3, 0
	ds_load_b64 v[1:2], v3
	s_wait_dscnt 0x0
	v_add_nc_u32_e32 v1, v2, v1
	ds_store_b32 v3, v1
.LBB44_63:
	s_wait_alu 0xfffe
	s_or_b32 exec_lo, exec_lo, s2
	s_wait_loadcnt_dscnt 0x0
	s_barrier_signal -1
	s_barrier_wait -1
	global_inv scope:SCOPE_SE
	s_and_saveexec_b32 s10, vcc_lo
	s_cbranch_execz .LBB44_72
; %bb.64:
	s_cmp_eq_u32 s31, 0
	s_cbranch_scc1 .LBB44_70
; %bb.65:
	s_ashr_i32 s9, s8, 31
	v_mov_b32_e32 v1, 0
	s_wait_alu 0xfffe
	s_lshl_b64 s[2:3], s[8:9], 2
	s_wait_alu 0xfffe
	s_add_nc_u64 s[2:3], s[6:7], s[2:3]
	s_branch .LBB44_67
.LBB44_66:                              ;   in Loop: Header=BB44_67 Depth=1
	s_wait_alu 0xfffe
	s_or_b32 exec_lo, exec_lo, s6
	s_wait_loadcnt 0x0
	v_readfirstlane_b32 s6, v2
	s_wait_alu 0xf1ff
	s_delay_alu instid0(VALU_DEP_1)
	v_cmp_eq_u32_e32 vcc_lo, s6, v9
	s_cbranch_vccz .LBB44_69
.LBB44_67:                              ; =>This Inner Loop Header: Depth=1
	v_mbcnt_lo_u32_b32 v2, exec_lo, 0
	s_delay_alu instid0(VALU_DEP_1)
	v_cmp_eq_u32_e32 vcc_lo, 0, v2
                                        ; implicit-def: $vgpr2
	s_and_saveexec_b32 s6, vcc_lo
	s_cbranch_execz .LBB44_66
; %bb.68:                               ;   in Loop: Header=BB44_67 Depth=1
	global_load_b32 v2, v1, s[2:3] scope:SCOPE_DEV
	s_branch .LBB44_66
.LBB44_69:
	v_mov_b32_e32 v1, 0
	global_load_u16 v2, v1, s[4:5]
	s_wait_loadcnt 0x0
	v_xor_b32_e32 v2, 1, v2
	global_store_b16 v1, v2, s[4:5]
.LBB44_70:
	s_mov_b32 s2, exec_lo
	s_wait_alu 0xfffe
	v_mbcnt_lo_u32_b32 v1, s2, 0
	s_delay_alu instid0(VALU_DEP_1)
	v_cmp_eq_u32_e32 vcc_lo, 0, v1
	s_and_b32 s3, exec_lo, vcc_lo
	s_wait_alu 0xfffe
	s_mov_b32 exec_lo, s3
	s_cbranch_execz .LBB44_72
; %bb.71:
	v_mov_b32_e32 v1, 0
	s_bcnt1_i32_b32 s2, s2
	ds_load_b32 v2, v1
	s_wait_dscnt 0x0
	s_wait_alu 0xfffe
	v_mul_lo_u32 v2, v2, s2
	s_add_nc_u64 s[2:3], s[20:21], s[28:29]
	global_atomic_add_u32 v1, v2, s[2:3] scope:SCOPE_DEV
.LBB44_72:
	s_wait_alu 0xfffe
	s_or_b32 exec_lo, exec_lo, s10
.LBB44_73:
	s_mov_b32 s2, 0
.LBB44_74:
	s_wait_alu 0xfffe
	s_and_not1_b32 vcc_lo, exec_lo, s2
	s_wait_alu 0xfffe
	s_cbranch_vccnz .LBB44_118
; %bb.75:
	s_load_b32 s0, s[0:1], 0x4
	v_subrev_nc_u32_e32 v1, s26, v0
	s_wait_kmcnt 0x0
	s_delay_alu instid0(VALU_DEP_1) | instskip(NEXT) | instid1(VALU_DEP_1)
	v_add_nc_u32_e32 v1, s33, v1
	v_add_nc_u32_e32 v2, 0x300, v1
	s_delay_alu instid0(VALU_DEP_1)
	v_cmp_le_i32_e32 vcc_lo, s0, v2
	s_and_saveexec_b32 s0, vcc_lo
	s_wait_alu 0xfffe
	s_xor_b32 s0, exec_lo, s0
	s_cbranch_execz .LBB44_80
; %bb.76:
	s_ashr_i32 s3, s23, 31
	s_mov_b32 s2, s23
	s_wait_alu 0xfffe
	s_lshl_b64 s[2:3], s[2:3], 2
	s_wait_alu 0xfffe
	s_add_nc_u64 s[2:3], s[12:13], s[2:3]
	s_load_b32 s1, s[2:3], 0x0
	s_mov_b32 s2, exec_lo
	s_wait_kmcnt 0x0
	s_sub_co_i32 s1, s1, s26
	s_wait_alu 0xfffe
	v_cmpx_gt_i32_e64 s1, v1
	s_cbranch_execz .LBB44_79
; %bb.77:
	v_lshlrev_b32_e32 v3, 2, v0
	s_mov_b32 s3, 0
.LBB44_78:                              ; =>This Inner Loop Header: Depth=1
	v_ashrrev_i32_e32 v2, 31, v1
	s_delay_alu instid0(VALU_DEP_1) | instskip(NEXT) | instid1(VALU_DEP_1)
	v_lshlrev_b64_e32 v[4:5], 2, v[1:2]
	v_add_co_u32 v4, vcc_lo, s14, v4
	s_wait_alu 0xfffd
	s_delay_alu instid0(VALU_DEP_2)
	v_add_co_ci_u32_e64 v5, null, s15, v5, vcc_lo
	global_load_b32 v5, v[4:5], off
	v_add_co_u32 v4, vcc_lo, s16, v1
	v_add_nc_u32_e32 v1, 0x100, v1
	s_wait_loadcnt 0x0
	v_subrev_nc_u32_e32 v6, s26, v5
	s_wait_alu 0xfffd
	v_add_co_ci_u32_e64 v5, null, s17, v2, vcc_lo
	global_load_i8 v2, v[4:5], off
	v_ashrrev_i32_e32 v5, 31, v6
	v_add_co_u32 v4, vcc_lo, s18, v6
	s_wait_alu 0xfffd
	s_delay_alu instid0(VALU_DEP_2)
	v_add_co_ci_u32_e64 v5, null, s19, v5, vcc_lo
	v_cmp_le_i32_e32 vcc_lo, s1, v1
	global_load_i8 v4, v[4:5], off
	s_wait_alu 0xfffe
	s_or_b32 s3, vcc_lo, s3
	s_wait_loadcnt 0x1
	v_mul_lo_u32 v2, s40, v2
	s_wait_loadcnt 0x0
	s_delay_alu instid0(VALU_DEP_1)
	v_mul_lo_u32 v2, v2, v4
	ds_store_b32 v3, v2
	v_add_nc_u32_e32 v3, 0x400, v3
	s_wait_alu 0xfffe
	s_and_not1_b32 exec_lo, exec_lo, s3
	s_cbranch_execnz .LBB44_78
.LBB44_79:
	s_or_b32 exec_lo, exec_lo, s2
                                        ; implicit-def: $vgpr1
.LBB44_80:
	s_wait_alu 0xfffe
	s_or_saveexec_b32 s0, s0
	v_lshlrev_b32_e32 v7, 2, v0
	s_wait_alu 0xfffe
	s_xor_b32 exec_lo, exec_lo, s0
	s_cbranch_execz .LBB44_82
; %bb.81:
	v_ashrrev_i32_e32 v2, 31, v1
	s_delay_alu instid0(VALU_DEP_1) | instskip(NEXT) | instid1(VALU_DEP_1)
	v_lshlrev_b64_e32 v[3:4], 2, v[1:2]
	v_add_co_u32 v3, vcc_lo, s14, v3
	s_wait_alu 0xfffd
	s_delay_alu instid0(VALU_DEP_2)
	v_add_co_ci_u32_e64 v4, null, s15, v4, vcc_lo
	v_add_co_u32 v1, vcc_lo, s16, v1
	s_wait_alu 0xfffd
	v_add_co_ci_u32_e64 v2, null, s17, v2, vcc_lo
	s_clause 0x3
	global_load_b32 v5, v[3:4], off
	global_load_b32 v6, v[3:4], off offset:1024
	global_load_b32 v8, v[3:4], off offset:2048
	global_load_b32 v3, v[3:4], off offset:3072
	s_clause 0x3
	global_load_i8 v10, v[1:2], off
	global_load_i8 v11, v[1:2], off offset:256
	global_load_i8 v12, v[1:2], off offset:512
	;; [unrolled: 1-line block ×3, first 2 shown]
	s_wait_loadcnt 0x7
	v_subrev_nc_u32_e32 v4, s26, v5
	s_wait_loadcnt 0x6
	v_subrev_nc_u32_e32 v5, s26, v6
	;; [unrolled: 2-line block ×4, first 2 shown]
	v_ashrrev_i32_e32 v2, 31, v4
	v_ashrrev_i32_e32 v9, 31, v5
	v_add_co_u32 v1, vcc_lo, s18, v4
	v_ashrrev_i32_e32 v14, 31, v6
	s_wait_alu 0xfffd
	v_add_co_ci_u32_e64 v2, null, s19, v2, vcc_lo
	v_add_co_u32 v3, vcc_lo, s18, v5
	v_ashrrev_i32_e32 v15, 31, v8
	s_wait_alu 0xfffd
	v_add_co_ci_u32_e64 v4, null, s19, v9, vcc_lo
	v_add_co_u32 v5, vcc_lo, s18, v6
	s_wait_alu 0xfffd
	v_add_co_ci_u32_e64 v6, null, s19, v14, vcc_lo
	v_add_co_u32 v8, vcc_lo, s18, v8
	s_wait_alu 0xfffd
	v_add_co_ci_u32_e64 v9, null, s19, v15, vcc_lo
	s_clause 0x3
	global_load_i8 v1, v[1:2], off
	global_load_i8 v2, v[3:4], off
	;; [unrolled: 1-line block ×4, first 2 shown]
	s_wait_loadcnt 0x7
	v_mul_lo_u32 v5, s40, v10
	s_wait_loadcnt 0x6
	v_mul_lo_u32 v6, s40, v11
	;; [unrolled: 2-line block ×8, first 2 shown]
	ds_store_2addr_stride64_b32 v7, v1, v2 offset1:4
	ds_store_2addr_stride64_b32 v7, v3, v4 offset0:8 offset1:12
.LBB44_82:
	s_or_b32 exec_lo, exec_lo, s0
	s_cmp_lt_i32 s31, 2
	s_mov_b32 s0, -1
	s_wait_storecnt 0x0
	s_wait_loadcnt_dscnt 0x0
	s_barrier_signal -1
	s_barrier_wait -1
	global_inv scope:SCOPE_SE
	s_cbranch_scc0 .LBB44_93
; %bb.83:
	v_add_nc_u32_e32 v1, s22, v0
	s_mov_b32 s1, exec_lo
	s_delay_alu instid0(VALU_DEP_1)
	v_cmpx_gt_i32_e64 s23, v1
	s_cbranch_execz .LBB44_92
; %bb.84:
	s_cmp_lg_u32 s27, 0
	s_mov_b32 s3, 0
	s_cselect_b32 s2, -1, 0
	s_lshl_b32 s0, s33, 2
	s_wait_alu 0xfffe
	s_sub_co_i32 s4, 0, s0
	s_branch .LBB44_86
.LBB44_85:                              ;   in Loop: Header=BB44_86 Depth=1
	v_add_nc_u32_e32 v1, 0x100, v1
	v_add_co_u32 v2, s0, s20, v2
	s_wait_alu 0xf1ff
	v_add_co_ci_u32_e64 v3, null, s21, v3, s0
	s_delay_alu instid0(VALU_DEP_3)
	v_cmp_le_i32_e32 vcc_lo, s23, v1
	global_store_b32 v[2:3], v4, off
	s_or_b32 s3, vcc_lo, s3
	s_wait_alu 0xfffe
	s_and_not1_b32 exec_lo, exec_lo, s3
	s_cbranch_execz .LBB44_92
.LBB44_86:                              ; =>This Loop Header: Depth=1
                                        ;     Child Loop BB44_88 Depth 2
	v_ashrrev_i32_e32 v2, 31, v1
	s_mov_b32 s0, exec_lo
	s_delay_alu instid0(VALU_DEP_1) | instskip(NEXT) | instid1(VALU_DEP_1)
	v_lshlrev_b64_e32 v[2:3], 2, v[1:2]
	v_add_co_u32 v4, vcc_lo, s12, v2
	s_wait_alu 0xfffd
	s_delay_alu instid0(VALU_DEP_2)
	v_add_co_ci_u32_e64 v5, null, s13, v3, vcc_lo
	global_load_b64 v[5:6], v[4:5], off
	v_mov_b32_e32 v4, 0
	s_wait_loadcnt 0x0
	v_cmpx_lt_i32_e64 v5, v6
	s_cbranch_execz .LBB44_90
; %bb.87:                               ;   in Loop: Header=BB44_86 Depth=1
	v_subrev_nc_u32_e32 v6, s33, v6
	v_subrev_nc_u32_e32 v8, s33, v5
	v_lshl_add_u32 v5, v5, 2, s4
	v_mov_b32_e32 v4, 0
	s_mov_b32 s5, 0
.LBB44_88:                              ;   Parent Loop BB44_86 Depth=1
                                        ; =>  This Inner Loop Header: Depth=2
	ds_load_b32 v9, v5
	v_add_nc_u32_e32 v8, 1, v8
	v_add_nc_u32_e32 v5, 4, v5
	s_delay_alu instid0(VALU_DEP_2)
	v_cmp_ge_i32_e32 vcc_lo, v8, v6
	s_wait_alu 0xfffe
	s_or_b32 s5, vcc_lo, s5
	s_wait_dscnt 0x0
	v_add_nc_u32_e32 v4, v9, v4
	s_wait_alu 0xfffe
	s_and_not1_b32 exec_lo, exec_lo, s5
	s_cbranch_execnz .LBB44_88
; %bb.89:                               ;   in Loop: Header=BB44_86 Depth=1
	s_or_b32 exec_lo, exec_lo, s5
.LBB44_90:                              ;   in Loop: Header=BB44_86 Depth=1
	s_wait_alu 0xfffe
	s_or_b32 exec_lo, exec_lo, s0
	s_delay_alu instid0(SALU_CYCLE_1)
	s_and_b32 vcc_lo, exec_lo, s2
	s_wait_alu 0xfffe
	s_cbranch_vccz .LBB44_85
; %bb.91:                               ;   in Loop: Header=BB44_86 Depth=1
	v_add_co_u32 v5, vcc_lo, s20, v2
	s_wait_alu 0xfffd
	v_add_co_ci_u32_e64 v6, null, s21, v3, vcc_lo
	global_load_b32 v5, v[5:6], off
	s_wait_loadcnt 0x0
	v_mad_co_u64_u32 v[4:5], null, v5, s27, v[4:5]
	s_branch .LBB44_85
.LBB44_92:
	s_wait_alu 0xfffe
	s_or_b32 exec_lo, exec_lo, s1
	s_mov_b32 s0, 0
.LBB44_93:
	s_wait_alu 0xfffe
	s_and_not1_b32 vcc_lo, exec_lo, s0
	s_wait_alu 0xfffe
	s_cbranch_vccnz .LBB44_118
; %bb.94:
	s_clz_i32_u32 s0, s31
	s_mov_b32 s1, exec_lo
	s_wait_alu 0xfffe
	s_xor_b32 s0, s0, 31
	v_mov_b32_e32 v2, 0
	s_wait_alu 0xfffe
	v_lshrrev_b32_e32 v3, s0, v0
	s_add_co_i32 s0, s31, -1
	s_wait_alu 0xfffe
	v_and_b32_e32 v0, s0, v0
	s_delay_alu instid0(VALU_DEP_2) | instskip(NEXT) | instid1(VALU_DEP_1)
	v_add_nc_u32_e32 v1, s22, v3
	v_cmp_le_i32_e32 vcc_lo, s23, v1
	v_cmpx_gt_i32_e64 s23, v1
	s_cbranch_execz .LBB44_100
; %bb.95:
	v_lshlrev_b32_e32 v2, 2, v3
	v_subrev_nc_u32_e32 v4, s33, v0
	s_mov_b32 s2, exec_lo
	global_load_b64 v[2:3], v2, s[24:25]
	s_wait_loadcnt 0x0
	v_subrev_nc_u32_e32 v3, s33, v3
	v_add_nc_u32_e32 v4, v2, v4
	v_mov_b32_e32 v2, 0
	s_delay_alu instid0(VALU_DEP_2)
	v_cmpx_lt_i32_e64 v4, v3
	s_cbranch_execz .LBB44_99
; %bb.96:
	v_dual_mov_b32 v2, 0 :: v_dual_lshlrev_b32 v5, 2, v4
	s_lshl_b32 s4, s31, 2
	s_mov_b32 s3, 0
.LBB44_97:                              ; =>This Inner Loop Header: Depth=1
	ds_load_b32 v6, v5
	v_add_nc_u32_e32 v4, s31, v4
	s_wait_alu 0xfffe
	v_add_nc_u32_e32 v5, s4, v5
	s_delay_alu instid0(VALU_DEP_2)
	v_cmp_ge_i32_e64 s0, v4, v3
	s_or_b32 s3, s0, s3
	s_wait_dscnt 0x0
	v_add_nc_u32_e32 v2, v6, v2
	s_wait_alu 0xfffe
	s_and_not1_b32 exec_lo, exec_lo, s3
	s_cbranch_execnz .LBB44_97
; %bb.98:
	s_or_b32 exec_lo, exec_lo, s3
.LBB44_99:
	s_wait_alu 0xfffe
	s_or_b32 exec_lo, exec_lo, s2
.LBB44_100:
	s_delay_alu instid0(SALU_CYCLE_1)
	s_or_b32 exec_lo, exec_lo, s1
	s_cmp_lt_u32 s31, 0x81
	s_wait_loadcnt 0x0
	s_wait_storecnt 0x0
	s_barrier_signal -1
	s_barrier_wait -1
	global_inv scope:SCOPE_SE
	ds_store_b32 v7, v2
	s_wait_loadcnt_dscnt 0x0
	s_barrier_signal -1
	s_barrier_wait -1
	global_inv scope:SCOPE_SE
	s_cbranch_scc1 .LBB44_102
; %bb.101:
	ds_load_b32 v3, v7 offset:512
	s_wait_loadcnt_dscnt 0x0
	s_barrier_signal -1
	s_barrier_wait -1
	global_inv scope:SCOPE_SE
	v_add_nc_u32_e32 v2, v3, v2
	ds_store_b32 v7, v2
.LBB44_102:
	s_cmp_lt_u32 s31, 0x41
	s_wait_loadcnt_dscnt 0x0
	s_barrier_signal -1
	s_barrier_wait -1
	global_inv scope:SCOPE_SE
	s_cbranch_scc1 .LBB44_104
; %bb.103:
	ds_load_b32 v3, v7 offset:256
	s_wait_loadcnt_dscnt 0x0
	s_barrier_signal -1
	s_barrier_wait -1
	global_inv scope:SCOPE_SE
	v_add_nc_u32_e32 v2, v3, v2
	ds_store_b32 v7, v2
.LBB44_104:
	s_cmp_lt_u32 s31, 33
	;; [unrolled: 15-line block ×5, first 2 shown]
	s_wait_loadcnt_dscnt 0x0
	s_barrier_signal -1
	s_barrier_wait -1
	global_inv scope:SCOPE_SE
	s_cbranch_scc1 .LBB44_112
; %bb.111:
	ds_load_b32 v3, v7 offset:16
	s_wait_loadcnt_dscnt 0x0
	s_barrier_signal -1
	s_barrier_wait -1
	global_inv scope:SCOPE_SE
	v_add_nc_u32_e32 v2, v3, v2
	ds_store_b32 v7, v2
.LBB44_112:
	s_cmp_eq_u32 s31, 2
	s_wait_loadcnt_dscnt 0x0
	s_barrier_signal -1
	s_barrier_wait -1
	global_inv scope:SCOPE_SE
	s_cbranch_scc1 .LBB44_114
; %bb.113:
	ds_load_b32 v3, v7 offset:8
	s_wait_loadcnt_dscnt 0x0
	s_barrier_signal -1
	s_barrier_wait -1
	global_inv scope:SCOPE_SE
	v_add_nc_u32_e32 v2, v3, v2
	ds_store_b32 v7, v2
.LBB44_114:
	s_wait_loadcnt_dscnt 0x0
	s_barrier_signal -1
	s_barrier_wait -1
	global_inv scope:SCOPE_SE
	ds_load_b32 v3, v7 offset:4
	v_cmp_eq_u32_e64 s0, 0, v0
	s_xor_b32 s1, vcc_lo, -1
	s_wait_loadcnt_dscnt 0x0
	s_barrier_signal -1
	s_barrier_wait -1
	s_wait_alu 0xfffe
	s_and_b32 s0, s0, s1
	global_inv scope:SCOPE_SE
	v_add_nc_u32_e32 v0, v3, v2
	ds_store_b32 v7, v0
	s_wait_alu 0xfffe
	s_and_saveexec_b32 s1, s0
	s_cbranch_execz .LBB44_118
; %bb.115:
	v_ashrrev_i32_e32 v2, 31, v1
	s_cmp_eq_u32 s27, 0
	s_delay_alu instid0(VALU_DEP_1)
	v_lshlrev_b64_e32 v[2:3], 2, v[1:2]
	s_cbranch_scc1 .LBB44_117
; %bb.116:
	s_delay_alu instid0(VALU_DEP_1) | instskip(SKIP_1) | instid1(VALU_DEP_2)
	v_add_co_u32 v4, vcc_lo, s20, v2
	s_wait_alu 0xfffd
	v_add_co_ci_u32_e64 v5, null, s21, v3, vcc_lo
	global_load_b32 v1, v[4:5], off
	s_wait_loadcnt 0x0
	v_mad_co_u64_u32 v[0:1], null, v1, s27, v[0:1]
.LBB44_117:
	s_delay_alu instid0(VALU_DEP_1) | instskip(SKIP_1) | instid1(VALU_DEP_2)
	v_add_co_u32 v1, vcc_lo, s20, v2
	s_wait_alu 0xfffd
	v_add_co_ci_u32_e64 v2, null, s21, v3, vcc_lo
	global_store_b32 v[1:2], v0, off
.LBB44_118:
	s_endpgm
	.section	.rodata,"a",@progbits
	.p2align	6, 0x0
	.amdhsa_kernel _ZN9rocsparseL22csrmvn_adaptive_kernelIiiaaiiEEvbT_PKS1_PjPKT0_NS_24const_host_device_scalarIT4_EES3_S7_PKT1_PKT2_SA_PT3_21rocsparse_index_base_b
		.amdhsa_group_segment_fixed_size 4096
		.amdhsa_private_segment_fixed_size 0
		.amdhsa_kernarg_size 96
		.amdhsa_user_sgpr_count 2
		.amdhsa_user_sgpr_dispatch_ptr 0
		.amdhsa_user_sgpr_queue_ptr 0
		.amdhsa_user_sgpr_kernarg_segment_ptr 1
		.amdhsa_user_sgpr_dispatch_id 0
		.amdhsa_user_sgpr_private_segment_size 0
		.amdhsa_wavefront_size32 1
		.amdhsa_uses_dynamic_stack 0
		.amdhsa_enable_private_segment 0
		.amdhsa_system_sgpr_workgroup_id_x 1
		.amdhsa_system_sgpr_workgroup_id_y 0
		.amdhsa_system_sgpr_workgroup_id_z 0
		.amdhsa_system_sgpr_workgroup_info 0
		.amdhsa_system_vgpr_workitem_id 0
		.amdhsa_next_free_vgpr 16
		.amdhsa_next_free_sgpr 43
		.amdhsa_reserve_vcc 1
		.amdhsa_float_round_mode_32 0
		.amdhsa_float_round_mode_16_64 0
		.amdhsa_float_denorm_mode_32 3
		.amdhsa_float_denorm_mode_16_64 3
		.amdhsa_fp16_overflow 0
		.amdhsa_workgroup_processor_mode 1
		.amdhsa_memory_ordered 1
		.amdhsa_forward_progress 1
		.amdhsa_inst_pref_size 40
		.amdhsa_round_robin_scheduling 0
		.amdhsa_exception_fp_ieee_invalid_op 0
		.amdhsa_exception_fp_denorm_src 0
		.amdhsa_exception_fp_ieee_div_zero 0
		.amdhsa_exception_fp_ieee_overflow 0
		.amdhsa_exception_fp_ieee_underflow 0
		.amdhsa_exception_fp_ieee_inexact 0
		.amdhsa_exception_int_div_zero 0
	.end_amdhsa_kernel
	.section	.text._ZN9rocsparseL22csrmvn_adaptive_kernelIiiaaiiEEvbT_PKS1_PjPKT0_NS_24const_host_device_scalarIT4_EES3_S7_PKT1_PKT2_SA_PT3_21rocsparse_index_base_b,"axG",@progbits,_ZN9rocsparseL22csrmvn_adaptive_kernelIiiaaiiEEvbT_PKS1_PjPKT0_NS_24const_host_device_scalarIT4_EES3_S7_PKT1_PKT2_SA_PT3_21rocsparse_index_base_b,comdat
.Lfunc_end44:
	.size	_ZN9rocsparseL22csrmvn_adaptive_kernelIiiaaiiEEvbT_PKS1_PjPKT0_NS_24const_host_device_scalarIT4_EES3_S7_PKT1_PKT2_SA_PT3_21rocsparse_index_base_b, .Lfunc_end44-_ZN9rocsparseL22csrmvn_adaptive_kernelIiiaaiiEEvbT_PKS1_PjPKT0_NS_24const_host_device_scalarIT4_EES3_S7_PKT1_PKT2_SA_PT3_21rocsparse_index_base_b
                                        ; -- End function
	.set _ZN9rocsparseL22csrmvn_adaptive_kernelIiiaaiiEEvbT_PKS1_PjPKT0_NS_24const_host_device_scalarIT4_EES3_S7_PKT1_PKT2_SA_PT3_21rocsparse_index_base_b.num_vgpr, 16
	.set _ZN9rocsparseL22csrmvn_adaptive_kernelIiiaaiiEEvbT_PKS1_PjPKT0_NS_24const_host_device_scalarIT4_EES3_S7_PKT1_PKT2_SA_PT3_21rocsparse_index_base_b.num_agpr, 0
	.set _ZN9rocsparseL22csrmvn_adaptive_kernelIiiaaiiEEvbT_PKS1_PjPKT0_NS_24const_host_device_scalarIT4_EES3_S7_PKT1_PKT2_SA_PT3_21rocsparse_index_base_b.numbered_sgpr, 43
	.set _ZN9rocsparseL22csrmvn_adaptive_kernelIiiaaiiEEvbT_PKS1_PjPKT0_NS_24const_host_device_scalarIT4_EES3_S7_PKT1_PKT2_SA_PT3_21rocsparse_index_base_b.num_named_barrier, 0
	.set _ZN9rocsparseL22csrmvn_adaptive_kernelIiiaaiiEEvbT_PKS1_PjPKT0_NS_24const_host_device_scalarIT4_EES3_S7_PKT1_PKT2_SA_PT3_21rocsparse_index_base_b.private_seg_size, 0
	.set _ZN9rocsparseL22csrmvn_adaptive_kernelIiiaaiiEEvbT_PKS1_PjPKT0_NS_24const_host_device_scalarIT4_EES3_S7_PKT1_PKT2_SA_PT3_21rocsparse_index_base_b.uses_vcc, 1
	.set _ZN9rocsparseL22csrmvn_adaptive_kernelIiiaaiiEEvbT_PKS1_PjPKT0_NS_24const_host_device_scalarIT4_EES3_S7_PKT1_PKT2_SA_PT3_21rocsparse_index_base_b.uses_flat_scratch, 0
	.set _ZN9rocsparseL22csrmvn_adaptive_kernelIiiaaiiEEvbT_PKS1_PjPKT0_NS_24const_host_device_scalarIT4_EES3_S7_PKT1_PKT2_SA_PT3_21rocsparse_index_base_b.has_dyn_sized_stack, 0
	.set _ZN9rocsparseL22csrmvn_adaptive_kernelIiiaaiiEEvbT_PKS1_PjPKT0_NS_24const_host_device_scalarIT4_EES3_S7_PKT1_PKT2_SA_PT3_21rocsparse_index_base_b.has_recursion, 0
	.set _ZN9rocsparseL22csrmvn_adaptive_kernelIiiaaiiEEvbT_PKS1_PjPKT0_NS_24const_host_device_scalarIT4_EES3_S7_PKT1_PKT2_SA_PT3_21rocsparse_index_base_b.has_indirect_call, 0
	.section	.AMDGPU.csdata,"",@progbits
; Kernel info:
; codeLenInByte = 5036
; TotalNumSgprs: 45
; NumVgprs: 16
; ScratchSize: 0
; MemoryBound: 0
; FloatMode: 240
; IeeeMode: 1
; LDSByteSize: 4096 bytes/workgroup (compile time only)
; SGPRBlocks: 0
; VGPRBlocks: 1
; NumSGPRsForWavesPerEU: 45
; NumVGPRsForWavesPerEU: 16
; Occupancy: 16
; WaveLimiterHint : 1
; COMPUTE_PGM_RSRC2:SCRATCH_EN: 0
; COMPUTE_PGM_RSRC2:USER_SGPR: 2
; COMPUTE_PGM_RSRC2:TRAP_HANDLER: 0
; COMPUTE_PGM_RSRC2:TGID_X_EN: 1
; COMPUTE_PGM_RSRC2:TGID_Y_EN: 0
; COMPUTE_PGM_RSRC2:TGID_Z_EN: 0
; COMPUTE_PGM_RSRC2:TIDIG_COMP_CNT: 0
	.section	.text._ZN9rocsparseL22partial_scale_y_kernelIiiiEEvT_S1_S1_NS_24const_host_device_scalarIT1_EEPT0_b,"axG",@progbits,_ZN9rocsparseL22partial_scale_y_kernelIiiiEEvT_S1_S1_NS_24const_host_device_scalarIT1_EEPT0_b,comdat
	.globl	_ZN9rocsparseL22partial_scale_y_kernelIiiiEEvT_S1_S1_NS_24const_host_device_scalarIT1_EEPT0_b ; -- Begin function _ZN9rocsparseL22partial_scale_y_kernelIiiiEEvT_S1_S1_NS_24const_host_device_scalarIT1_EEPT0_b
	.p2align	8
	.type	_ZN9rocsparseL22partial_scale_y_kernelIiiiEEvT_S1_S1_NS_24const_host_device_scalarIT1_EEPT0_b,@function
_ZN9rocsparseL22partial_scale_y_kernelIiiiEEvT_S1_S1_NS_24const_host_device_scalarIT1_EEPT0_b: ; @_ZN9rocsparseL22partial_scale_y_kernelIiiiEEvT_S1_S1_NS_24const_host_device_scalarIT1_EEPT0_b
; %bb.0:
	s_clause 0x1
	s_load_b32 s4, s[0:1], 0x20
	s_load_b64 s[2:3], s[0:1], 0x10
	s_wait_kmcnt 0x0
	s_bitcmp0_b32 s4, 0
	s_mov_b32 s4, 0
	s_cbranch_scc0 .LBB45_2
; %bb.1:
	s_load_b32 s3, s[2:3], 0x0
	s_and_not1_b32 vcc_lo, exec_lo, s4
	s_cbranch_vccz .LBB45_3
	s_branch .LBB45_4
.LBB45_2:
                                        ; implicit-def: $sgpr3
.LBB45_3:
	s_wait_kmcnt 0x0
	s_mov_b32 s3, s2
.LBB45_4:
	s_wait_kmcnt 0x0
	s_cmp_eq_u32 s3, 1
	s_cbranch_scc1 .LBB45_14
; %bb.5:
	s_load_b96 s[4:6], s[0:1], 0x0
	v_lshl_or_b32 v0, ttmp9, 8, v0
	s_wait_kmcnt 0x0
	s_add_co_i32 s2, s5, s4
	s_delay_alu instid0(SALU_CYCLE_1)
	s_sub_co_i32 s2, s2, s6
	s_delay_alu instid0(VALU_DEP_1) | instid1(SALU_CYCLE_1)
	v_cmp_gt_i32_e32 vcc_lo, s2, v0
	s_and_saveexec_b32 s2, vcc_lo
	s_cbranch_execz .LBB45_14
; %bb.6:
	s_load_b64 s[0:1], s[0:1], 0x18
	s_cmp_lg_u32 s3, 0
	s_mov_b32 s4, exec_lo
	s_cselect_b32 s2, -1, 0
	v_cmpx_le_i32_e64 s5, v0
	s_xor_b32 s4, exec_lo, s4
	s_cbranch_execz .LBB45_10
; %bb.7:
	v_subrev_nc_u32_e32 v0, s5, v0
	s_delay_alu instid0(VALU_DEP_1) | instskip(NEXT) | instid1(VALU_DEP_1)
	v_add_nc_u32_e32 v0, s6, v0
	v_ashrrev_i32_e32 v1, 31, v0
	s_delay_alu instid0(VALU_DEP_1) | instskip(SKIP_1) | instid1(VALU_DEP_1)
	v_lshlrev_b64_e32 v[1:2], 2, v[0:1]
	s_wait_kmcnt 0x0
	v_add_co_u32 v1, vcc_lo, s0, v1
	s_delay_alu instid0(VALU_DEP_1)
	v_add_co_ci_u32_e64 v2, null, s1, v2, vcc_lo
	s_wait_alu 0xfffe
	s_and_b32 vcc_lo, exec_lo, s2
	s_wait_alu 0xfffe
	s_cbranch_vccz .LBB45_15
; %bb.8:
	global_load_b32 v0, v[1:2], off
	s_wait_loadcnt 0x0
	v_mul_lo_u32 v0, v0, s3
	global_store_b32 v[1:2], v0, off
                                        ; implicit-def: $vgpr0
	s_cbranch_execnz .LBB45_10
.LBB45_9:
	v_mov_b32_e32 v0, 0
	global_store_b32 v[1:2], v0, off
                                        ; implicit-def: $vgpr0
.LBB45_10:
	s_wait_alu 0xfffe
	s_and_not1_saveexec_b32 s4, s4
	s_cbranch_execz .LBB45_14
; %bb.11:
	v_ashrrev_i32_e32 v1, 31, v0
	s_delay_alu instid0(VALU_DEP_1) | instskip(SKIP_1) | instid1(VALU_DEP_1)
	v_lshlrev_b64_e32 v[0:1], 2, v[0:1]
	s_wait_kmcnt 0x0
	v_add_co_u32 v0, vcc_lo, s0, v0
	s_wait_alu 0xfffd
	s_delay_alu instid0(VALU_DEP_2)
	v_add_co_ci_u32_e64 v1, null, s1, v1, vcc_lo
	s_and_b32 vcc_lo, exec_lo, s2
	s_wait_alu 0xfffe
	s_cbranch_vccz .LBB45_16
; %bb.12:
	global_load_b32 v2, v[0:1], off
	s_wait_loadcnt 0x0
	v_mul_lo_u32 v2, v2, s3
	global_store_b32 v[0:1], v2, off
	s_cbranch_execnz .LBB45_14
.LBB45_13:
	v_mov_b32_e32 v2, 0
	global_store_b32 v[0:1], v2, off
.LBB45_14:
	s_endpgm
.LBB45_15:
                                        ; implicit-def: $vgpr0
	s_branch .LBB45_9
.LBB45_16:
	s_branch .LBB45_13
	.section	.rodata,"a",@progbits
	.p2align	6, 0x0
	.amdhsa_kernel _ZN9rocsparseL22partial_scale_y_kernelIiiiEEvT_S1_S1_NS_24const_host_device_scalarIT1_EEPT0_b
		.amdhsa_group_segment_fixed_size 0
		.amdhsa_private_segment_fixed_size 0
		.amdhsa_kernarg_size 36
		.amdhsa_user_sgpr_count 2
		.amdhsa_user_sgpr_dispatch_ptr 0
		.amdhsa_user_sgpr_queue_ptr 0
		.amdhsa_user_sgpr_kernarg_segment_ptr 1
		.amdhsa_user_sgpr_dispatch_id 0
		.amdhsa_user_sgpr_private_segment_size 0
		.amdhsa_wavefront_size32 1
		.amdhsa_uses_dynamic_stack 0
		.amdhsa_enable_private_segment 0
		.amdhsa_system_sgpr_workgroup_id_x 1
		.amdhsa_system_sgpr_workgroup_id_y 0
		.amdhsa_system_sgpr_workgroup_id_z 0
		.amdhsa_system_sgpr_workgroup_info 0
		.amdhsa_system_vgpr_workitem_id 0
		.amdhsa_next_free_vgpr 3
		.amdhsa_next_free_sgpr 7
		.amdhsa_reserve_vcc 1
		.amdhsa_float_round_mode_32 0
		.amdhsa_float_round_mode_16_64 0
		.amdhsa_float_denorm_mode_32 3
		.amdhsa_float_denorm_mode_16_64 3
		.amdhsa_fp16_overflow 0
		.amdhsa_workgroup_processor_mode 1
		.amdhsa_memory_ordered 1
		.amdhsa_forward_progress 1
		.amdhsa_inst_pref_size 4
		.amdhsa_round_robin_scheduling 0
		.amdhsa_exception_fp_ieee_invalid_op 0
		.amdhsa_exception_fp_denorm_src 0
		.amdhsa_exception_fp_ieee_div_zero 0
		.amdhsa_exception_fp_ieee_overflow 0
		.amdhsa_exception_fp_ieee_underflow 0
		.amdhsa_exception_fp_ieee_inexact 0
		.amdhsa_exception_int_div_zero 0
	.end_amdhsa_kernel
	.section	.text._ZN9rocsparseL22partial_scale_y_kernelIiiiEEvT_S1_S1_NS_24const_host_device_scalarIT1_EEPT0_b,"axG",@progbits,_ZN9rocsparseL22partial_scale_y_kernelIiiiEEvT_S1_S1_NS_24const_host_device_scalarIT1_EEPT0_b,comdat
.Lfunc_end45:
	.size	_ZN9rocsparseL22partial_scale_y_kernelIiiiEEvT_S1_S1_NS_24const_host_device_scalarIT1_EEPT0_b, .Lfunc_end45-_ZN9rocsparseL22partial_scale_y_kernelIiiiEEvT_S1_S1_NS_24const_host_device_scalarIT1_EEPT0_b
                                        ; -- End function
	.set _ZN9rocsparseL22partial_scale_y_kernelIiiiEEvT_S1_S1_NS_24const_host_device_scalarIT1_EEPT0_b.num_vgpr, 3
	.set _ZN9rocsparseL22partial_scale_y_kernelIiiiEEvT_S1_S1_NS_24const_host_device_scalarIT1_EEPT0_b.num_agpr, 0
	.set _ZN9rocsparseL22partial_scale_y_kernelIiiiEEvT_S1_S1_NS_24const_host_device_scalarIT1_EEPT0_b.numbered_sgpr, 7
	.set _ZN9rocsparseL22partial_scale_y_kernelIiiiEEvT_S1_S1_NS_24const_host_device_scalarIT1_EEPT0_b.num_named_barrier, 0
	.set _ZN9rocsparseL22partial_scale_y_kernelIiiiEEvT_S1_S1_NS_24const_host_device_scalarIT1_EEPT0_b.private_seg_size, 0
	.set _ZN9rocsparseL22partial_scale_y_kernelIiiiEEvT_S1_S1_NS_24const_host_device_scalarIT1_EEPT0_b.uses_vcc, 1
	.set _ZN9rocsparseL22partial_scale_y_kernelIiiiEEvT_S1_S1_NS_24const_host_device_scalarIT1_EEPT0_b.uses_flat_scratch, 0
	.set _ZN9rocsparseL22partial_scale_y_kernelIiiiEEvT_S1_S1_NS_24const_host_device_scalarIT1_EEPT0_b.has_dyn_sized_stack, 0
	.set _ZN9rocsparseL22partial_scale_y_kernelIiiiEEvT_S1_S1_NS_24const_host_device_scalarIT1_EEPT0_b.has_recursion, 0
	.set _ZN9rocsparseL22partial_scale_y_kernelIiiiEEvT_S1_S1_NS_24const_host_device_scalarIT1_EEPT0_b.has_indirect_call, 0
	.section	.AMDGPU.csdata,"",@progbits
; Kernel info:
; codeLenInByte = 412
; TotalNumSgprs: 9
; NumVgprs: 3
; ScratchSize: 0
; MemoryBound: 0
; FloatMode: 240
; IeeeMode: 1
; LDSByteSize: 0 bytes/workgroup (compile time only)
; SGPRBlocks: 0
; VGPRBlocks: 0
; NumSGPRsForWavesPerEU: 9
; NumVGPRsForWavesPerEU: 3
; Occupancy: 16
; WaveLimiterHint : 0
; COMPUTE_PGM_RSRC2:SCRATCH_EN: 0
; COMPUTE_PGM_RSRC2:USER_SGPR: 2
; COMPUTE_PGM_RSRC2:TRAP_HANDLER: 0
; COMPUTE_PGM_RSRC2:TGID_X_EN: 1
; COMPUTE_PGM_RSRC2:TGID_Y_EN: 0
; COMPUTE_PGM_RSRC2:TGID_Z_EN: 0
; COMPUTE_PGM_RSRC2:TIDIG_COMP_CNT: 0
	.section	.text._ZN9rocsparseL27csrmvn_symm_adaptive_kernelIiiaaiiEEvbT_S1_PKS1_NS_24const_host_device_scalarIT4_EES3_PKT0_PKT1_PKT2_S6_PT3_21rocsparse_index_base_b,"axG",@progbits,_ZN9rocsparseL27csrmvn_symm_adaptive_kernelIiiaaiiEEvbT_S1_PKS1_NS_24const_host_device_scalarIT4_EES3_PKT0_PKT1_PKT2_S6_PT3_21rocsparse_index_base_b,comdat
	.globl	_ZN9rocsparseL27csrmvn_symm_adaptive_kernelIiiaaiiEEvbT_S1_PKS1_NS_24const_host_device_scalarIT4_EES3_PKT0_PKT1_PKT2_S6_PT3_21rocsparse_index_base_b ; -- Begin function _ZN9rocsparseL27csrmvn_symm_adaptive_kernelIiiaaiiEEvbT_S1_PKS1_NS_24const_host_device_scalarIT4_EES3_PKT0_PKT1_PKT2_S6_PT3_21rocsparse_index_base_b
	.p2align	8
	.type	_ZN9rocsparseL27csrmvn_symm_adaptive_kernelIiiaaiiEEvbT_S1_PKS1_NS_24const_host_device_scalarIT4_EES3_PKT0_PKT1_PKT2_S6_PT3_21rocsparse_index_base_b,@function
_ZN9rocsparseL27csrmvn_symm_adaptive_kernelIiiaaiiEEvbT_S1_PKS1_NS_24const_host_device_scalarIT4_EES3_PKT0_PKT1_PKT2_S6_PT3_21rocsparse_index_base_b: ; @_ZN9rocsparseL27csrmvn_symm_adaptive_kernelIiiaaiiEEvbT_S1_PKS1_NS_24const_host_device_scalarIT4_EES3_PKT0_PKT1_PKT2_S6_PT3_21rocsparse_index_base_b
; %bb.0:
	s_clause 0x1
	s_load_b64 s[20:21], s[0:1], 0x50
	s_load_b64 s[4:5], s[0:1], 0x18
	s_mov_b32 s7, -1
                                        ; implicit-def: $sgpr26
	s_wait_kmcnt 0x0
	s_bitcmp1_b32 s21, 0
	s_cselect_b32 s2, -1, 0
	s_delay_alu instid0(SALU_CYCLE_1) | instskip(NEXT) | instid1(SALU_CYCLE_1)
	s_xor_b32 s6, s2, -1
	s_and_b32 vcc_lo, exec_lo, s6
	s_cbranch_vccnz .LBB46_4
; %bb.1:
	s_load_b64 s[2:3], s[0:1], 0x40
	s_and_not1_b32 vcc_lo, exec_lo, s7
	s_cbranch_vccz .LBB46_5
.LBB46_2:
	s_and_b32 vcc_lo, exec_lo, s6
	s_cbranch_vccz .LBB46_6
.LBB46_3:
	s_wait_kmcnt 0x0
	s_load_b32 s3, s[2:3], 0x0
	s_cbranch_execz .LBB46_7
	s_branch .LBB46_8
.LBB46_4:
	s_load_b32 s26, s[4:5], 0x0
	s_load_b64 s[2:3], s[0:1], 0x40
	s_cbranch_execnz .LBB46_2
.LBB46_5:
	s_wait_kmcnt 0x0
	s_mov_b32 s26, s4
	s_and_b32 vcc_lo, exec_lo, s6
	s_cbranch_vccnz .LBB46_3
.LBB46_6:
                                        ; implicit-def: $sgpr3
.LBB46_7:
	s_wait_kmcnt 0x0
	s_mov_b32 s3, s2
.LBB46_8:
	s_wait_kmcnt 0x0
	s_cmp_lg_u32 s26, 0
	s_cselect_b32 s2, -1, 0
	s_cmp_lg_u32 s3, 1
	s_cselect_b32 s3, -1, 0
	s_delay_alu instid0(SALU_CYCLE_1) | instskip(NEXT) | instid1(SALU_CYCLE_1)
	s_or_b32 s2, s2, s3
	s_and_not1_b32 vcc_lo, exec_lo, s2
	s_cbranch_vccnz .LBB46_145
; %bb.9:
	s_load_b64 s[4:5], s[0:1], 0x10
	s_mov_b32 s2, ttmp9
	s_ashr_i32 s3, ttmp9, 31
	v_lshlrev_b32_e32 v7, 2, v0
	v_mov_b32_e32 v1, 0
	s_lshl_b64 s[2:3], s[2:3], 2
	ds_store_2addr_stride64_b32 v7, v1, v1 offset1:4
	ds_store_2addr_stride64_b32 v7, v1, v1 offset0:8 offset1:12
	s_wait_dscnt 0x0
	s_barrier_signal -1
	s_barrier_wait -1
	global_inv scope:SCOPE_SE
	v_subrev_nc_u32_e32 v8, s20, v0
	s_wait_kmcnt 0x0
	s_add_nc_u64 s[2:3], s[4:5], s[2:3]
	s_load_b64 s[18:19], s[2:3], 0x0
	s_clause 0x1
	s_load_b256 s[8:15], s[0:1], 0x20
	s_load_b64 s[16:17], s[0:1], 0x48
	s_mov_b32 s2, -1
	s_wait_kmcnt 0x0
	s_sub_co_i32 s21, s19, s18
	s_wait_alu 0xfffe
	s_cmp_gt_i32 s21, 2
	s_cbranch_scc1 .LBB46_38
; %bb.10:
	s_cmp_le_i32 s19, s18
	s_cbranch_scc1 .LBB46_28
; %bb.11:
	v_cmp_gt_u32_e64 s2, 16, v0
	v_cmp_gt_u32_e64 s3, 4, v0
	v_cmp_eq_u32_e64 s4, 0, v0
	v_mov_b32_e32 v9, 0
	s_mov_b32 s22, s18
	v_cmp_gt_u32_e32 vcc_lo, 64, v0
	s_branch .LBB46_13
.LBB46_12:                              ;   in Loop: Header=BB46_13 Depth=1
	s_wait_alu 0xfffe
	s_or_b32 exec_lo, exec_lo, s6
	s_add_co_i32 s22, s22, 1
	s_wait_alu 0xfffe
	s_cmp_ge_i32 s22, s19
	s_cbranch_scc1 .LBB46_28
.LBB46_13:                              ; =>This Loop Header: Depth=1
                                        ;     Child Loop BB46_15 Depth 2
	s_ashr_i32 s23, s22, 31
	v_mov_b32_e32 v2, 0
	s_wait_alu 0xfffe
	s_lshl_b64 s[24:25], s[22:23], 2
	s_delay_alu instid0(SALU_CYCLE_1)
	s_add_nc_u64 s[6:7], s[8:9], s[24:25]
	s_load_b64 s[6:7], s[6:7], 0x0
	s_wait_kmcnt 0x0
	v_add_nc_u32_e32 v1, s6, v8
	s_sub_co_i32 s23, s7, s20
	s_mov_b32 s7, exec_lo
	s_wait_alu 0xfffe
	s_delay_alu instid0(VALU_DEP_1)
	v_cmpx_gt_i32_e64 s23, v1
	s_cbranch_execz .LBB46_17
; %bb.14:                               ;   in Loop: Header=BB46_13 Depth=1
	v_ashrrev_i32_e32 v2, 31, v1
	v_add_co_u32 v3, s5, s12, v1
	s_mov_b32 s27, 0
	v_lshlrev_b64_e32 v[5:6], 2, v[1:2]
	s_wait_alu 0xf1ff
	v_add_co_ci_u32_e64 v4, null, s13, v2, s5
	v_mov_b32_e32 v2, 0
	s_delay_alu instid0(VALU_DEP_3)
	v_add_co_u32 v5, s5, s10, v5
	s_wait_alu 0xf1ff
	v_add_co_ci_u32_e64 v6, null, s11, v6, s5
.LBB46_15:                              ;   Parent Loop BB46_13 Depth=1
                                        ; =>  This Inner Loop Header: Depth=2
	global_load_b32 v10, v[5:6], off
	v_add_nc_u32_e32 v1, 0x100, v1
	s_delay_alu instid0(VALU_DEP_1) | instskip(SKIP_4) | instid1(VALU_DEP_1)
	v_cmp_le_i32_e64 s6, s23, v1
	s_wait_alu 0xfffe
	s_or_b32 s27, s6, s27
	s_wait_loadcnt 0x0
	v_subrev_nc_u32_e32 v10, s20, v10
	v_ashrrev_i32_e32 v11, 31, v10
	v_add_co_u32 v10, s5, s14, v10
	s_wait_alu 0xf1ff
	s_delay_alu instid0(VALU_DEP_2)
	v_add_co_ci_u32_e64 v11, null, s15, v11, s5
	v_add_co_u32 v5, s5, 0x400, v5
	global_load_i8 v12, v[3:4], off
	global_load_i8 v10, v[10:11], off
	s_wait_alu 0xf1ff
	v_add_co_ci_u32_e64 v6, null, 0, v6, s5
	v_add_co_u32 v3, s5, 0x100, v3
	s_wait_alu 0xf1ff
	v_add_co_ci_u32_e64 v4, null, 0, v4, s5
	s_wait_loadcnt 0x0
	v_mad_i32_i24 v2, v10, v12, v2
	s_wait_alu 0xfffe
	s_and_not1_b32 exec_lo, exec_lo, s27
	s_cbranch_execnz .LBB46_15
; %bb.16:                               ;   in Loop: Header=BB46_13 Depth=1
	s_or_b32 exec_lo, exec_lo, s27
.LBB46_17:                              ;   in Loop: Header=BB46_13 Depth=1
	s_wait_alu 0xfffe
	s_or_b32 exec_lo, exec_lo, s7
	ds_store_b32 v7, v2
	s_wait_loadcnt_dscnt 0x0
	s_barrier_signal -1
	s_barrier_wait -1
	global_inv scope:SCOPE_SE
	ds_load_2addr_stride64_b32 v[1:2], v7 offset1:4
	ds_load_2addr_stride64_b32 v[3:4], v7 offset0:8 offset1:12
	s_wait_dscnt 0x0
	v_add_nc_u32_e32 v2, v3, v2
	s_delay_alu instid0(VALU_DEP_1)
	v_add3_u32 v1, v2, v4, v1
	ds_store_b32 v7, v1
	s_wait_loadcnt_dscnt 0x0
	s_barrier_signal -1
	s_barrier_wait -1
	global_inv scope:SCOPE_SE
	s_and_saveexec_b32 s5, vcc_lo
	s_cbranch_execz .LBB46_19
; %bb.18:                               ;   in Loop: Header=BB46_13 Depth=1
	ds_load_2addr_stride64_b32 v[1:2], v7 offset1:1
	ds_load_2addr_stride64_b32 v[3:4], v7 offset0:2 offset1:3
	s_wait_dscnt 0x0
	v_add_nc_u32_e32 v2, v3, v2
	s_delay_alu instid0(VALU_DEP_1)
	v_add3_u32 v1, v2, v4, v1
	ds_store_b32 v7, v1
.LBB46_19:                              ;   in Loop: Header=BB46_13 Depth=1
	s_wait_alu 0xfffe
	s_or_b32 exec_lo, exec_lo, s5
	s_wait_loadcnt_dscnt 0x0
	s_barrier_signal -1
	s_barrier_wait -1
	global_inv scope:SCOPE_SE
	s_and_saveexec_b32 s5, s2
	s_cbranch_execz .LBB46_21
; %bb.20:                               ;   in Loop: Header=BB46_13 Depth=1
	ds_load_2addr_b32 v[1:2], v7 offset1:16
	ds_load_2addr_b32 v[3:4], v7 offset0:32 offset1:48
	s_wait_dscnt 0x0
	v_add_nc_u32_e32 v2, v3, v2
	s_delay_alu instid0(VALU_DEP_1)
	v_add3_u32 v1, v2, v4, v1
	ds_store_b32 v7, v1
.LBB46_21:                              ;   in Loop: Header=BB46_13 Depth=1
	s_wait_alu 0xfffe
	s_or_b32 exec_lo, exec_lo, s5
	s_wait_loadcnt_dscnt 0x0
	s_barrier_signal -1
	s_barrier_wait -1
	global_inv scope:SCOPE_SE
	s_and_saveexec_b32 s5, s3
	s_cbranch_execz .LBB46_23
; %bb.22:                               ;   in Loop: Header=BB46_13 Depth=1
	ds_load_2addr_b32 v[1:2], v7 offset1:4
	ds_load_2addr_b32 v[3:4], v7 offset0:8 offset1:12
	s_wait_dscnt 0x0
	v_add_nc_u32_e32 v2, v3, v2
	s_delay_alu instid0(VALU_DEP_1)
	v_add3_u32 v1, v2, v4, v1
	ds_store_b32 v7, v1
.LBB46_23:                              ;   in Loop: Header=BB46_13 Depth=1
	s_wait_alu 0xfffe
	s_or_b32 exec_lo, exec_lo, s5
	s_wait_loadcnt_dscnt 0x0
	s_barrier_signal -1
	s_barrier_wait -1
	global_inv scope:SCOPE_SE
	s_and_saveexec_b32 s5, s4
	s_cbranch_execz .LBB46_25
; %bb.24:                               ;   in Loop: Header=BB46_13 Depth=1
	ds_load_2addr_b32 v[1:2], v9 offset0:1 offset1:2
	ds_load_b32 v3, v9 offset:12
	ds_load_b32 v4, v7
	s_wait_dscnt 0x2
	v_add_nc_u32_e32 v1, v2, v1
	s_wait_dscnt 0x0
	s_delay_alu instid0(VALU_DEP_1)
	v_add3_u32 v1, v1, v3, v4
	ds_store_b32 v7, v1
.LBB46_25:                              ;   in Loop: Header=BB46_13 Depth=1
	s_wait_alu 0xfffe
	s_or_b32 exec_lo, exec_lo, s5
	s_wait_loadcnt_dscnt 0x0
	s_barrier_signal -1
	s_barrier_wait -1
	global_inv scope:SCOPE_SE
	s_and_saveexec_b32 s6, s4
	s_cbranch_execz .LBB46_12
; %bb.26:                               ;   in Loop: Header=BB46_13 Depth=1
	s_mov_b32 s7, exec_lo
	s_wait_alu 0xfffe
	v_mbcnt_lo_u32_b32 v1, s7, 0
	s_delay_alu instid0(VALU_DEP_1)
	v_cmp_eq_u32_e64 s5, 0, v1
	s_and_b32 s5, exec_lo, s5
	s_wait_alu 0xfffe
	s_mov_b32 exec_lo, s5
	s_cbranch_execz .LBB46_12
; %bb.27:                               ;   in Loop: Header=BB46_13 Depth=1
	ds_load_b32 v1, v9
	s_bcnt1_i32_b32 s5, s7
	s_add_nc_u64 s[24:25], s[16:17], s[24:25]
	s_wait_dscnt 0x0
	v_mul_lo_u32 v1, v1, s26
	s_wait_alu 0xfffe
	s_delay_alu instid0(VALU_DEP_1)
	v_mul_lo_u32 v1, v1, s5
	global_atomic_add_u32 v9, v1, s[24:25] scope:SCOPE_DEV
	s_branch .LBB46_12
.LBB46_28:
	s_ashr_i32 s3, s18, 31
	s_mov_b32 s2, s18
	s_ashr_i32 s5, s19, 31
	s_lshl_b64 s[2:3], s[2:3], 2
	s_mov_b32 s4, s19
	s_add_nc_u64 s[2:3], s[8:9], s[2:3]
	s_wait_alu 0xfffe
	s_lshl_b64 s[4:5], s[4:5], 2
	s_load_b32 s6, s[2:3], 0x0
	s_add_nc_u64 s[2:3], s[8:9], s[4:5]
	s_mov_b32 s4, exec_lo
	s_load_b32 s2, s[2:3], 0x0
	s_wait_kmcnt 0x0
	v_add_nc_u32_e32 v1, s6, v8
	s_sub_co_i32 s3, s2, s20
	s_delay_alu instid0(VALU_DEP_1) | instid1(SALU_CYCLE_1)
	v_cmpx_gt_i32_e64 s3, v1
	s_cbranch_execz .LBB46_37
; %bb.29:
	s_add_co_i32 s5, s19, -1
	s_mov_b32 s7, 0
	s_wait_alu 0xfffe
	s_cmp_lt_i32 s18, s5
	s_cselect_b32 s2, -1, 0
	s_add_co_i32 s6, s19, -2
	s_wait_alu 0xfffe
	s_cmp_lg_u32 s18, s6
	s_cselect_b32 s6, -1, 0
	s_wait_alu 0xfffe
	s_and_b32 s6, s2, s6
	s_branch .LBB46_31
.LBB46_30:                              ;   in Loop: Header=BB46_31 Depth=1
	s_wait_alu 0xfffe
	s_or_b32 exec_lo, exec_lo, s2
	v_add_nc_u32_e32 v1, 0x100, v1
	s_delay_alu instid0(VALU_DEP_1)
	v_cmp_le_i32_e32 vcc_lo, s3, v1
	s_or_b32 s7, vcc_lo, s7
	s_wait_alu 0xfffe
	s_and_not1_b32 exec_lo, exec_lo, s7
	s_cbranch_execz .LBB46_37
.LBB46_31:                              ; =>This Loop Header: Depth=1
                                        ;     Child Loop BB46_33 Depth 2
	v_mov_b32_e32 v5, s18
	v_mov_b32_e32 v3, s5
	s_wait_alu 0xfffe
	s_and_not1_b32 vcc_lo, exec_lo, s6
	s_wait_alu 0xfffe
	s_cbranch_vccnz .LBB46_35
; %bb.32:                               ;   in Loop: Header=BB46_31 Depth=1
	v_mov_b32_e32 v5, s18
	v_mov_b32_e32 v3, s5
	s_mov_b32 s22, 0
.LBB46_33:                              ;   Parent Loop BB46_31 Depth=1
                                        ; =>  This Inner Loop Header: Depth=2
	s_delay_alu instid0(VALU_DEP_1) | instskip(NEXT) | instid1(VALU_DEP_1)
	v_add_nc_u32_e32 v2, v3, v5
	v_lshrrev_b32_e32 v4, 31, v2
	s_delay_alu instid0(VALU_DEP_1) | instskip(NEXT) | instid1(VALU_DEP_1)
	v_add_nc_u32_e32 v2, v2, v4
	v_ashrrev_i32_e32 v9, 1, v2
	s_delay_alu instid0(VALU_DEP_1) | instskip(NEXT) | instid1(VALU_DEP_1)
	v_ashrrev_i32_e32 v10, 31, v9
	v_lshlrev_b64_e32 v[10:11], 2, v[9:10]
	s_delay_alu instid0(VALU_DEP_1) | instskip(SKIP_1) | instid1(VALU_DEP_2)
	v_add_co_u32 v10, vcc_lo, s8, v10
	s_wait_alu 0xfffd
	v_add_co_ci_u32_e64 v11, null, s9, v11, vcc_lo
	global_load_b32 v2, v[10:11], off
	s_wait_loadcnt 0x0
	v_subrev_nc_u32_e32 v2, s20, v2
	s_delay_alu instid0(VALU_DEP_1) | instskip(SKIP_2) | instid1(VALU_DEP_1)
	v_cmp_lt_i32_e32 vcc_lo, v1, v2
	s_wait_alu 0xfffd
	v_cndmask_b32_e32 v3, v3, v9, vcc_lo
	v_dual_cndmask_b32 v5, v9, v5 :: v_dual_add_nc_u32 v2, -1, v3
	s_delay_alu instid0(VALU_DEP_1) | instskip(NEXT) | instid1(VALU_DEP_2)
	v_cmp_ge_i32_e32 vcc_lo, v5, v3
	v_cmp_eq_u32_e64 s2, v5, v2
	s_or_b32 s2, vcc_lo, s2
	s_wait_alu 0xfffe
	s_and_b32 s2, exec_lo, s2
	s_wait_alu 0xfffe
	s_or_b32 s22, s2, s22
	s_wait_alu 0xfffe
	s_and_not1_b32 exec_lo, exec_lo, s22
	s_cbranch_execnz .LBB46_33
; %bb.34:                               ;   in Loop: Header=BB46_31 Depth=1
	s_or_b32 exec_lo, exec_lo, s22
.LBB46_35:                              ;   in Loop: Header=BB46_31 Depth=1
	v_ashrrev_i32_e32 v4, 31, v3
	v_ashrrev_i32_e32 v2, 31, v1
	s_mov_b32 s2, exec_lo
	s_delay_alu instid0(VALU_DEP_2) | instskip(NEXT) | instid1(VALU_DEP_2)
	v_lshlrev_b64_e32 v[9:10], 2, v[3:4]
	v_lshlrev_b64_e32 v[11:12], 2, v[1:2]
	s_delay_alu instid0(VALU_DEP_2) | instskip(SKIP_1) | instid1(VALU_DEP_3)
	v_add_co_u32 v9, vcc_lo, s8, v9
	s_wait_alu 0xfffd
	v_add_co_ci_u32_e64 v10, null, s9, v10, vcc_lo
	global_load_b32 v4, v[9:10], off
	v_add_co_u32 v9, vcc_lo, s10, v11
	s_wait_alu 0xfffd
	v_add_co_ci_u32_e64 v10, null, s11, v12, vcc_lo
	global_load_b32 v6, v[9:10], off
	s_wait_loadcnt 0x1
	v_subrev_nc_u32_e32 v4, s20, v4
	s_delay_alu instid0(VALU_DEP_1) | instskip(SKIP_4) | instid1(VALU_DEP_1)
	v_cmp_lt_i32_e32 vcc_lo, v1, v4
	s_wait_alu 0xfffd
	v_cndmask_b32_e32 v4, v3, v5, vcc_lo
	s_wait_loadcnt 0x0
	v_subrev_nc_u32_e32 v3, s20, v6
	v_cmpx_ne_u32_e64 v3, v4
	s_cbranch_execz .LBB46_30
; %bb.36:                               ;   in Loop: Header=BB46_31 Depth=1
	v_add_co_u32 v5, vcc_lo, s12, v1
	s_wait_alu 0xfffd
	v_add_co_ci_u32_e64 v6, null, s13, v2, vcc_lo
	v_ashrrev_i32_e32 v2, 31, v4
	v_add_co_u32 v4, vcc_lo, s14, v4
	global_load_i8 v6, v[5:6], off
	s_wait_alu 0xfffd
	v_add_co_ci_u32_e64 v5, null, s15, v2, vcc_lo
	global_load_i8 v5, v[4:5], off
	v_ashrrev_i32_e32 v4, 31, v3
	s_delay_alu instid0(VALU_DEP_1) | instskip(NEXT) | instid1(VALU_DEP_1)
	v_lshlrev_b64_e32 v[2:3], 2, v[3:4]
	v_add_co_u32 v2, vcc_lo, s16, v2
	s_wait_alu 0xfffd
	s_delay_alu instid0(VALU_DEP_2) | instskip(SKIP_3) | instid1(VALU_DEP_1)
	v_add_co_ci_u32_e64 v3, null, s17, v3, vcc_lo
	s_wait_loadcnt 0x1
	v_mul_lo_u32 v6, s26, v6
	s_wait_loadcnt 0x0
	v_mul_lo_u32 v4, v6, v5
	global_atomic_add_u32 v[2:3], v4, off scope:SCOPE_DEV
	s_branch .LBB46_30
.LBB46_37:
	s_or_b32 exec_lo, exec_lo, s4
	s_mov_b32 s2, 0
.LBB46_38:
	s_wait_alu 0xfffe
	s_and_b32 vcc_lo, exec_lo, s2
	s_wait_alu 0xfffe
	s_cbranch_vccz .LBB46_145
; %bb.39:
	s_ashr_i32 s3, s18, 31
	s_mov_b32 s2, s18
	s_cvt_f32_u32 s4, s21
	s_wait_alu 0xfffe
	s_lshl_b64 s[2:3], s[2:3], 2
	s_mov_b32 s5, 0
	s_wait_alu 0xfffe
	s_add_nc_u64 s[2:3], s[8:9], s[2:3]
	v_rcp_iflag_f32_e32 v1, s4
	s_load_b32 s24, s[2:3], 0x0
	s_clause 0x1
	s_load_b64 s[6:7], s[0:1], 0x4
	s_load_b32 s1, s[0:1], 0x64
	s_delay_alu instid0(TRANS32_DEP_1) | instskip(SKIP_1) | instid1(SALU_CYCLE_3)
	v_readfirstlane_b32 s0, v1
	s_mul_f32 s0, s0, 0x4f7ffffe
	s_cvt_u32_f32 s22, s0
	s_sub_co_i32 s0, 0, s21
	s_wait_kmcnt 0x0
	v_add_nc_u32_e32 v1, s24, v8
	s_wait_alu 0xfffe
	s_mul_i32 s0, s0, s22
	s_delay_alu instid0(VALU_DEP_1) | instskip(NEXT) | instid1(VALU_DEP_1)
	v_add_nc_u32_e32 v8, 0x300, v1
	v_cmp_le_i32_e32 vcc_lo, s6, v8
	s_mul_hi_u32 s6, s22, s0
	s_and_saveexec_b32 s0, vcc_lo
	s_delay_alu instid0(SALU_CYCLE_1)
	s_xor_b32 s4, exec_lo, s0
	s_cbranch_execz .LBB46_44
; %bb.40:
	s_ashr_i32 s29, s19, 31
	s_mov_b32 s28, s19
	s_mov_b32 s25, exec_lo
	s_lshl_b64 s[28:29], s[28:29], 2
	s_delay_alu instid0(SALU_CYCLE_1)
	s_add_nc_u64 s[28:29], s[8:9], s[28:29]
	s_load_b32 s0, s[28:29], 0x0
	s_wait_kmcnt 0x0
	s_sub_co_i32 s23, s0, s24
	s_wait_alu 0xfffe
	v_cmpx_gt_i32_e64 s23, v0
	s_cbranch_execz .LBB46_43
; %bb.41:
	v_dual_mov_b32 v2, v7 :: v_dual_mov_b32 v3, v0
	s_sub_co_i32 s27, s24, s20
	s_mov_b32 s28, 0
.LBB46_42:                              ; =>This Inner Loop Header: Depth=1
	s_wait_alu 0xfffe
	s_delay_alu instid0(VALU_DEP_1) | instskip(SKIP_1) | instid1(VALU_DEP_2)
	v_add_nc_u32_e32 v4, s27, v3
	v_add_nc_u32_e32 v3, 0x100, v3
	v_ashrrev_i32_e32 v5, 31, v4
	v_add_co_u32 v4, s0, s12, v4
	s_wait_alu 0xf1ff
	s_delay_alu instid0(VALU_DEP_2)
	v_add_co_ci_u32_e64 v5, null, s13, v5, s0
	v_cmp_le_i32_e64 s0, s23, v3
	global_load_i8 v4, v[4:5], off
	s_or_b32 s28, s0, s28
	s_wait_loadcnt 0x0
	v_mul_lo_u32 v4, s26, v4
	ds_store_b32 v2, v4
	v_add_nc_u32_e32 v2, 0x400, v2
	s_and_not1_b32 exec_lo, exec_lo, s28
	s_cbranch_execnz .LBB46_42
.LBB46_43:
	s_or_b32 exec_lo, exec_lo, s25
.LBB46_44:
	s_wait_alu 0xfffe
	s_or_saveexec_b32 s23, s4
	v_ashrrev_i32_e32 v2, 31, v1
	s_and_b32 s4, s1, 0xffff
	s_add_co_i32 s22, s22, s6
	s_wait_alu 0xfffe
	s_xor_b32 exec_lo, exec_lo, s23
	s_cbranch_execz .LBB46_46
; %bb.45:
	v_add_co_u32 v3, s0, s12, v1
	s_wait_alu 0xf1ff
	v_add_co_ci_u32_e64 v4, null, s13, v2, s0
	s_clause 0x3
	global_load_i8 v5, v[3:4], off
	global_load_i8 v6, v[3:4], off offset:256
	global_load_i8 v9, v[3:4], off offset:512
	;; [unrolled: 1-line block ×3, first 2 shown]
	s_wait_loadcnt 0x3
	v_mul_lo_u32 v4, s26, v5
	s_wait_loadcnt 0x2
	v_mul_lo_u32 v5, s26, v6
	;; [unrolled: 2-line block ×4, first 2 shown]
	ds_store_2addr_stride64_b32 v7, v4, v5 offset1:4
	ds_store_2addr_stride64_b32 v7, v6, v3 offset0:8 offset1:12
.LBB46_46:
	s_or_b32 exec_lo, exec_lo, s23
	v_lshl_add_u32 v6, v0, 2, 0x1000
	s_mov_b32 s23, s5
	s_mov_b32 s1, exec_lo
	v_cmpx_gt_i32_e64 s7, v0
	s_cbranch_execz .LBB46_49
; %bb.47:
	v_lshl_add_u32 v3, v0, 2, 0x1000
	v_dual_mov_b32 v4, 0 :: v_dual_mov_b32 v5, v0
	s_mov_b32 s6, 0
.LBB46_48:                              ; =>This Inner Loop Header: Depth=1
	s_delay_alu instid0(VALU_DEP_1)
	v_add_nc_u32_e32 v5, 0x100, v5
	ds_store_b32 v3, v4
	v_add_nc_u32_e32 v3, 0x400, v3
	v_cmp_le_i32_e64 s0, s7, v5
	s_wait_alu 0xfffe
	s_or_b32 s6, s0, s6
	s_wait_alu 0xfffe
	s_and_not1_b32 exec_lo, exec_lo, s6
	s_cbranch_execnz .LBB46_48
.LBB46_49:
	s_wait_alu 0xfffe
	s_or_b32 exec_lo, exec_lo, s1
	s_mul_u64 s[0:1], s[4:5], s[22:23]
	s_sub_co_i32 s0, s19, s7
	s_cmp_ge_i32 s19, s7
	s_wait_storecnt 0x0
	s_wait_loadcnt_dscnt 0x0
	s_wait_alu 0xfffe
	s_cselect_b32 s5, s0, 0
	s_barrier_signal -1
	s_barrier_wait -1
	global_inv scope:SCOPE_SE
	s_and_saveexec_b32 s0, vcc_lo
	s_wait_alu 0xfffe
	s_xor_b32 s6, exec_lo, s0
	s_cbranch_execz .LBB46_66
; %bb.50:
	s_ashr_i32 s13, s19, 31
	s_mov_b32 s12, s19
	s_wait_alu 0xfffe
	s_lshl_b64 s[12:13], s[12:13], 2
	s_wait_alu 0xfffe
	s_add_nc_u64 s[12:13], s[8:9], s[12:13]
	s_load_b32 s0, s[12:13], 0x0
	s_mov_b32 s13, exec_lo
	s_wait_kmcnt 0x0
	s_sub_co_i32 s12, s0, s24
	s_wait_alu 0xfffe
	v_cmpx_gt_i32_e64 s12, v0
	s_cbranch_execz .LBB46_65
; %bb.51:
	s_add_co_i32 s23, s19, -2
	s_add_co_i32 s22, s19, -1
	s_wait_alu 0xfffe
	s_cmp_lg_u32 s18, s23
	s_mov_b32 s26, 0
	s_cselect_b32 s23, -1, 0
	s_sub_co_i32 s25, s0, s20
	s_mov_b32 s27, 0
	s_branch .LBB46_54
.LBB46_52:                              ;   in Loop: Header=BB46_54 Depth=1
	s_wait_alu 0xfffe
	s_or_b32 exec_lo, exec_lo, s0
.LBB46_53:                              ;   in Loop: Header=BB46_54 Depth=1
	s_delay_alu instid0(SALU_CYCLE_1)
	s_or_b32 exec_lo, exec_lo, s28
	v_ashrrev_i32_e32 v4, 31, v3
	v_add_co_u32 v3, vcc_lo, s14, v3
	s_addk_co_i32 s27, 0x100
	s_wait_alu 0xfffd
	v_add_co_ci_u32_e64 v4, null, s15, v4, vcc_lo
	global_load_i8 v3, v[3:4], off
	s_wait_alu 0xfffe
	v_add_nc_u32_e32 v4, s27, v0
	s_delay_alu instid0(VALU_DEP_1)
	v_cmp_le_i32_e32 vcc_lo, s12, v4
	s_or_b32 s26, vcc_lo, s26
	s_wait_loadcnt_dscnt 0x0
	v_mul_lo_u32 v3, v5, v3
	ds_store_b32 v2, v3
	s_wait_alu 0xfffe
	s_and_not1_b32 exec_lo, exec_lo, s26
	s_cbranch_execz .LBB46_65
.LBB46_54:                              ; =>This Loop Header: Depth=1
                                        ;     Child Loop BB46_56 Depth 2
	s_wait_alu 0xfffe
	v_add_nc_u32_e32 v2, s27, v1
	v_mov_b32_e32 v8, s18
	v_mov_b32_e32 v4, s22
	s_and_not1_b32 vcc_lo, exec_lo, s23
	s_wait_alu 0xfffe
	s_cbranch_vccnz .LBB46_58
; %bb.55:                               ;   in Loop: Header=BB46_54 Depth=1
	v_mov_b32_e32 v8, s18
	v_mov_b32_e32 v4, s22
	s_mov_b32 s28, 0
.LBB46_56:                              ;   Parent Loop BB46_54 Depth=1
                                        ; =>  This Inner Loop Header: Depth=2
	s_delay_alu instid0(VALU_DEP_1) | instskip(NEXT) | instid1(VALU_DEP_1)
	v_add_nc_u32_e32 v3, v4, v8
	v_lshrrev_b32_e32 v5, 31, v3
	s_delay_alu instid0(VALU_DEP_1) | instskip(NEXT) | instid1(VALU_DEP_1)
	v_add_nc_u32_e32 v3, v3, v5
	v_ashrrev_i32_e32 v9, 1, v3
	s_delay_alu instid0(VALU_DEP_1) | instskip(NEXT) | instid1(VALU_DEP_1)
	v_ashrrev_i32_e32 v10, 31, v9
	v_lshlrev_b64_e32 v[10:11], 2, v[9:10]
	s_delay_alu instid0(VALU_DEP_1) | instskip(SKIP_1) | instid1(VALU_DEP_2)
	v_add_co_u32 v10, vcc_lo, s8, v10
	s_wait_alu 0xfffd
	v_add_co_ci_u32_e64 v11, null, s9, v11, vcc_lo
	global_load_b32 v3, v[10:11], off
	s_wait_loadcnt 0x0
	v_subrev_nc_u32_e32 v3, s20, v3
	s_delay_alu instid0(VALU_DEP_1) | instskip(SKIP_3) | instid1(VALU_DEP_2)
	v_cmp_lt_i32_e32 vcc_lo, v2, v3
	s_wait_alu 0xfffd
	v_cndmask_b32_e32 v4, v4, v9, vcc_lo
	v_cndmask_b32_e32 v8, v9, v8, vcc_lo
	v_add_nc_u32_e32 v3, -1, v4
	s_delay_alu instid0(VALU_DEP_2) | instskip(NEXT) | instid1(VALU_DEP_2)
	v_cmp_ge_i32_e32 vcc_lo, v8, v4
	v_cmp_eq_u32_e64 s0, v8, v3
	s_or_b32 s0, vcc_lo, s0
	s_wait_alu 0xfffe
	s_and_b32 s0, exec_lo, s0
	s_wait_alu 0xfffe
	s_or_b32 s28, s0, s28
	s_delay_alu instid0(SALU_CYCLE_1)
	s_and_not1_b32 exec_lo, exec_lo, s28
	s_cbranch_execnz .LBB46_56
; %bb.57:                               ;   in Loop: Header=BB46_54 Depth=1
	s_or_b32 exec_lo, exec_lo, s28
.LBB46_58:                              ;   in Loop: Header=BB46_54 Depth=1
	s_delay_alu instid0(VALU_DEP_1) | instskip(SKIP_2) | instid1(VALU_DEP_3)
	v_ashrrev_i32_e32 v5, 31, v4
	v_ashrrev_i32_e32 v3, 31, v2
	v_cmp_le_i32_e64 s0, s25, v2
	v_lshlrev_b64_e32 v[9:10], 2, v[4:5]
	s_delay_alu instid0(VALU_DEP_3) | instskip(NEXT) | instid1(VALU_DEP_2)
	v_lshlrev_b64_e32 v[11:12], 2, v[2:3]
	v_add_co_u32 v9, vcc_lo, s8, v9
	s_wait_alu 0xfffd
	s_delay_alu instid0(VALU_DEP_3) | instskip(NEXT) | instid1(VALU_DEP_3)
	v_add_co_ci_u32_e64 v10, null, s9, v10, vcc_lo
	v_add_co_u32 v11, vcc_lo, s10, v11
	s_wait_alu 0xfffd
	v_add_co_ci_u32_e64 v12, null, s11, v12, vcc_lo
	global_load_b32 v3, v[9:10], off
	global_load_b32 v5, v[11:12], off
	s_wait_loadcnt 0x1
	v_subrev_nc_u32_e32 v9, s20, v3
	s_wait_loadcnt 0x0
	v_subrev_nc_u32_e32 v3, s20, v5
                                        ; implicit-def: $vgpr5
	s_delay_alu instid0(VALU_DEP_2) | instskip(SKIP_3) | instid1(VALU_DEP_1)
	v_cmp_lt_i32_e32 vcc_lo, v2, v9
	v_lshl_add_u32 v2, s27, 2, v7
	s_wait_alu 0xfffd
	v_cndmask_b32_e32 v4, v4, v8, vcc_lo
	v_cmp_eq_u32_e32 vcc_lo, v3, v4
	s_or_b32 s0, vcc_lo, s0
	s_wait_alu 0xfffe
	s_and_saveexec_b32 s28, s0
	s_delay_alu instid0(SALU_CYCLE_1)
	s_xor_b32 s0, exec_lo, s28
; %bb.59:                               ;   in Loop: Header=BB46_54 Depth=1
	ds_load_b32 v5, v2
                                        ; implicit-def: $vgpr4
; %bb.60:                               ;   in Loop: Header=BB46_54 Depth=1
	s_wait_alu 0xfffe
	s_and_not1_saveexec_b32 s28, s0
	s_cbranch_execz .LBB46_53
; %bb.61:                               ;   in Loop: Header=BB46_54 Depth=1
	s_wait_dscnt 0x0
	v_ashrrev_i32_e32 v5, 31, v4
	v_add_co_u32 v4, vcc_lo, s14, v4
	v_cmp_le_i32_e64 s0, s19, v3
	s_wait_alu 0xfffd
	s_delay_alu instid0(VALU_DEP_3)
	v_add_co_ci_u32_e64 v5, null, s15, v5, vcc_lo
	v_cmp_gt_i32_e32 vcc_lo, s5, v3
	global_load_i8 v4, v[4:5], off
	ds_load_b32 v5, v2
	s_or_b32 s0, vcc_lo, s0
	s_wait_loadcnt_dscnt 0x0
	v_mul_lo_u32 v8, v5, v4
	s_wait_alu 0xfffe
	s_and_saveexec_b32 s29, s0
	s_delay_alu instid0(SALU_CYCLE_1)
	s_xor_b32 s0, exec_lo, s29
	s_cbranch_execz .LBB46_63
; %bb.62:                               ;   in Loop: Header=BB46_54 Depth=1
	v_ashrrev_i32_e32 v4, 31, v3
	s_delay_alu instid0(VALU_DEP_1) | instskip(NEXT) | instid1(VALU_DEP_1)
	v_lshlrev_b64_e32 v[9:10], 2, v[3:4]
	v_add_co_u32 v9, vcc_lo, s16, v9
	s_wait_alu 0xfffd
	s_delay_alu instid0(VALU_DEP_2)
	v_add_co_ci_u32_e64 v10, null, s17, v10, vcc_lo
	global_atomic_add_u32 v[9:10], v8, off scope:SCOPE_DEV
                                        ; implicit-def: $vgpr8
.LBB46_63:                              ;   in Loop: Header=BB46_54 Depth=1
	s_wait_alu 0xfffe
	s_and_not1_saveexec_b32 s0, s0
	s_cbranch_execz .LBB46_52
; %bb.64:                               ;   in Loop: Header=BB46_54 Depth=1
	v_subrev_nc_u32_e32 v4, s5, v3
	s_delay_alu instid0(VALU_DEP_1)
	v_lshl_add_u32 v4, v4, 2, 0x1000
	ds_add_u32 v4, v8
	s_branch .LBB46_52
.LBB46_65:
	s_or_b32 exec_lo, exec_lo, s13
                                        ; implicit-def: $vgpr8
                                        ; implicit-def: $vgpr1
.LBB46_66:
	s_wait_alu 0xfffe
	s_and_not1_saveexec_b32 s6, s6
	s_cbranch_execz .LBB46_120
; %bb.67:
	s_add_co_i32 s12, s19, -1
	s_add_co_i32 s0, s19, -2
	s_wait_alu 0xfffe
	v_dual_mov_b32 v9, s18 :: v_dual_mov_b32 v4, s12
	s_cmp_lg_u32 s18, s0
	s_cselect_b32 s13, -1, 0
	s_cmp_eq_u32 s18, s0
	s_cbranch_scc1 .LBB46_71
; %bb.68:
	v_dual_mov_b32 v9, s18 :: v_dual_mov_b32 v4, s12
	s_mov_b32 s22, 0
.LBB46_69:                              ; =>This Inner Loop Header: Depth=1
	s_delay_alu instid0(VALU_DEP_1) | instskip(NEXT) | instid1(VALU_DEP_1)
	v_add_nc_u32_e32 v3, v4, v9
	v_lshrrev_b32_e32 v5, 31, v3
	s_delay_alu instid0(VALU_DEP_1) | instskip(NEXT) | instid1(VALU_DEP_1)
	v_add_nc_u32_e32 v3, v3, v5
	v_ashrrev_i32_e32 v10, 1, v3
	s_delay_alu instid0(VALU_DEP_1) | instskip(NEXT) | instid1(VALU_DEP_1)
	v_ashrrev_i32_e32 v11, 31, v10
	v_lshlrev_b64_e32 v[11:12], 2, v[10:11]
	s_delay_alu instid0(VALU_DEP_1) | instskip(SKIP_1) | instid1(VALU_DEP_2)
	v_add_co_u32 v11, vcc_lo, s8, v11
	s_wait_alu 0xfffd
	v_add_co_ci_u32_e64 v12, null, s9, v12, vcc_lo
	global_load_b32 v3, v[11:12], off
	s_wait_loadcnt 0x0
	v_subrev_nc_u32_e32 v3, s20, v3
	s_delay_alu instid0(VALU_DEP_1) | instskip(SKIP_2) | instid1(VALU_DEP_1)
	v_cmp_lt_i32_e32 vcc_lo, v1, v3
	s_wait_alu 0xfffd
	v_dual_cndmask_b32 v4, v4, v10 :: v_dual_cndmask_b32 v9, v10, v9
	v_add_nc_u32_e32 v3, -1, v4
	s_delay_alu instid0(VALU_DEP_2) | instskip(NEXT) | instid1(VALU_DEP_2)
	v_cmp_ge_i32_e32 vcc_lo, v9, v4
	v_cmp_eq_u32_e64 s0, v9, v3
	s_or_b32 s0, vcc_lo, s0
	s_wait_alu 0xfffe
	s_and_b32 s0, exec_lo, s0
	s_wait_alu 0xfffe
	s_or_b32 s22, s0, s22
	s_wait_alu 0xfffe
	s_and_not1_b32 exec_lo, exec_lo, s22
	s_cbranch_execnz .LBB46_69
; %bb.70:
	s_or_b32 exec_lo, exec_lo, s22
.LBB46_71:
	v_ashrrev_i32_e32 v5, 31, v4
	v_lshlrev_b64_e32 v[2:3], 2, v[1:2]
	s_mov_b32 s0, exec_lo
	s_delay_alu instid0(VALU_DEP_2) | instskip(NEXT) | instid1(VALU_DEP_1)
	v_lshlrev_b64_e32 v[10:11], 2, v[4:5]
	v_add_co_u32 v10, vcc_lo, s8, v10
	s_wait_alu 0xfffd
	s_delay_alu instid0(VALU_DEP_2)
	v_add_co_ci_u32_e64 v11, null, s9, v11, vcc_lo
	v_add_co_u32 v2, vcc_lo, s10, v2
	s_wait_alu 0xfffd
	v_add_co_ci_u32_e64 v3, null, s11, v3, vcc_lo
	global_load_b32 v5, v[10:11], off
	s_ashr_i32 s11, s19, 31
	s_mov_b32 s10, s19
	global_load_b32 v10, v[2:3], off
	s_wait_alu 0xfffe
	s_lshl_b64 s[10:11], s[10:11], 2
	s_wait_alu 0xfffe
	s_add_nc_u64 s[10:11], s[8:9], s[10:11]
	s_wait_loadcnt 0x1
	v_subrev_nc_u32_e32 v5, s20, v5
	s_delay_alu instid0(VALU_DEP_1) | instskip(SKIP_4) | instid1(VALU_DEP_1)
	v_cmp_lt_i32_e32 vcc_lo, v1, v5
	s_wait_alu 0xfffd
	v_cndmask_b32_e32 v5, v4, v9, vcc_lo
	s_wait_loadcnt 0x0
	v_subrev_nc_u32_e32 v4, s20, v10
                                        ; implicit-def: $vgpr10
	v_cmpx_ne_u32_e64 v4, v5
	s_xor_b32 s22, exec_lo, s0
	s_cbranch_execz .LBB46_78
; %bb.72:
	s_load_b32 s0, s[10:11], 0x0
	ds_load_b32 v10, v7
	s_mov_b32 s23, exec_lo
	s_wait_kmcnt 0x0
	s_sub_co_i32 s0, s0, s20
	s_wait_alu 0xfffe
	v_cmpx_gt_i32_e64 s0, v1
	s_cbranch_execz .LBB46_77
; %bb.73:
	v_ashrrev_i32_e32 v9, 31, v5
	v_add_co_u32 v11, vcc_lo, s14, v5
	v_cmp_le_i32_e64 s0, s19, v4
	s_wait_alu 0xfffd
	s_delay_alu instid0(VALU_DEP_3)
	v_add_co_ci_u32_e64 v12, null, s15, v9, vcc_lo
	v_cmp_gt_i32_e32 vcc_lo, s5, v4
	global_load_i8 v5, v[11:12], off
	s_or_b32 s0, vcc_lo, s0
	s_wait_loadcnt_dscnt 0x0
	v_mul_lo_u32 v9, v10, v5
	s_wait_alu 0xfffe
	s_and_saveexec_b32 s25, s0
	s_wait_alu 0xfffe
	s_xor_b32 s0, exec_lo, s25
	s_cbranch_execz .LBB46_75
; %bb.74:
	v_ashrrev_i32_e32 v5, 31, v4
	s_delay_alu instid0(VALU_DEP_1) | instskip(NEXT) | instid1(VALU_DEP_1)
	v_lshlrev_b64_e32 v[11:12], 2, v[4:5]
	v_add_co_u32 v11, vcc_lo, s16, v11
	s_wait_alu 0xfffd
	s_delay_alu instid0(VALU_DEP_2)
	v_add_co_ci_u32_e64 v12, null, s17, v12, vcc_lo
	global_atomic_add_u32 v[11:12], v9, off scope:SCOPE_DEV
                                        ; implicit-def: $vgpr9
.LBB46_75:
	s_wait_alu 0xfffe
	s_and_not1_saveexec_b32 s0, s0
; %bb.76:
	v_subrev_nc_u32_e32 v5, s5, v4
	s_delay_alu instid0(VALU_DEP_1)
	v_lshl_add_u32 v5, v5, 2, 0x1000
	ds_add_u32 v5, v9
.LBB46_77:
	s_or_b32 exec_lo, exec_lo, s23
.LBB46_78:
	s_wait_alu 0xfffe
	s_and_not1_saveexec_b32 s0, s22
	s_cbranch_execz .LBB46_80
; %bb.79:
	s_wait_dscnt 0x0
	ds_load_b32 v10, v7
.LBB46_80:
	s_wait_alu 0xfffe
	s_or_b32 exec_lo, exec_lo, s0
	v_ashrrev_i32_e32 v5, 31, v4
	v_add_co_u32 v4, vcc_lo, s14, v4
	v_cndmask_b32_e64 v9, 0, 1, s13
	v_mov_b32_e32 v11, s18
	s_wait_alu 0xfffd
	v_add_co_ci_u32_e64 v5, null, s15, v5, vcc_lo
	s_and_not1_b32 vcc_lo, exec_lo, s13
	global_load_i8 v4, v[4:5], off
	s_wait_loadcnt_dscnt 0x0
	v_mul_lo_u32 v5, v10, v4
	v_add_nc_u32_e32 v10, 0x100, v1
	v_mov_b32_e32 v4, s12
	ds_store_b32 v7, v5
	s_wait_alu 0xfffe
	s_cbranch_vccnz .LBB46_84
; %bb.81:
	v_dual_mov_b32 v11, s18 :: v_dual_mov_b32 v4, s12
	s_mov_b32 s13, 0
.LBB46_82:                              ; =>This Inner Loop Header: Depth=1
	s_delay_alu instid0(VALU_DEP_1) | instskip(NEXT) | instid1(VALU_DEP_1)
	v_add_nc_u32_e32 v5, v4, v11
	v_lshrrev_b32_e32 v12, 31, v5
	s_delay_alu instid0(VALU_DEP_1) | instskip(NEXT) | instid1(VALU_DEP_1)
	v_add_nc_u32_e32 v5, v5, v12
	v_ashrrev_i32_e32 v12, 1, v5
	s_delay_alu instid0(VALU_DEP_1) | instskip(NEXT) | instid1(VALU_DEP_1)
	v_ashrrev_i32_e32 v13, 31, v12
	v_lshlrev_b64_e32 v[13:14], 2, v[12:13]
	s_delay_alu instid0(VALU_DEP_1) | instskip(SKIP_1) | instid1(VALU_DEP_2)
	v_add_co_u32 v13, vcc_lo, s8, v13
	s_wait_alu 0xfffd
	v_add_co_ci_u32_e64 v14, null, s9, v14, vcc_lo
	global_load_b32 v5, v[13:14], off
	s_wait_loadcnt 0x0
	v_subrev_nc_u32_e32 v5, s20, v5
	s_delay_alu instid0(VALU_DEP_1) | instskip(SKIP_3) | instid1(VALU_DEP_2)
	v_cmp_lt_i32_e32 vcc_lo, v10, v5
	s_wait_alu 0xfffd
	v_cndmask_b32_e32 v4, v4, v12, vcc_lo
	v_cndmask_b32_e32 v11, v12, v11, vcc_lo
	v_add_nc_u32_e32 v5, -1, v4
	s_delay_alu instid0(VALU_DEP_2) | instskip(NEXT) | instid1(VALU_DEP_2)
	v_cmp_ge_i32_e32 vcc_lo, v11, v4
	v_cmp_eq_u32_e64 s0, v11, v5
	s_or_b32 s0, vcc_lo, s0
	s_wait_alu 0xfffe
	s_and_b32 s0, exec_lo, s0
	s_wait_alu 0xfffe
	s_or_b32 s13, s0, s13
	s_wait_alu 0xfffe
	s_and_not1_b32 exec_lo, exec_lo, s13
	s_cbranch_execnz .LBB46_82
; %bb.83:
	s_or_b32 exec_lo, exec_lo, s13
.LBB46_84:
	v_ashrrev_i32_e32 v5, 31, v4
	s_mov_b32 s0, exec_lo
	s_delay_alu instid0(VALU_DEP_1) | instskip(NEXT) | instid1(VALU_DEP_1)
	v_lshlrev_b64_e32 v[12:13], 2, v[4:5]
	v_add_co_u32 v12, vcc_lo, s8, v12
	s_wait_alu 0xfffd
	s_delay_alu instid0(VALU_DEP_2) | instskip(SKIP_4) | instid1(VALU_DEP_1)
	v_add_co_ci_u32_e64 v13, null, s9, v13, vcc_lo
	global_load_b32 v5, v[12:13], off
	global_load_b32 v12, v[2:3], off offset:1024
	s_wait_loadcnt 0x1
	v_subrev_nc_u32_e32 v5, s20, v5
	v_cmp_lt_i32_e32 vcc_lo, v10, v5
	s_wait_alu 0xfffd
	v_cndmask_b32_e32 v5, v4, v11, vcc_lo
	s_wait_loadcnt 0x0
	v_subrev_nc_u32_e32 v4, s20, v12
                                        ; implicit-def: $vgpr11
	s_delay_alu instid0(VALU_DEP_1)
	v_cmpx_ne_u32_e64 v4, v5
	s_wait_alu 0xfffe
	s_xor_b32 s13, exec_lo, s0
	s_cbranch_execz .LBB46_91
; %bb.85:
	s_load_b32 s0, s[10:11], 0x0
	ds_load_b32 v11, v7 offset:1024
	s_mov_b32 s22, exec_lo
	s_wait_kmcnt 0x0
	s_sub_co_i32 s0, s0, s20
	s_wait_alu 0xfffe
	v_cmpx_gt_i32_e64 s0, v10
	s_cbranch_execz .LBB46_90
; %bb.86:
	v_ashrrev_i32_e32 v10, 31, v5
	v_add_co_u32 v12, vcc_lo, s14, v5
	v_cmp_le_i32_e64 s0, s19, v4
	s_wait_alu 0xfffd
	s_delay_alu instid0(VALU_DEP_3)
	v_add_co_ci_u32_e64 v13, null, s15, v10, vcc_lo
	v_cmp_gt_i32_e32 vcc_lo, s5, v4
	global_load_i8 v5, v[12:13], off
	s_or_b32 s0, vcc_lo, s0
	s_wait_loadcnt_dscnt 0x0
	v_mul_lo_u32 v10, v11, v5
	s_wait_alu 0xfffe
	s_and_saveexec_b32 s23, s0
	s_wait_alu 0xfffe
	s_xor_b32 s0, exec_lo, s23
	s_cbranch_execz .LBB46_88
; %bb.87:
	v_ashrrev_i32_e32 v5, 31, v4
	s_delay_alu instid0(VALU_DEP_1) | instskip(NEXT) | instid1(VALU_DEP_1)
	v_lshlrev_b64_e32 v[12:13], 2, v[4:5]
	v_add_co_u32 v12, vcc_lo, s16, v12
	s_wait_alu 0xfffd
	s_delay_alu instid0(VALU_DEP_2)
	v_add_co_ci_u32_e64 v13, null, s17, v13, vcc_lo
	global_atomic_add_u32 v[12:13], v10, off scope:SCOPE_DEV
                                        ; implicit-def: $vgpr10
.LBB46_88:
	s_wait_alu 0xfffe
	s_and_not1_saveexec_b32 s0, s0
; %bb.89:
	v_subrev_nc_u32_e32 v5, s5, v4
	s_delay_alu instid0(VALU_DEP_1)
	v_lshl_add_u32 v5, v5, 2, 0x1000
	ds_add_u32 v5, v10
.LBB46_90:
	s_or_b32 exec_lo, exec_lo, s22
.LBB46_91:
	s_wait_alu 0xfffe
	s_and_not1_saveexec_b32 s0, s13
	s_cbranch_execz .LBB46_93
; %bb.92:
	s_wait_dscnt 0x0
	ds_load_b32 v11, v7 offset:1024
.LBB46_93:
	s_wait_alu 0xfffe
	s_or_b32 exec_lo, exec_lo, s0
	v_ashrrev_i32_e32 v5, 31, v4
	v_add_co_u32 v4, vcc_lo, s14, v4
	v_dual_mov_b32 v10, s18 :: v_dual_add_nc_u32 v1, 0x200, v1
	s_wait_alu 0xfffd
	s_delay_alu instid0(VALU_DEP_3)
	v_add_co_ci_u32_e64 v5, null, s15, v5, vcc_lo
	v_cmp_ne_u32_e32 vcc_lo, 1, v9
	global_load_i8 v4, v[4:5], off
	s_and_b32 vcc_lo, exec_lo, vcc_lo
	s_wait_loadcnt_dscnt 0x0
	v_mul_lo_u32 v5, v11, v4
	v_mov_b32_e32 v4, s12
	ds_store_b32 v7, v5 offset:1024
	s_wait_alu 0xfffe
	s_cbranch_vccnz .LBB46_97
; %bb.94:
	v_mov_b32_e32 v10, s18
	v_mov_b32_e32 v4, s12
	s_mov_b32 s13, 0
.LBB46_95:                              ; =>This Inner Loop Header: Depth=1
	s_delay_alu instid0(VALU_DEP_1) | instskip(NEXT) | instid1(VALU_DEP_1)
	v_add_nc_u32_e32 v5, v4, v10
	v_lshrrev_b32_e32 v11, 31, v5
	s_delay_alu instid0(VALU_DEP_1) | instskip(NEXT) | instid1(VALU_DEP_1)
	v_add_nc_u32_e32 v5, v5, v11
	v_ashrrev_i32_e32 v11, 1, v5
	s_delay_alu instid0(VALU_DEP_1) | instskip(NEXT) | instid1(VALU_DEP_1)
	v_ashrrev_i32_e32 v12, 31, v11
	v_lshlrev_b64_e32 v[12:13], 2, v[11:12]
	s_delay_alu instid0(VALU_DEP_1) | instskip(SKIP_1) | instid1(VALU_DEP_2)
	v_add_co_u32 v12, vcc_lo, s8, v12
	s_wait_alu 0xfffd
	v_add_co_ci_u32_e64 v13, null, s9, v13, vcc_lo
	global_load_b32 v5, v[12:13], off
	s_wait_loadcnt 0x0
	v_subrev_nc_u32_e32 v5, s20, v5
	s_delay_alu instid0(VALU_DEP_1) | instskip(SKIP_2) | instid1(VALU_DEP_1)
	v_cmp_lt_i32_e32 vcc_lo, v1, v5
	s_wait_alu 0xfffd
	v_cndmask_b32_e32 v4, v4, v11, vcc_lo
	v_dual_cndmask_b32 v10, v11, v10 :: v_dual_add_nc_u32 v5, -1, v4
	s_delay_alu instid0(VALU_DEP_1) | instskip(NEXT) | instid1(VALU_DEP_2)
	v_cmp_ge_i32_e32 vcc_lo, v10, v4
	v_cmp_eq_u32_e64 s0, v10, v5
	s_or_b32 s0, vcc_lo, s0
	s_wait_alu 0xfffe
	s_and_b32 s0, exec_lo, s0
	s_wait_alu 0xfffe
	s_or_b32 s13, s0, s13
	s_wait_alu 0xfffe
	s_and_not1_b32 exec_lo, exec_lo, s13
	s_cbranch_execnz .LBB46_95
; %bb.96:
	s_or_b32 exec_lo, exec_lo, s13
.LBB46_97:
	v_ashrrev_i32_e32 v5, 31, v4
	s_mov_b32 s0, exec_lo
	s_delay_alu instid0(VALU_DEP_1) | instskip(NEXT) | instid1(VALU_DEP_1)
	v_lshlrev_b64_e32 v[11:12], 2, v[4:5]
	v_add_co_u32 v11, vcc_lo, s8, v11
	s_wait_alu 0xfffd
	s_delay_alu instid0(VALU_DEP_2) | instskip(SKIP_4) | instid1(VALU_DEP_1)
	v_add_co_ci_u32_e64 v12, null, s9, v12, vcc_lo
	global_load_b32 v5, v[11:12], off
	global_load_b32 v11, v[2:3], off offset:2048
	s_wait_loadcnt 0x1
	v_subrev_nc_u32_e32 v5, s20, v5
	v_cmp_lt_i32_e32 vcc_lo, v1, v5
	s_wait_alu 0xfffd
	v_cndmask_b32_e32 v5, v4, v10, vcc_lo
	s_wait_loadcnt 0x0
	v_subrev_nc_u32_e32 v4, s20, v11
                                        ; implicit-def: $vgpr10
	s_delay_alu instid0(VALU_DEP_1)
	v_cmpx_ne_u32_e64 v4, v5
	s_wait_alu 0xfffe
	s_xor_b32 s13, exec_lo, s0
	s_cbranch_execz .LBB46_104
; %bb.98:
	s_load_b32 s0, s[10:11], 0x0
	ds_load_b32 v10, v7 offset:2048
	s_mov_b32 s22, exec_lo
	s_wait_kmcnt 0x0
	s_sub_co_i32 s0, s0, s20
	s_wait_alu 0xfffe
	v_cmpx_gt_i32_e64 s0, v1
	s_cbranch_execz .LBB46_103
; %bb.99:
	v_ashrrev_i32_e32 v1, 31, v5
	v_add_co_u32 v11, vcc_lo, s14, v5
	v_cmp_le_i32_e64 s0, s19, v4
	s_wait_alu 0xfffd
	s_delay_alu instid0(VALU_DEP_3)
	v_add_co_ci_u32_e64 v12, null, s15, v1, vcc_lo
	v_cmp_gt_i32_e32 vcc_lo, s5, v4
	global_load_i8 v1, v[11:12], off
	s_or_b32 s0, vcc_lo, s0
	s_wait_loadcnt_dscnt 0x0
	v_mul_lo_u32 v1, v10, v1
	s_wait_alu 0xfffe
	s_and_saveexec_b32 s23, s0
	s_wait_alu 0xfffe
	s_xor_b32 s0, exec_lo, s23
	s_cbranch_execz .LBB46_101
; %bb.100:
	v_ashrrev_i32_e32 v5, 31, v4
	s_delay_alu instid0(VALU_DEP_1) | instskip(NEXT) | instid1(VALU_DEP_1)
	v_lshlrev_b64_e32 v[11:12], 2, v[4:5]
	v_add_co_u32 v11, vcc_lo, s16, v11
	s_wait_alu 0xfffd
	s_delay_alu instid0(VALU_DEP_2)
	v_add_co_ci_u32_e64 v12, null, s17, v12, vcc_lo
	global_atomic_add_u32 v[11:12], v1, off scope:SCOPE_DEV
                                        ; implicit-def: $vgpr1
.LBB46_101:
	s_wait_alu 0xfffe
	s_and_not1_saveexec_b32 s0, s0
; %bb.102:
	v_subrev_nc_u32_e32 v5, s5, v4
	s_delay_alu instid0(VALU_DEP_1)
	v_lshl_add_u32 v5, v5, 2, 0x1000
	ds_add_u32 v5, v1
.LBB46_103:
	s_or_b32 exec_lo, exec_lo, s22
.LBB46_104:
	s_wait_alu 0xfffe
	s_and_not1_saveexec_b32 s0, s13
	s_cbranch_execz .LBB46_106
; %bb.105:
	s_wait_dscnt 0x0
	ds_load_b32 v10, v7 offset:2048
.LBB46_106:
	s_wait_alu 0xfffe
	s_or_b32 exec_lo, exec_lo, s0
	v_ashrrev_i32_e32 v1, 31, v4
	v_add_co_u32 v4, vcc_lo, s14, v4
	s_wait_alu 0xfffd
	s_delay_alu instid0(VALU_DEP_2)
	v_add_co_ci_u32_e64 v5, null, s15, v1, vcc_lo
	v_cmp_ne_u32_e32 vcc_lo, 1, v9
	global_load_i8 v1, v[4:5], off
	v_mov_b32_e32 v4, s12
	s_and_b32 vcc_lo, exec_lo, vcc_lo
	s_wait_loadcnt_dscnt 0x0
	v_mul_lo_u32 v5, v10, v1
	v_mov_b32_e32 v1, s18
	ds_store_b32 v7, v5 offset:2048
	s_wait_alu 0xfffe
	s_cbranch_vccnz .LBB46_110
; %bb.107:
	v_dual_mov_b32 v1, s18 :: v_dual_mov_b32 v4, s12
	s_mov_b32 s12, 0
.LBB46_108:                             ; =>This Inner Loop Header: Depth=1
	s_delay_alu instid0(VALU_DEP_1) | instskip(NEXT) | instid1(VALU_DEP_1)
	v_add_nc_u32_e32 v5, v4, v1
	v_lshrrev_b32_e32 v9, 31, v5
	s_delay_alu instid0(VALU_DEP_1) | instskip(NEXT) | instid1(VALU_DEP_1)
	v_add_nc_u32_e32 v5, v5, v9
	v_ashrrev_i32_e32 v9, 1, v5
	s_delay_alu instid0(VALU_DEP_1) | instskip(NEXT) | instid1(VALU_DEP_1)
	v_ashrrev_i32_e32 v10, 31, v9
	v_lshlrev_b64_e32 v[10:11], 2, v[9:10]
	s_delay_alu instid0(VALU_DEP_1) | instskip(SKIP_1) | instid1(VALU_DEP_2)
	v_add_co_u32 v10, vcc_lo, s8, v10
	s_wait_alu 0xfffd
	v_add_co_ci_u32_e64 v11, null, s9, v11, vcc_lo
	global_load_b32 v5, v[10:11], off
	s_wait_loadcnt 0x0
	v_subrev_nc_u32_e32 v5, s20, v5
	s_delay_alu instid0(VALU_DEP_1) | instskip(SKIP_3) | instid1(VALU_DEP_2)
	v_cmp_lt_i32_e32 vcc_lo, v8, v5
	s_wait_alu 0xfffd
	v_cndmask_b32_e32 v4, v4, v9, vcc_lo
	v_cndmask_b32_e32 v1, v9, v1, vcc_lo
	v_add_nc_u32_e32 v5, -1, v4
	s_delay_alu instid0(VALU_DEP_2) | instskip(NEXT) | instid1(VALU_DEP_2)
	v_cmp_ge_i32_e32 vcc_lo, v1, v4
	v_cmp_eq_u32_e64 s0, v1, v5
	s_or_b32 s0, vcc_lo, s0
	s_wait_alu 0xfffe
	s_and_b32 s0, exec_lo, s0
	s_wait_alu 0xfffe
	s_or_b32 s12, s0, s12
	s_wait_alu 0xfffe
	s_and_not1_b32 exec_lo, exec_lo, s12
	s_cbranch_execnz .LBB46_108
; %bb.109:
	s_or_b32 exec_lo, exec_lo, s12
.LBB46_110:
	v_ashrrev_i32_e32 v5, 31, v4
	s_mov_b32 s0, exec_lo
	s_delay_alu instid0(VALU_DEP_1) | instskip(NEXT) | instid1(VALU_DEP_1)
	v_lshlrev_b64_e32 v[9:10], 2, v[4:5]
	v_add_co_u32 v9, vcc_lo, s8, v9
	s_wait_alu 0xfffd
	s_delay_alu instid0(VALU_DEP_2) | instskip(SKIP_4) | instid1(VALU_DEP_1)
	v_add_co_ci_u32_e64 v10, null, s9, v10, vcc_lo
	global_load_b32 v5, v[9:10], off
	global_load_b32 v3, v[2:3], off offset:3072
	s_wait_loadcnt 0x1
	v_subrev_nc_u32_e32 v2, s20, v5
	v_cmp_lt_i32_e32 vcc_lo, v8, v2
	s_wait_alu 0xfffd
	v_cndmask_b32_e32 v2, v4, v1, vcc_lo
	s_wait_loadcnt 0x0
	v_subrev_nc_u32_e32 v1, s20, v3
                                        ; implicit-def: $vgpr3
	s_delay_alu instid0(VALU_DEP_1)
	v_cmpx_ne_u32_e64 v1, v2
	s_wait_alu 0xfffe
	s_xor_b32 s12, exec_lo, s0
	s_cbranch_execz .LBB46_117
; %bb.111:
	s_load_b32 s0, s[10:11], 0x0
	ds_load_b32 v3, v7 offset:3072
	s_mov_b32 s10, exec_lo
	s_wait_kmcnt 0x0
	s_sub_co_i32 s0, s0, s20
	s_wait_alu 0xfffe
	v_cmpx_gt_i32_e64 s0, v8
	s_cbranch_execz .LBB46_116
; %bb.112:
	v_ashrrev_i32_e32 v5, 31, v2
	v_add_co_u32 v4, vcc_lo, s14, v2
	v_cmp_le_i32_e64 s0, s19, v1
	s_wait_alu 0xfffd
	s_delay_alu instid0(VALU_DEP_3)
	v_add_co_ci_u32_e64 v5, null, s15, v5, vcc_lo
	v_cmp_gt_i32_e32 vcc_lo, s5, v1
	global_load_i8 v2, v[4:5], off
	s_or_b32 s0, vcc_lo, s0
	s_wait_loadcnt_dscnt 0x0
	v_mul_lo_u32 v4, v3, v2
	s_wait_alu 0xfffe
	s_and_saveexec_b32 s11, s0
	s_wait_alu 0xfffe
	s_xor_b32 s0, exec_lo, s11
	s_cbranch_execz .LBB46_114
; %bb.113:
	v_ashrrev_i32_e32 v2, 31, v1
	s_delay_alu instid0(VALU_DEP_1) | instskip(NEXT) | instid1(VALU_DEP_1)
	v_lshlrev_b64_e32 v[8:9], 2, v[1:2]
	v_add_co_u32 v8, vcc_lo, s16, v8
	s_wait_alu 0xfffd
	s_delay_alu instid0(VALU_DEP_2)
	v_add_co_ci_u32_e64 v9, null, s17, v9, vcc_lo
	global_atomic_add_u32 v[8:9], v4, off scope:SCOPE_DEV
                                        ; implicit-def: $vgpr4
.LBB46_114:
	s_wait_alu 0xfffe
	s_and_not1_saveexec_b32 s0, s0
; %bb.115:
	v_subrev_nc_u32_e32 v2, s5, v1
	s_delay_alu instid0(VALU_DEP_1)
	v_lshl_add_u32 v2, v2, 2, 0x1000
	ds_add_u32 v2, v4
.LBB46_116:
	s_or_b32 exec_lo, exec_lo, s10
.LBB46_117:
	s_wait_alu 0xfffe
	s_and_not1_saveexec_b32 s0, s12
	s_cbranch_execz .LBB46_119
; %bb.118:
	s_wait_dscnt 0x0
	ds_load_b32 v3, v7 offset:3072
.LBB46_119:
	s_wait_alu 0xfffe
	s_or_b32 exec_lo, exec_lo, s0
	v_ashrrev_i32_e32 v2, 31, v1
	v_add_co_u32 v1, vcc_lo, s14, v1
	s_wait_alu 0xfffd
	s_delay_alu instid0(VALU_DEP_2)
	v_add_co_ci_u32_e64 v2, null, s15, v2, vcc_lo
	global_load_i8 v1, v[1:2], off
	s_wait_loadcnt_dscnt 0x0
	v_mul_lo_u32 v1, v3, v1
	ds_store_b32 v7, v1 offset:3072
.LBB46_120:
	s_wait_alu 0xfffe
	s_or_b32 exec_lo, exec_lo, s6
	s_min_i32 s6, s19, s7
	s_mov_b32 s7, exec_lo
	s_wait_alu 0xfffe
	s_sub_co_i32 s0, s6, s21
	s_wait_storecnt 0x0
	s_wait_loadcnt_dscnt 0x0
	s_barrier_signal -1
	s_barrier_wait -1
	global_inv scope:SCOPE_SE
	s_wait_alu 0xfffe
	v_cmpx_gt_i32_e64 s0, v0
	s_cbranch_execz .LBB46_123
; %bb.121:
	v_mov_b32_e32 v1, v0
	s_mov_b32 s10, 0
.LBB46_122:                             ; =>This Inner Loop Header: Depth=1
	s_delay_alu instid0(VALU_DEP_1) | instskip(SKIP_4) | instid1(VALU_DEP_1)
	v_add_nc_u32_e32 v2, s5, v1
	ds_load_b32 v4, v6
	v_add_nc_u32_e32 v1, 0x100, v1
	v_add_nc_u32_e32 v6, 0x400, v6
	v_ashrrev_i32_e32 v3, 31, v2
	v_lshlrev_b64_e32 v[2:3], 2, v[2:3]
	s_delay_alu instid0(VALU_DEP_1) | instskip(SKIP_1) | instid1(VALU_DEP_2)
	v_add_co_u32 v2, vcc_lo, s16, v2
	s_wait_alu 0xfffd
	v_add_co_ci_u32_e64 v3, null, s17, v3, vcc_lo
	v_cmp_le_i32_e32 vcc_lo, s0, v1
	s_wait_dscnt 0x0
	global_atomic_add_u32 v[2:3], v4, off scope:SCOPE_DEV
	s_wait_alu 0xfffe
	s_or_b32 s10, vcc_lo, s10
	s_wait_alu 0xfffe
	s_and_not1_b32 exec_lo, exec_lo, s10
	s_cbranch_execnz .LBB46_122
.LBB46_123:
	s_or_b32 exec_lo, exec_lo, s7
	s_mul_i32 s5, s1, s21
	s_add_co_i32 s7, s1, 1
	s_wait_alu 0xfffe
	s_sub_co_i32 s5, s4, s5
	v_add_nc_u32_e32 v1, s18, v0
	s_wait_alu 0xfffe
	s_sub_co_i32 s10, s5, s21
	s_cmp_ge_u32 s5, s21
	s_wait_loadcnt 0x0
	s_wait_storecnt 0x0
	s_cselect_b32 s1, s7, s1
	s_wait_alu 0xfffe
	s_cselect_b32 s5, s10, s5
	s_add_co_i32 s7, s1, 1
	s_wait_alu 0xfffe
	s_cmp_ge_u32 s5, s21
	s_barrier_signal -1
	s_cselect_b32 s1, s7, s1
	s_barrier_wait -1
	s_wait_alu 0xfffe
	s_add_co_i32 s1, s1, -1
	global_inv scope:SCOPE_SE
	s_wait_alu 0xfffe
	s_ashr_i32 s5, s1, 1
	s_wait_alu 0xfffe
	s_or_b32 s1, s5, s1
	s_wait_alu 0xfffe
	s_ashr_i32 s5, s1, 2
	s_wait_alu 0xfffe
	s_or_b32 s1, s5, s1
	;; [unrolled: 4-line block ×5, first 2 shown]
	s_mov_b32 s5, -1
	s_wait_alu 0xfffe
	s_add_co_i32 s1, s1, 1
	s_wait_alu 0xfffe
	s_ashr_i32 s1, s1, 1
	s_wait_alu 0xfffe
	s_cmp_gt_i32 s1, 1
	s_cbranch_scc1 .LBB46_132
; %bb.124:
	s_mov_b32 s5, exec_lo
	v_cmpx_gt_i32_e64 s19, v1
	s_cbranch_execz .LBB46_131
; %bb.125:
	s_sub_co_i32 s6, s6, s19
	v_mov_b32_e32 v2, v1
	s_lshl_b32 s10, s24, 2
	s_wait_alu 0xfffe
	s_lshl_b32 s6, s6, 2
	s_mov_b32 s7, 0
	s_wait_alu 0xfffe
	s_addk_co_i32 s6, 0x1000
	s_sub_co_i32 s10, 0, s10
	s_branch .LBB46_127
.LBB46_126:                             ;   in Loop: Header=BB46_127 Depth=1
	s_wait_alu 0xfffe
	s_or_b32 exec_lo, exec_lo, s11
	v_lshl_add_u32 v5, v2, 2, s6
	v_add_co_u32 v3, vcc_lo, s16, v3
	s_wait_alu 0xfffd
	v_add_co_ci_u32_e64 v4, null, s17, v4, vcc_lo
	ds_load_b32 v5, v5
	v_add_nc_u32_e32 v2, s4, v2
	s_delay_alu instid0(VALU_DEP_1)
	v_cmp_le_i32_e32 vcc_lo, s19, v2
	s_or_b32 s7, vcc_lo, s7
	s_wait_dscnt 0x0
	v_add_nc_u32_e32 v5, v5, v8
	global_atomic_add_u32 v[3:4], v5, off scope:SCOPE_DEV
	s_wait_alu 0xfffe
	s_and_not1_b32 exec_lo, exec_lo, s7
	s_cbranch_execz .LBB46_131
.LBB46_127:                             ; =>This Loop Header: Depth=1
                                        ;     Child Loop BB46_129 Depth 2
	v_ashrrev_i32_e32 v3, 31, v2
	v_mov_b32_e32 v8, 0
	s_mov_b32 s11, exec_lo
	s_delay_alu instid0(VALU_DEP_2) | instskip(NEXT) | instid1(VALU_DEP_1)
	v_lshlrev_b64_e32 v[3:4], 2, v[2:3]
	v_add_co_u32 v5, vcc_lo, s8, v3
	s_wait_alu 0xfffd
	s_delay_alu instid0(VALU_DEP_2)
	v_add_co_ci_u32_e64 v6, null, s9, v4, vcc_lo
	global_load_b64 v[5:6], v[5:6], off
	s_wait_loadcnt 0x0
	v_cmpx_lt_i32_e64 v5, v6
	s_cbranch_execz .LBB46_126
; %bb.128:                              ;   in Loop: Header=BB46_127 Depth=1
	v_subrev_nc_u32_e32 v6, s24, v6
	v_subrev_nc_u32_e32 v9, s24, v5
	s_wait_alu 0xfffe
	v_lshl_add_u32 v5, v5, 2, s10
	v_mov_b32_e32 v8, 0
	s_mov_b32 s12, 0
.LBB46_129:                             ;   Parent Loop BB46_127 Depth=1
                                        ; =>  This Inner Loop Header: Depth=2
	ds_load_b32 v10, v5
	v_add_nc_u32_e32 v9, 1, v9
	v_add_nc_u32_e32 v5, 4, v5
	s_delay_alu instid0(VALU_DEP_2)
	v_cmp_ge_i32_e32 vcc_lo, v9, v6
	s_wait_alu 0xfffe
	s_or_b32 s12, vcc_lo, s12
	s_wait_dscnt 0x0
	v_add_nc_u32_e32 v8, v10, v8
	s_wait_alu 0xfffe
	s_and_not1_b32 exec_lo, exec_lo, s12
	s_cbranch_execnz .LBB46_129
; %bb.130:                              ;   in Loop: Header=BB46_127 Depth=1
	s_or_b32 exec_lo, exec_lo, s12
	s_branch .LBB46_126
.LBB46_131:
	s_wait_alu 0xfffe
	s_or_b32 exec_lo, exec_lo, s5
	s_mov_b32 s5, 0
.LBB46_132:
	s_wait_alu 0xfffe
	s_and_not1_b32 vcc_lo, exec_lo, s5
	s_wait_alu 0xfffe
	s_cbranch_vccnz .LBB46_145
; %bb.133:
	s_cvt_f32_u32 s4, s1
	s_sub_co_i32 s5, 0, s1
	s_wait_alu 0xfffe
	s_delay_alu instid0(SALU_CYCLE_1) | instskip(NEXT) | instid1(TRANS32_DEP_1)
	v_rcp_iflag_f32_e32 v2, s4
	v_readfirstlane_b32 s4, v2
	s_mul_f32 s4, s4, 0x4f7ffffe
	s_wait_alu 0xfffe
	s_delay_alu instid0(SALU_CYCLE_2) | instskip(SKIP_1) | instid1(SALU_CYCLE_2)
	s_cvt_u32_f32 s4, s4
	s_wait_alu 0xfffe
	s_mul_i32 s5, s5, s4
	s_wait_alu 0xfffe
	s_mul_hi_u32 s5, s4, s5
	s_wait_alu 0xfffe
	s_add_co_i32 s4, s4, s5
	s_wait_alu 0xfffe
	v_mul_hi_u32 v2, v0, s4
	s_delay_alu instid0(VALU_DEP_1) | instskip(NEXT) | instid1(VALU_DEP_1)
	v_mul_lo_u32 v3, v2, s1
	v_sub_nc_u32_e32 v3, v0, v3
	s_delay_alu instid0(VALU_DEP_1) | instskip(SKIP_2) | instid1(VALU_DEP_2)
	v_subrev_nc_u32_e32 v5, s1, v3
	v_cmp_le_u32_e32 vcc_lo, s1, v3
	s_wait_alu 0xfffd
	v_dual_cndmask_b32 v3, v3, v5 :: v_dual_add_nc_u32 v4, 1, v2
	s_delay_alu instid0(VALU_DEP_1) | instskip(NEXT) | instid1(VALU_DEP_2)
	v_cndmask_b32_e32 v2, v2, v4, vcc_lo
	v_cmp_le_u32_e32 vcc_lo, s1, v3
	s_delay_alu instid0(VALU_DEP_2) | instskip(SKIP_1) | instid1(VALU_DEP_1)
	v_add_nc_u32_e32 v4, 1, v2
	s_wait_alu 0xfffd
	v_cndmask_b32_e32 v4, v2, v4, vcc_lo
	s_delay_alu instid0(VALU_DEP_1)
	v_lshlrev_b32_e32 v2, 2, v4
	global_load_b64 v[2:3], v2, s[2:3]
	s_abs_i32 s3, s1
	s_wait_alu 0xfffe
	s_cvt_f32_u32 s2, s3
	s_wait_alu 0xfffe
	s_delay_alu instid0(SALU_CYCLE_2) | instskip(SKIP_1) | instid1(TRANS32_DEP_1)
	v_rcp_iflag_f32_e32 v5, s2
	s_mov_b32 s2, exec_lo
	v_readfirstlane_b32 s4, v5
	v_mov_b32_e32 v5, 0
	v_cmpx_gt_i32_e64 s21, v4
	s_cbranch_execz .LBB46_141
; %bb.134:
	s_wait_loadcnt 0x0
	v_subrev_nc_u32_e32 v2, s24, v2
	v_subrev_nc_u32_e32 v4, s24, v3
	s_mul_f32 s4, s4, 0x4f7ffffe
	s_sub_co_i32 s5, 0, s3
	s_wait_alu 0xfffe
	s_delay_alu instid0(SALU_CYCLE_1) | instskip(SKIP_2) | instid1(SALU_CYCLE_1)
	s_cvt_u32_f32 s4, s4
	v_sub_nc_u32_e32 v3, v4, v2
	s_wait_alu 0xfffe
	s_mul_i32 s5, s5, s4
	s_delay_alu instid0(VALU_DEP_1)
	v_sub_nc_u32_e32 v5, 0, v3
	s_wait_alu 0xfffe
	s_mul_hi_u32 s5, s4, s5
	s_wait_alu 0xfffe
	s_add_co_i32 s4, s4, s5
	v_max_i32_e32 v8, v3, v5
	v_ashrrev_i32_e32 v3, 31, v3
	s_wait_alu 0xfffe
	s_delay_alu instid0(VALU_DEP_2) | instskip(SKIP_4) | instid1(VALU_DEP_1)
	v_mad_co_u64_u32 v[5:6], null, v8, s4, 0
	s_ashr_i32 s4, s1, 31
	s_wait_alu 0xfffe
	v_xor_b32_e32 v3, s4, v3
	v_mul_lo_u32 v5, v6, s3
	v_sub_nc_u32_e32 v5, v8, v5
	s_delay_alu instid0(VALU_DEP_1) | instskip(SKIP_2) | instid1(VALU_DEP_2)
	v_subrev_nc_u32_e32 v9, s3, v5
	v_cmp_le_u32_e32 vcc_lo, s3, v5
	s_wait_alu 0xfffd
	v_dual_cndmask_b32 v5, v5, v9 :: v_dual_add_nc_u32 v8, 1, v6
	s_delay_alu instid0(VALU_DEP_1) | instskip(NEXT) | instid1(VALU_DEP_2)
	v_cndmask_b32_e32 v6, v6, v8, vcc_lo
	v_cmp_le_u32_e32 vcc_lo, s3, v5
	s_delay_alu instid0(VALU_DEP_2) | instskip(SKIP_2) | instid1(VALU_DEP_1)
	v_add_nc_u32_e32 v8, 1, v6
	s_add_co_i32 s3, s1, -1
	s_wait_alu 0xfffd
	v_cndmask_b32_e32 v5, v6, v8, vcc_lo
	s_wait_alu 0xfffe
	v_and_b32_e32 v8, s3, v0
	s_mov_b32 s3, exec_lo
	s_delay_alu instid0(VALU_DEP_2) | instskip(NEXT) | instid1(VALU_DEP_2)
	v_xor_b32_e32 v5, v5, v3
	v_lshlrev_b32_e32 v6, 2, v8
	s_delay_alu instid0(VALU_DEP_2) | instskip(SKIP_1) | instid1(VALU_DEP_2)
	v_sub_nc_u32_e32 v3, v5, v3
	v_mov_b32_e32 v5, 0
	v_cmpx_lt_i32_e32 0, v3
	s_cbranch_execz .LBB46_138
; %bb.135:
	v_lshl_add_u32 v9, v2, 2, v6
	v_dual_mov_b32 v5, 0 :: v_dual_mov_b32 v10, v3
	s_lshl_b32 s5, s1, 2
	s_mov_b32 s4, 0
.LBB46_136:                             ; =>This Inner Loop Header: Depth=1
	ds_load_b32 v11, v9
	v_add_nc_u32_e32 v10, -1, v10
	s_wait_alu 0xfffe
	v_add_nc_u32_e32 v9, s5, v9
	s_delay_alu instid0(VALU_DEP_2)
	v_cmp_eq_u32_e32 vcc_lo, 0, v10
	s_or_b32 s4, vcc_lo, s4
	s_wait_dscnt 0x0
	v_add_nc_u32_e32 v5, v11, v5
	s_wait_alu 0xfffe
	s_and_not1_b32 exec_lo, exec_lo, s4
	s_cbranch_execnz .LBB46_136
; %bb.137:
	s_or_b32 exec_lo, exec_lo, s4
.LBB46_138:
	s_wait_alu 0xfffe
	s_or_b32 exec_lo, exec_lo, s3
	v_mad_co_u64_u32 v[2:3], null, v3, s1, v[2:3]
	s_mov_b32 s3, exec_lo
	v_sub_nc_u32_e32 v3, v4, v2
	s_delay_alu instid0(VALU_DEP_1)
	v_cmpx_lt_i32_e64 v8, v3
	s_cbranch_execz .LBB46_140
; %bb.139:
	v_lshl_add_u32 v2, v2, 2, v6
	ds_load_b32 v2, v2
	s_wait_dscnt 0x0
	v_add_nc_u32_e32 v5, v2, v5
.LBB46_140:
	s_wait_alu 0xfffe
	s_or_b32 exec_lo, exec_lo, s3
.LBB46_141:
	s_wait_alu 0xfffe
	s_or_b32 exec_lo, exec_lo, s2
	s_wait_loadcnt 0x0
	s_wait_storecnt 0x0
	s_barrier_signal -1
	s_barrier_wait -1
	global_inv scope:SCOPE_SE
	ds_store_b32 v7, v5
	s_wait_loadcnt_dscnt 0x0
	s_barrier_signal -1
	s_barrier_wait -1
	global_inv scope:SCOPE_SE
	s_mov_b32 s2, exec_lo
	v_cmpx_gt_i32_e64 s21, v0
	s_cbranch_execz .LBB46_145
; %bb.142:
	v_mul_lo_u32 v2, s1, v0
	s_delay_alu instid0(VALU_DEP_1)
	v_dual_mov_b32 v3, 0 :: v_dual_lshlrev_b32 v2, 2, v2
.LBB46_143:                             ; =>This Inner Loop Header: Depth=1
	ds_load_b32 v4, v2
	v_add_nc_u32_e32 v2, 4, v2
	s_add_co_i32 s1, s1, -1
	s_wait_alu 0xfffe
	s_cmp_eq_u32 s1, 0
	s_wait_dscnt 0x0
	v_add_nc_u32_e32 v3, v4, v3
	s_cbranch_scc0 .LBB46_143
; %bb.144:
	v_lshlrev_b32_e32 v0, 2, v0
	s_lshl_b32 s0, s0, 2
	v_ashrrev_i32_e32 v2, 31, v1
	s_wait_alu 0xfffe
	s_delay_alu instid0(VALU_DEP_2) | instskip(SKIP_2) | instid1(VALU_DEP_1)
	v_add3_u32 v0, 0x1000, s0, v0
	ds_load_b32 v4, v0
	v_lshlrev_b64_e32 v[0:1], 2, v[1:2]
	v_add_co_u32 v0, vcc_lo, s16, v0
	s_wait_alu 0xfffd
	s_delay_alu instid0(VALU_DEP_2)
	v_add_co_ci_u32_e64 v1, null, s17, v1, vcc_lo
	s_wait_dscnt 0x0
	v_add_nc_u32_e32 v2, v4, v3
	global_atomic_add_u32 v[0:1], v2, off scope:SCOPE_DEV
.LBB46_145:
	s_endpgm
	.section	.rodata,"a",@progbits
	.p2align	6, 0x0
	.amdhsa_kernel _ZN9rocsparseL27csrmvn_symm_adaptive_kernelIiiaaiiEEvbT_S1_PKS1_NS_24const_host_device_scalarIT4_EES3_PKT0_PKT1_PKT2_S6_PT3_21rocsparse_index_base_b
		.amdhsa_group_segment_fixed_size 4096
		.amdhsa_private_segment_fixed_size 0
		.amdhsa_kernarg_size 344
		.amdhsa_user_sgpr_count 2
		.amdhsa_user_sgpr_dispatch_ptr 0
		.amdhsa_user_sgpr_queue_ptr 0
		.amdhsa_user_sgpr_kernarg_segment_ptr 1
		.amdhsa_user_sgpr_dispatch_id 0
		.amdhsa_user_sgpr_private_segment_size 0
		.amdhsa_wavefront_size32 1
		.amdhsa_uses_dynamic_stack 0
		.amdhsa_enable_private_segment 0
		.amdhsa_system_sgpr_workgroup_id_x 1
		.amdhsa_system_sgpr_workgroup_id_y 0
		.amdhsa_system_sgpr_workgroup_id_z 0
		.amdhsa_system_sgpr_workgroup_info 0
		.amdhsa_system_vgpr_workitem_id 0
		.amdhsa_next_free_vgpr 15
		.amdhsa_next_free_sgpr 30
		.amdhsa_reserve_vcc 1
		.amdhsa_float_round_mode_32 0
		.amdhsa_float_round_mode_16_64 0
		.amdhsa_float_denorm_mode_32 3
		.amdhsa_float_denorm_mode_16_64 3
		.amdhsa_fp16_overflow 0
		.amdhsa_workgroup_processor_mode 1
		.amdhsa_memory_ordered 1
		.amdhsa_forward_progress 1
		.amdhsa_inst_pref_size 59
		.amdhsa_round_robin_scheduling 0
		.amdhsa_exception_fp_ieee_invalid_op 0
		.amdhsa_exception_fp_denorm_src 0
		.amdhsa_exception_fp_ieee_div_zero 0
		.amdhsa_exception_fp_ieee_overflow 0
		.amdhsa_exception_fp_ieee_underflow 0
		.amdhsa_exception_fp_ieee_inexact 0
		.amdhsa_exception_int_div_zero 0
	.end_amdhsa_kernel
	.section	.text._ZN9rocsparseL27csrmvn_symm_adaptive_kernelIiiaaiiEEvbT_S1_PKS1_NS_24const_host_device_scalarIT4_EES3_PKT0_PKT1_PKT2_S6_PT3_21rocsparse_index_base_b,"axG",@progbits,_ZN9rocsparseL27csrmvn_symm_adaptive_kernelIiiaaiiEEvbT_S1_PKS1_NS_24const_host_device_scalarIT4_EES3_PKT0_PKT1_PKT2_S6_PT3_21rocsparse_index_base_b,comdat
.Lfunc_end46:
	.size	_ZN9rocsparseL27csrmvn_symm_adaptive_kernelIiiaaiiEEvbT_S1_PKS1_NS_24const_host_device_scalarIT4_EES3_PKT0_PKT1_PKT2_S6_PT3_21rocsparse_index_base_b, .Lfunc_end46-_ZN9rocsparseL27csrmvn_symm_adaptive_kernelIiiaaiiEEvbT_S1_PKS1_NS_24const_host_device_scalarIT4_EES3_PKT0_PKT1_PKT2_S6_PT3_21rocsparse_index_base_b
                                        ; -- End function
	.set _ZN9rocsparseL27csrmvn_symm_adaptive_kernelIiiaaiiEEvbT_S1_PKS1_NS_24const_host_device_scalarIT4_EES3_PKT0_PKT1_PKT2_S6_PT3_21rocsparse_index_base_b.num_vgpr, 15
	.set _ZN9rocsparseL27csrmvn_symm_adaptive_kernelIiiaaiiEEvbT_S1_PKS1_NS_24const_host_device_scalarIT4_EES3_PKT0_PKT1_PKT2_S6_PT3_21rocsparse_index_base_b.num_agpr, 0
	.set _ZN9rocsparseL27csrmvn_symm_adaptive_kernelIiiaaiiEEvbT_S1_PKS1_NS_24const_host_device_scalarIT4_EES3_PKT0_PKT1_PKT2_S6_PT3_21rocsparse_index_base_b.numbered_sgpr, 30
	.set _ZN9rocsparseL27csrmvn_symm_adaptive_kernelIiiaaiiEEvbT_S1_PKS1_NS_24const_host_device_scalarIT4_EES3_PKT0_PKT1_PKT2_S6_PT3_21rocsparse_index_base_b.num_named_barrier, 0
	.set _ZN9rocsparseL27csrmvn_symm_adaptive_kernelIiiaaiiEEvbT_S1_PKS1_NS_24const_host_device_scalarIT4_EES3_PKT0_PKT1_PKT2_S6_PT3_21rocsparse_index_base_b.private_seg_size, 0
	.set _ZN9rocsparseL27csrmvn_symm_adaptive_kernelIiiaaiiEEvbT_S1_PKS1_NS_24const_host_device_scalarIT4_EES3_PKT0_PKT1_PKT2_S6_PT3_21rocsparse_index_base_b.uses_vcc, 1
	.set _ZN9rocsparseL27csrmvn_symm_adaptive_kernelIiiaaiiEEvbT_S1_PKS1_NS_24const_host_device_scalarIT4_EES3_PKT0_PKT1_PKT2_S6_PT3_21rocsparse_index_base_b.uses_flat_scratch, 0
	.set _ZN9rocsparseL27csrmvn_symm_adaptive_kernelIiiaaiiEEvbT_S1_PKS1_NS_24const_host_device_scalarIT4_EES3_PKT0_PKT1_PKT2_S6_PT3_21rocsparse_index_base_b.has_dyn_sized_stack, 0
	.set _ZN9rocsparseL27csrmvn_symm_adaptive_kernelIiiaaiiEEvbT_S1_PKS1_NS_24const_host_device_scalarIT4_EES3_PKT0_PKT1_PKT2_S6_PT3_21rocsparse_index_base_b.has_recursion, 0
	.set _ZN9rocsparseL27csrmvn_symm_adaptive_kernelIiiaaiiEEvbT_S1_PKS1_NS_24const_host_device_scalarIT4_EES3_PKT0_PKT1_PKT2_S6_PT3_21rocsparse_index_base_b.has_indirect_call, 0
	.section	.AMDGPU.csdata,"",@progbits
; Kernel info:
; codeLenInByte = 7496
; TotalNumSgprs: 32
; NumVgprs: 15
; ScratchSize: 0
; MemoryBound: 0
; FloatMode: 240
; IeeeMode: 1
; LDSByteSize: 4096 bytes/workgroup (compile time only)
; SGPRBlocks: 0
; VGPRBlocks: 1
; NumSGPRsForWavesPerEU: 32
; NumVGPRsForWavesPerEU: 15
; Occupancy: 16
; WaveLimiterHint : 1
; COMPUTE_PGM_RSRC2:SCRATCH_EN: 0
; COMPUTE_PGM_RSRC2:USER_SGPR: 2
; COMPUTE_PGM_RSRC2:TRAP_HANDLER: 0
; COMPUTE_PGM_RSRC2:TGID_X_EN: 1
; COMPUTE_PGM_RSRC2:TGID_Y_EN: 0
; COMPUTE_PGM_RSRC2:TGID_Z_EN: 0
; COMPUTE_PGM_RSRC2:TIDIG_COMP_CNT: 0
	.section	.text._ZL33csrmvn_symm_large_adaptive_kernelIiiaaiiEvbT_PKS0_N9rocsparse24const_host_device_scalarIT4_EES2_PKT0_PKT1_PKT2_S6_PT3_21rocsparse_index_base_b,"axG",@progbits,_ZL33csrmvn_symm_large_adaptive_kernelIiiaaiiEvbT_PKS0_N9rocsparse24const_host_device_scalarIT4_EES2_PKT0_PKT1_PKT2_S6_PT3_21rocsparse_index_base_b,comdat
	.globl	_ZL33csrmvn_symm_large_adaptive_kernelIiiaaiiEvbT_PKS0_N9rocsparse24const_host_device_scalarIT4_EES2_PKT0_PKT1_PKT2_S6_PT3_21rocsparse_index_base_b ; -- Begin function _ZL33csrmvn_symm_large_adaptive_kernelIiiaaiiEvbT_PKS0_N9rocsparse24const_host_device_scalarIT4_EES2_PKT0_PKT1_PKT2_S6_PT3_21rocsparse_index_base_b
	.p2align	8
	.type	_ZL33csrmvn_symm_large_adaptive_kernelIiiaaiiEvbT_PKS0_N9rocsparse24const_host_device_scalarIT4_EES2_PKT0_PKT1_PKT2_S6_PT3_21rocsparse_index_base_b,@function
_ZL33csrmvn_symm_large_adaptive_kernelIiiaaiiEvbT_PKS0_N9rocsparse24const_host_device_scalarIT4_EES2_PKT0_PKT1_PKT2_S6_PT3_21rocsparse_index_base_b: ; @_ZL33csrmvn_symm_large_adaptive_kernelIiiaaiiEvbT_PKS0_N9rocsparse24const_host_device_scalarIT4_EES2_PKT0_PKT1_PKT2_S6_PT3_21rocsparse_index_base_b
; %bb.0:
	s_clause 0x1
	s_load_b64 s[6:7], s[0:1], 0x48
	s_load_b64 s[4:5], s[0:1], 0x10
	s_mov_b32 s9, -1
	s_wait_kmcnt 0x0
	s_bitcmp1_b32 s7, 0
                                        ; implicit-def: $sgpr7
	s_cselect_b32 s2, -1, 0
	s_delay_alu instid0(SALU_CYCLE_1) | instskip(NEXT) | instid1(SALU_CYCLE_1)
	s_xor_b32 s8, s2, -1
	s_and_b32 vcc_lo, exec_lo, s8
	s_cbranch_vccnz .LBB47_4
; %bb.1:
	s_load_b64 s[2:3], s[0:1], 0x38
	s_and_not1_b32 vcc_lo, exec_lo, s9
	s_cbranch_vccz .LBB47_5
.LBB47_2:
	s_and_b32 vcc_lo, exec_lo, s8
	s_cbranch_vccz .LBB47_6
.LBB47_3:
	s_wait_kmcnt 0x0
	s_load_b32 s3, s[2:3], 0x0
	s_cbranch_execz .LBB47_7
	s_branch .LBB47_8
.LBB47_4:
	s_load_b32 s7, s[4:5], 0x0
	s_load_b64 s[2:3], s[0:1], 0x38
	s_cbranch_execnz .LBB47_2
.LBB47_5:
	s_wait_kmcnt 0x0
	s_mov_b32 s7, s4
	s_and_b32 vcc_lo, exec_lo, s8
	s_cbranch_vccnz .LBB47_3
.LBB47_6:
                                        ; implicit-def: $sgpr3
.LBB47_7:
	s_wait_kmcnt 0x0
	s_mov_b32 s3, s2
.LBB47_8:
	s_wait_kmcnt 0x0
	s_cmp_lg_u32 s7, 0
	s_cselect_b32 s2, -1, 0
	s_cmp_lg_u32 s3, 1
	s_cselect_b32 s3, -1, 0
	s_delay_alu instid0(SALU_CYCLE_1) | instskip(NEXT) | instid1(SALU_CYCLE_1)
	s_or_b32 s2, s2, s3
	s_and_not1_b32 vcc_lo, exec_lo, s2
	s_cbranch_vccnz .LBB47_36
; %bb.9:
	s_load_b64 s[4:5], s[0:1], 0x8
	s_mov_b32 s2, ttmp9
	s_ashr_i32 s3, ttmp9, 31
	v_dual_mov_b32 v7, 0 :: v_dual_lshlrev_b32 v6, 2, v0
	s_lshl_b64 s[2:3], s[2:3], 2
	ds_store_2addr_stride64_b32 v6, v7, v7 offset1:4
	ds_store_2addr_stride64_b32 v6, v7, v7 offset0:8 offset1:12
	s_wait_dscnt 0x0
	s_barrier_signal -1
	s_barrier_wait -1
	global_inv scope:SCOPE_SE
	v_subrev_nc_u32_e32 v8, s6, v0
	s_wait_kmcnt 0x0
	s_add_nc_u64 s[2:3], s[4:5], s[2:3]
	s_load_b64 s[16:17], s[2:3], 0x0
	s_clause 0x1
	s_load_b256 s[8:15], s[0:1], 0x18
	s_load_b64 s[18:19], s[0:1], 0x40
	s_wait_kmcnt 0x0
	s_cmp_ge_i32 s16, s17
	s_cbranch_scc1 .LBB47_27
; %bb.10:
	v_cmp_gt_u32_e64 s0, 16, v0
	v_cmp_gt_u32_e64 s1, 4, v0
	v_cmp_eq_u32_e64 s2, 0, v0
	s_mov_b32 s20, s16
	v_cmp_gt_u32_e32 vcc_lo, 64, v0
	s_branch .LBB47_12
.LBB47_11:                              ;   in Loop: Header=BB47_12 Depth=1
	s_wait_alu 0xfffe
	s_or_b32 exec_lo, exec_lo, s4
	s_add_co_i32 s20, s20, 1
	s_wait_alu 0xfffe
	s_cmp_ge_i32 s20, s17
	s_cbranch_scc1 .LBB47_27
.LBB47_12:                              ; =>This Loop Header: Depth=1
                                        ;     Child Loop BB47_14 Depth 2
	s_ashr_i32 s21, s20, 31
	v_mov_b32_e32 v1, 0
	s_wait_alu 0xfffe
	s_lshl_b64 s[22:23], s[20:21], 2
	s_delay_alu instid0(SALU_CYCLE_1)
	s_add_nc_u64 s[4:5], s[8:9], s[22:23]
	s_load_b64 s[4:5], s[4:5], 0x0
	s_wait_kmcnt 0x0
	v_add_nc_u32_e32 v0, s4, v8
	s_sub_co_i32 s21, s5, s6
	s_mov_b32 s5, exec_lo
	s_wait_alu 0xfffe
	s_delay_alu instid0(VALU_DEP_1)
	v_cmpx_gt_i32_e64 s21, v0
	s_cbranch_execz .LBB47_16
; %bb.13:                               ;   in Loop: Header=BB47_12 Depth=1
	v_ashrrev_i32_e32 v1, 31, v0
	v_add_co_u32 v2, s3, s12, v0
	s_mov_b32 s24, 0
	v_lshlrev_b64_e32 v[4:5], 2, v[0:1]
	s_wait_alu 0xf1ff
	v_add_co_ci_u32_e64 v3, null, s13, v1, s3
	v_mov_b32_e32 v1, 0
	s_delay_alu instid0(VALU_DEP_3)
	v_add_co_u32 v4, s3, s10, v4
	s_wait_alu 0xf1ff
	v_add_co_ci_u32_e64 v5, null, s11, v5, s3
.LBB47_14:                              ;   Parent Loop BB47_12 Depth=1
                                        ; =>  This Inner Loop Header: Depth=2
	global_load_b32 v9, v[4:5], off
	v_add_nc_u32_e32 v0, 0x100, v0
	s_delay_alu instid0(VALU_DEP_1) | instskip(SKIP_3) | instid1(VALU_DEP_1)
	v_cmp_le_i32_e64 s4, s21, v0
	s_or_b32 s24, s4, s24
	s_wait_loadcnt 0x0
	v_subrev_nc_u32_e32 v9, s6, v9
	v_ashrrev_i32_e32 v10, 31, v9
	v_add_co_u32 v9, s3, s14, v9
	s_wait_alu 0xf1ff
	s_delay_alu instid0(VALU_DEP_2)
	v_add_co_ci_u32_e64 v10, null, s15, v10, s3
	v_add_co_u32 v4, s3, 0x400, v4
	global_load_i8 v11, v[2:3], off
	global_load_i8 v9, v[9:10], off
	s_wait_alu 0xf1ff
	v_add_co_ci_u32_e64 v5, null, 0, v5, s3
	v_add_co_u32 v2, s3, 0x100, v2
	s_wait_alu 0xf1ff
	v_add_co_ci_u32_e64 v3, null, 0, v3, s3
	s_wait_loadcnt 0x0
	v_mad_i32_i24 v1, v9, v11, v1
	s_and_not1_b32 exec_lo, exec_lo, s24
	s_cbranch_execnz .LBB47_14
; %bb.15:                               ;   in Loop: Header=BB47_12 Depth=1
	s_or_b32 exec_lo, exec_lo, s24
.LBB47_16:                              ;   in Loop: Header=BB47_12 Depth=1
	s_wait_alu 0xfffe
	s_or_b32 exec_lo, exec_lo, s5
	ds_store_b32 v6, v1
	s_wait_loadcnt_dscnt 0x0
	s_barrier_signal -1
	s_barrier_wait -1
	global_inv scope:SCOPE_SE
	ds_load_2addr_stride64_b32 v[0:1], v6 offset1:4
	ds_load_2addr_stride64_b32 v[2:3], v6 offset0:8 offset1:12
	s_wait_dscnt 0x0
	v_add_nc_u32_e32 v1, v2, v1
	s_delay_alu instid0(VALU_DEP_1)
	v_add3_u32 v0, v1, v3, v0
	ds_store_b32 v6, v0
	s_wait_loadcnt_dscnt 0x0
	s_barrier_signal -1
	s_barrier_wait -1
	global_inv scope:SCOPE_SE
	s_and_saveexec_b32 s3, vcc_lo
	s_cbranch_execz .LBB47_18
; %bb.17:                               ;   in Loop: Header=BB47_12 Depth=1
	ds_load_2addr_stride64_b32 v[0:1], v6 offset1:1
	ds_load_2addr_stride64_b32 v[2:3], v6 offset0:2 offset1:3
	s_wait_dscnt 0x0
	v_add_nc_u32_e32 v1, v2, v1
	s_delay_alu instid0(VALU_DEP_1)
	v_add3_u32 v0, v1, v3, v0
	ds_store_b32 v6, v0
.LBB47_18:                              ;   in Loop: Header=BB47_12 Depth=1
	s_wait_alu 0xfffe
	s_or_b32 exec_lo, exec_lo, s3
	s_wait_loadcnt_dscnt 0x0
	s_barrier_signal -1
	s_barrier_wait -1
	global_inv scope:SCOPE_SE
	s_and_saveexec_b32 s3, s0
	s_cbranch_execz .LBB47_20
; %bb.19:                               ;   in Loop: Header=BB47_12 Depth=1
	ds_load_2addr_b32 v[0:1], v6 offset1:16
	ds_load_2addr_b32 v[2:3], v6 offset0:32 offset1:48
	s_wait_dscnt 0x0
	v_add_nc_u32_e32 v1, v2, v1
	s_delay_alu instid0(VALU_DEP_1)
	v_add3_u32 v0, v1, v3, v0
	ds_store_b32 v6, v0
.LBB47_20:                              ;   in Loop: Header=BB47_12 Depth=1
	s_wait_alu 0xfffe
	s_or_b32 exec_lo, exec_lo, s3
	s_wait_loadcnt_dscnt 0x0
	s_barrier_signal -1
	s_barrier_wait -1
	global_inv scope:SCOPE_SE
	s_and_saveexec_b32 s3, s1
	s_cbranch_execz .LBB47_22
; %bb.21:                               ;   in Loop: Header=BB47_12 Depth=1
	ds_load_2addr_b32 v[0:1], v6 offset1:4
	ds_load_2addr_b32 v[2:3], v6 offset0:8 offset1:12
	s_wait_dscnt 0x0
	v_add_nc_u32_e32 v1, v2, v1
	s_delay_alu instid0(VALU_DEP_1)
	v_add3_u32 v0, v1, v3, v0
	ds_store_b32 v6, v0
.LBB47_22:                              ;   in Loop: Header=BB47_12 Depth=1
	s_wait_alu 0xfffe
	s_or_b32 exec_lo, exec_lo, s3
	s_wait_loadcnt_dscnt 0x0
	s_barrier_signal -1
	s_barrier_wait -1
	global_inv scope:SCOPE_SE
	s_and_saveexec_b32 s3, s2
	s_cbranch_execz .LBB47_24
; %bb.23:                               ;   in Loop: Header=BB47_12 Depth=1
	ds_load_2addr_b32 v[0:1], v7 offset0:1 offset1:2
	ds_load_b32 v2, v7 offset:12
	ds_load_b32 v3, v6
	s_wait_dscnt 0x2
	v_add_nc_u32_e32 v0, v1, v0
	s_wait_dscnt 0x0
	s_delay_alu instid0(VALU_DEP_1)
	v_add3_u32 v0, v0, v2, v3
	ds_store_b32 v6, v0
.LBB47_24:                              ;   in Loop: Header=BB47_12 Depth=1
	s_wait_alu 0xfffe
	s_or_b32 exec_lo, exec_lo, s3
	s_wait_loadcnt_dscnt 0x0
	s_barrier_signal -1
	s_barrier_wait -1
	global_inv scope:SCOPE_SE
	s_and_saveexec_b32 s4, s2
	s_cbranch_execz .LBB47_11
; %bb.25:                               ;   in Loop: Header=BB47_12 Depth=1
	s_mov_b32 s5, exec_lo
	s_wait_alu 0xfffe
	v_mbcnt_lo_u32_b32 v0, s5, 0
	s_delay_alu instid0(VALU_DEP_1)
	v_cmp_eq_u32_e64 s3, 0, v0
	s_and_b32 s3, exec_lo, s3
	s_wait_alu 0xfffe
	s_mov_b32 exec_lo, s3
	s_cbranch_execz .LBB47_11
; %bb.26:                               ;   in Loop: Header=BB47_12 Depth=1
	ds_load_b32 v0, v7
	s_bcnt1_i32_b32 s3, s5
	s_add_nc_u64 s[22:23], s[18:19], s[22:23]
	s_wait_dscnt 0x0
	v_mul_lo_u32 v0, v0, s7
	s_wait_alu 0xfffe
	s_delay_alu instid0(VALU_DEP_1)
	v_mul_lo_u32 v0, v0, s3
	global_atomic_add_u32 v7, v0, s[22:23] scope:SCOPE_DEV
	s_branch .LBB47_11
.LBB47_27:
	s_ashr_i32 s1, s16, 31
	s_mov_b32 s0, s16
	s_ashr_i32 s3, s17, 31
	s_lshl_b64 s[0:1], s[0:1], 2
	s_mov_b32 s2, s17
	s_add_nc_u64 s[0:1], s[8:9], s[0:1]
	s_wait_alu 0xfffe
	s_lshl_b64 s[2:3], s[2:3], 2
	s_load_b32 s4, s[0:1], 0x0
	s_add_nc_u64 s[0:1], s[8:9], s[2:3]
	s_load_b32 s0, s[0:1], 0x0
	s_wait_kmcnt 0x0
	v_add_nc_u32_e32 v0, s4, v8
	s_sub_co_i32 s1, s0, s6
	s_mov_b32 s0, exec_lo
	s_delay_alu instid0(VALU_DEP_1)
	v_cmpx_gt_i32_e64 s1, v0
	s_cbranch_execz .LBB47_36
; %bb.28:
	s_add_co_i32 s2, s17, -1
	s_mov_b32 s4, 0
	s_wait_alu 0xfffe
	s_cmp_lt_i32 s16, s2
	s_cselect_b32 s0, -1, 0
	s_add_co_i32 s3, s17, -2
	s_wait_alu 0xfffe
	s_cmp_lg_u32 s16, s3
	s_cselect_b32 s3, -1, 0
	s_wait_alu 0xfffe
	s_and_b32 s3, s0, s3
	s_branch .LBB47_30
.LBB47_29:                              ;   in Loop: Header=BB47_30 Depth=1
	s_wait_alu 0xfffe
	s_or_b32 exec_lo, exec_lo, s0
	v_add_nc_u32_e32 v0, 0x100, v0
	s_delay_alu instid0(VALU_DEP_1)
	v_cmp_le_i32_e32 vcc_lo, s1, v0
	s_or_b32 s4, vcc_lo, s4
	s_wait_alu 0xfffe
	s_and_not1_b32 exec_lo, exec_lo, s4
	s_cbranch_execz .LBB47_36
.LBB47_30:                              ; =>This Loop Header: Depth=1
                                        ;     Child Loop BB47_32 Depth 2
	v_mov_b32_e32 v4, s16
	v_mov_b32_e32 v2, s2
	s_wait_alu 0xfffe
	s_and_not1_b32 vcc_lo, exec_lo, s3
	s_wait_alu 0xfffe
	s_cbranch_vccnz .LBB47_34
; %bb.31:                               ;   in Loop: Header=BB47_30 Depth=1
	v_mov_b32_e32 v4, s16
	v_mov_b32_e32 v2, s2
	s_mov_b32 s5, 0
.LBB47_32:                              ;   Parent Loop BB47_30 Depth=1
                                        ; =>  This Inner Loop Header: Depth=2
	s_delay_alu instid0(VALU_DEP_1) | instskip(NEXT) | instid1(VALU_DEP_1)
	v_add_nc_u32_e32 v1, v2, v4
	v_lshrrev_b32_e32 v3, 31, v1
	s_delay_alu instid0(VALU_DEP_1) | instskip(NEXT) | instid1(VALU_DEP_1)
	v_add_nc_u32_e32 v1, v1, v3
	v_ashrrev_i32_e32 v5, 1, v1
	s_delay_alu instid0(VALU_DEP_1) | instskip(NEXT) | instid1(VALU_DEP_1)
	v_ashrrev_i32_e32 v6, 31, v5
	v_lshlrev_b64_e32 v[6:7], 2, v[5:6]
	s_delay_alu instid0(VALU_DEP_1) | instskip(SKIP_1) | instid1(VALU_DEP_2)
	v_add_co_u32 v6, vcc_lo, s8, v6
	s_wait_alu 0xfffd
	v_add_co_ci_u32_e64 v7, null, s9, v7, vcc_lo
	global_load_b32 v1, v[6:7], off
	s_wait_loadcnt 0x0
	v_subrev_nc_u32_e32 v1, s6, v1
	s_delay_alu instid0(VALU_DEP_1) | instskip(SKIP_2) | instid1(VALU_DEP_1)
	v_cmp_lt_i32_e32 vcc_lo, v0, v1
	s_wait_alu 0xfffd
	v_cndmask_b32_e32 v2, v2, v5, vcc_lo
	v_dual_cndmask_b32 v4, v5, v4 :: v_dual_add_nc_u32 v1, -1, v2
	s_delay_alu instid0(VALU_DEP_1) | instskip(NEXT) | instid1(VALU_DEP_2)
	v_cmp_ge_i32_e32 vcc_lo, v4, v2
	v_cmp_eq_u32_e64 s0, v4, v1
	s_or_b32 s0, vcc_lo, s0
	s_wait_alu 0xfffe
	s_and_b32 s0, exec_lo, s0
	s_wait_alu 0xfffe
	s_or_b32 s5, s0, s5
	s_wait_alu 0xfffe
	s_and_not1_b32 exec_lo, exec_lo, s5
	s_cbranch_execnz .LBB47_32
; %bb.33:                               ;   in Loop: Header=BB47_30 Depth=1
	s_or_b32 exec_lo, exec_lo, s5
.LBB47_34:                              ;   in Loop: Header=BB47_30 Depth=1
	v_ashrrev_i32_e32 v3, 31, v2
	v_ashrrev_i32_e32 v1, 31, v0
	s_mov_b32 s0, exec_lo
	s_delay_alu instid0(VALU_DEP_2) | instskip(NEXT) | instid1(VALU_DEP_2)
	v_lshlrev_b64_e32 v[5:6], 2, v[2:3]
	v_lshlrev_b64_e32 v[7:8], 2, v[0:1]
	s_delay_alu instid0(VALU_DEP_2) | instskip(SKIP_1) | instid1(VALU_DEP_3)
	v_add_co_u32 v5, vcc_lo, s8, v5
	s_wait_alu 0xfffd
	v_add_co_ci_u32_e64 v6, null, s9, v6, vcc_lo
	global_load_b32 v3, v[5:6], off
	v_add_co_u32 v5, vcc_lo, s10, v7
	s_wait_alu 0xfffd
	v_add_co_ci_u32_e64 v6, null, s11, v8, vcc_lo
	global_load_b32 v5, v[5:6], off
	s_wait_loadcnt 0x1
	v_subrev_nc_u32_e32 v3, s6, v3
	s_delay_alu instid0(VALU_DEP_1) | instskip(SKIP_4) | instid1(VALU_DEP_1)
	v_cmp_lt_i32_e32 vcc_lo, v0, v3
	s_wait_alu 0xfffd
	v_cndmask_b32_e32 v3, v2, v4, vcc_lo
	s_wait_loadcnt 0x0
	v_subrev_nc_u32_e32 v2, s6, v5
	v_cmpx_ne_u32_e64 v2, v3
	s_cbranch_execz .LBB47_29
; %bb.35:                               ;   in Loop: Header=BB47_30 Depth=1
	v_add_co_u32 v4, vcc_lo, s12, v0
	s_wait_alu 0xfffd
	v_add_co_ci_u32_e64 v5, null, s13, v1, vcc_lo
	v_ashrrev_i32_e32 v1, 31, v3
	v_add_co_u32 v3, vcc_lo, s14, v3
	global_load_i8 v5, v[4:5], off
	s_wait_alu 0xfffd
	v_add_co_ci_u32_e64 v4, null, s15, v1, vcc_lo
	global_load_i8 v4, v[3:4], off
	v_ashrrev_i32_e32 v3, 31, v2
	s_delay_alu instid0(VALU_DEP_1) | instskip(NEXT) | instid1(VALU_DEP_1)
	v_lshlrev_b64_e32 v[1:2], 2, v[2:3]
	v_add_co_u32 v1, vcc_lo, s18, v1
	s_wait_alu 0xfffd
	s_delay_alu instid0(VALU_DEP_2) | instskip(SKIP_3) | instid1(VALU_DEP_1)
	v_add_co_ci_u32_e64 v2, null, s19, v2, vcc_lo
	s_wait_loadcnt 0x1
	v_mul_lo_u32 v5, s7, v5
	s_wait_loadcnt 0x0
	v_mul_lo_u32 v3, v5, v4
	global_atomic_add_u32 v[1:2], v3, off scope:SCOPE_DEV
	s_branch .LBB47_29
.LBB47_36:
	s_endpgm
	.section	.rodata,"a",@progbits
	.p2align	6, 0x0
	.amdhsa_kernel _ZL33csrmvn_symm_large_adaptive_kernelIiiaaiiEvbT_PKS0_N9rocsparse24const_host_device_scalarIT4_EES2_PKT0_PKT1_PKT2_S6_PT3_21rocsparse_index_base_b
		.amdhsa_group_segment_fixed_size 4096
		.amdhsa_private_segment_fixed_size 0
		.amdhsa_kernarg_size 80
		.amdhsa_user_sgpr_count 2
		.amdhsa_user_sgpr_dispatch_ptr 0
		.amdhsa_user_sgpr_queue_ptr 0
		.amdhsa_user_sgpr_kernarg_segment_ptr 1
		.amdhsa_user_sgpr_dispatch_id 0
		.amdhsa_user_sgpr_private_segment_size 0
		.amdhsa_wavefront_size32 1
		.amdhsa_uses_dynamic_stack 0
		.amdhsa_enable_private_segment 0
		.amdhsa_system_sgpr_workgroup_id_x 1
		.amdhsa_system_sgpr_workgroup_id_y 0
		.amdhsa_system_sgpr_workgroup_id_z 0
		.amdhsa_system_sgpr_workgroup_info 0
		.amdhsa_system_vgpr_workitem_id 0
		.amdhsa_next_free_vgpr 12
		.amdhsa_next_free_sgpr 25
		.amdhsa_reserve_vcc 1
		.amdhsa_float_round_mode_32 0
		.amdhsa_float_round_mode_16_64 0
		.amdhsa_float_denorm_mode_32 3
		.amdhsa_float_denorm_mode_16_64 3
		.amdhsa_fp16_overflow 0
		.amdhsa_workgroup_processor_mode 1
		.amdhsa_memory_ordered 1
		.amdhsa_forward_progress 1
		.amdhsa_inst_pref_size 15
		.amdhsa_round_robin_scheduling 0
		.amdhsa_exception_fp_ieee_invalid_op 0
		.amdhsa_exception_fp_denorm_src 0
		.amdhsa_exception_fp_ieee_div_zero 0
		.amdhsa_exception_fp_ieee_overflow 0
		.amdhsa_exception_fp_ieee_underflow 0
		.amdhsa_exception_fp_ieee_inexact 0
		.amdhsa_exception_int_div_zero 0
	.end_amdhsa_kernel
	.section	.text._ZL33csrmvn_symm_large_adaptive_kernelIiiaaiiEvbT_PKS0_N9rocsparse24const_host_device_scalarIT4_EES2_PKT0_PKT1_PKT2_S6_PT3_21rocsparse_index_base_b,"axG",@progbits,_ZL33csrmvn_symm_large_adaptive_kernelIiiaaiiEvbT_PKS0_N9rocsparse24const_host_device_scalarIT4_EES2_PKT0_PKT1_PKT2_S6_PT3_21rocsparse_index_base_b,comdat
.Lfunc_end47:
	.size	_ZL33csrmvn_symm_large_adaptive_kernelIiiaaiiEvbT_PKS0_N9rocsparse24const_host_device_scalarIT4_EES2_PKT0_PKT1_PKT2_S6_PT3_21rocsparse_index_base_b, .Lfunc_end47-_ZL33csrmvn_symm_large_adaptive_kernelIiiaaiiEvbT_PKS0_N9rocsparse24const_host_device_scalarIT4_EES2_PKT0_PKT1_PKT2_S6_PT3_21rocsparse_index_base_b
                                        ; -- End function
	.set _ZL33csrmvn_symm_large_adaptive_kernelIiiaaiiEvbT_PKS0_N9rocsparse24const_host_device_scalarIT4_EES2_PKT0_PKT1_PKT2_S6_PT3_21rocsparse_index_base_b.num_vgpr, 12
	.set _ZL33csrmvn_symm_large_adaptive_kernelIiiaaiiEvbT_PKS0_N9rocsparse24const_host_device_scalarIT4_EES2_PKT0_PKT1_PKT2_S6_PT3_21rocsparse_index_base_b.num_agpr, 0
	.set _ZL33csrmvn_symm_large_adaptive_kernelIiiaaiiEvbT_PKS0_N9rocsparse24const_host_device_scalarIT4_EES2_PKT0_PKT1_PKT2_S6_PT3_21rocsparse_index_base_b.numbered_sgpr, 25
	.set _ZL33csrmvn_symm_large_adaptive_kernelIiiaaiiEvbT_PKS0_N9rocsparse24const_host_device_scalarIT4_EES2_PKT0_PKT1_PKT2_S6_PT3_21rocsparse_index_base_b.num_named_barrier, 0
	.set _ZL33csrmvn_symm_large_adaptive_kernelIiiaaiiEvbT_PKS0_N9rocsparse24const_host_device_scalarIT4_EES2_PKT0_PKT1_PKT2_S6_PT3_21rocsparse_index_base_b.private_seg_size, 0
	.set _ZL33csrmvn_symm_large_adaptive_kernelIiiaaiiEvbT_PKS0_N9rocsparse24const_host_device_scalarIT4_EES2_PKT0_PKT1_PKT2_S6_PT3_21rocsparse_index_base_b.uses_vcc, 1
	.set _ZL33csrmvn_symm_large_adaptive_kernelIiiaaiiEvbT_PKS0_N9rocsparse24const_host_device_scalarIT4_EES2_PKT0_PKT1_PKT2_S6_PT3_21rocsparse_index_base_b.uses_flat_scratch, 0
	.set _ZL33csrmvn_symm_large_adaptive_kernelIiiaaiiEvbT_PKS0_N9rocsparse24const_host_device_scalarIT4_EES2_PKT0_PKT1_PKT2_S6_PT3_21rocsparse_index_base_b.has_dyn_sized_stack, 0
	.set _ZL33csrmvn_symm_large_adaptive_kernelIiiaaiiEvbT_PKS0_N9rocsparse24const_host_device_scalarIT4_EES2_PKT0_PKT1_PKT2_S6_PT3_21rocsparse_index_base_b.has_recursion, 0
	.set _ZL33csrmvn_symm_large_adaptive_kernelIiiaaiiEvbT_PKS0_N9rocsparse24const_host_device_scalarIT4_EES2_PKT0_PKT1_PKT2_S6_PT3_21rocsparse_index_base_b.has_indirect_call, 0
	.section	.AMDGPU.csdata,"",@progbits
; Kernel info:
; codeLenInByte = 1868
; TotalNumSgprs: 27
; NumVgprs: 12
; ScratchSize: 0
; MemoryBound: 0
; FloatMode: 240
; IeeeMode: 1
; LDSByteSize: 4096 bytes/workgroup (compile time only)
; SGPRBlocks: 0
; VGPRBlocks: 1
; NumSGPRsForWavesPerEU: 27
; NumVGPRsForWavesPerEU: 12
; Occupancy: 16
; WaveLimiterHint : 1
; COMPUTE_PGM_RSRC2:SCRATCH_EN: 0
; COMPUTE_PGM_RSRC2:USER_SGPR: 2
; COMPUTE_PGM_RSRC2:TRAP_HANDLER: 0
; COMPUTE_PGM_RSRC2:TGID_X_EN: 1
; COMPUTE_PGM_RSRC2:TGID_Y_EN: 0
; COMPUTE_PGM_RSRC2:TGID_Z_EN: 0
; COMPUTE_PGM_RSRC2:TIDIG_COMP_CNT: 0
	.section	.text._ZN9rocsparseL22csrmvn_adaptive_kernelIliaaiiEEvbT_PKS1_PjPKT0_NS_24const_host_device_scalarIT4_EES3_S7_PKT1_PKT2_SA_PT3_21rocsparse_index_base_b,"axG",@progbits,_ZN9rocsparseL22csrmvn_adaptive_kernelIliaaiiEEvbT_PKS1_PjPKT0_NS_24const_host_device_scalarIT4_EES3_S7_PKT1_PKT2_SA_PT3_21rocsparse_index_base_b,comdat
	.globl	_ZN9rocsparseL22csrmvn_adaptive_kernelIliaaiiEEvbT_PKS1_PjPKT0_NS_24const_host_device_scalarIT4_EES3_S7_PKT1_PKT2_SA_PT3_21rocsparse_index_base_b ; -- Begin function _ZN9rocsparseL22csrmvn_adaptive_kernelIliaaiiEEvbT_PKS1_PjPKT0_NS_24const_host_device_scalarIT4_EES3_S7_PKT1_PKT2_SA_PT3_21rocsparse_index_base_b
	.p2align	8
	.type	_ZN9rocsparseL22csrmvn_adaptive_kernelIliaaiiEEvbT_PKS1_PjPKT0_NS_24const_host_device_scalarIT4_EES3_S7_PKT1_PKT2_SA_PT3_21rocsparse_index_base_b,@function
_ZN9rocsparseL22csrmvn_adaptive_kernelIliaaiiEEvbT_PKS1_PjPKT0_NS_24const_host_device_scalarIT4_EES3_S7_PKT1_PKT2_SA_PT3_21rocsparse_index_base_b: ; @_ZN9rocsparseL22csrmvn_adaptive_kernelIliaaiiEEvbT_PKS1_PjPKT0_NS_24const_host_device_scalarIT4_EES3_S7_PKT1_PKT2_SA_PT3_21rocsparse_index_base_b
; %bb.0:
	s_clause 0x1
	s_load_b64 s[34:35], s[0:1], 0x60
	s_load_b64 s[4:5], s[0:1], 0x28
	s_mov_b32 s7, -1
                                        ; implicit-def: $sgpr44
	s_wait_kmcnt 0x0
	s_bitcmp1_b32 s35, 0
	s_cselect_b32 s2, -1, 0
	s_delay_alu instid0(SALU_CYCLE_1) | instskip(NEXT) | instid1(SALU_CYCLE_1)
	s_xor_b32 s6, s2, -1
	s_and_b32 vcc_lo, exec_lo, s6
	s_cbranch_vccnz .LBB48_4
; %bb.1:
	s_load_b64 s[2:3], s[0:1], 0x50
	s_and_not1_b32 vcc_lo, exec_lo, s7
	s_cbranch_vccz .LBB48_5
.LBB48_2:
	s_and_b32 vcc_lo, exec_lo, s6
	s_cbranch_vccz .LBB48_6
.LBB48_3:
	s_wait_kmcnt 0x0
	s_load_b32 s33, s[2:3], 0x0
	s_cbranch_execz .LBB48_7
	s_branch .LBB48_8
.LBB48_4:
	s_load_b32 s44, s[4:5], 0x0
	s_load_b64 s[2:3], s[0:1], 0x50
	s_cbranch_execnz .LBB48_2
.LBB48_5:
	s_wait_kmcnt 0x0
	s_mov_b32 s44, s4
	s_and_b32 vcc_lo, exec_lo, s6
	s_cbranch_vccnz .LBB48_3
.LBB48_6:
	s_wait_kmcnt 0x0
                                        ; implicit-def: $sgpr33
.LBB48_7:
	s_wait_kmcnt 0x0
	s_mov_b32 s33, s2
.LBB48_8:
	s_cmp_lg_u32 s44, 0
	s_cselect_b32 s2, -1, 0
	s_wait_kmcnt 0x0
	s_cmp_lg_u32 s33, 1
	s_cselect_b32 s3, -1, 0
	s_delay_alu instid0(SALU_CYCLE_1) | instskip(NEXT) | instid1(SALU_CYCLE_1)
	s_or_b32 s2, s2, s3
	s_and_not1_b32 vcc_lo, exec_lo, s2
	s_cbranch_vccnz .LBB48_119
; %bb.9:
	s_clause 0x1
	s_load_b64 s[2:3], s[0:1], 0x10
	s_load_b64 s[6:7], s[0:1], 0x20
	s_mov_b32 s36, ttmp9
	s_ashr_i32 s37, ttmp9, 31
	s_delay_alu instid0(SALU_CYCLE_1)
	s_lshl_b64 s[4:5], s[36:37], 3
	s_lshl_b64 s[38:39], s[36:37], 2
	s_wait_kmcnt 0x0
	s_add_nc_u64 s[2:3], s[2:3], s[4:5]
	s_add_nc_u64 s[4:5], s[6:7], s[38:39]
	s_load_b128 s[20:23], s[2:3], 0x0
	s_clause 0x1
	s_load_b256 s[12:19], s[0:1], 0x30
	s_load_b64 s[24:25], s[0:1], 0x58
	s_wait_kmcnt 0x0
	s_lshl_b64 s[2:3], s[20:21], 3
	s_delay_alu instid0(SALU_CYCLE_1)
	s_add_nc_u64 s[28:29], s[12:13], s[2:3]
	s_load_b32 s26, s[4:5], 0x0
	s_load_b64 s[30:31], s[28:29], 0x0
	s_sub_co_i32 s3, s22, s20
	s_mov_b32 s2, -1
	s_cmp_lt_i32 s3, 2
	s_cbranch_scc0 .LBB48_75
; %bb.10:
	s_cmp_lg_u32 s3, 1
	s_cselect_b32 s2, -1, 0
	s_wait_kmcnt 0x0
	s_cmp_lg_u32 s26, 0
	s_cselect_b32 s3, -1, 0
	s_delay_alu instid0(SALU_CYCLE_1) | instskip(NEXT) | instid1(SALU_CYCLE_1)
	s_or_b32 s2, s2, s3
	s_and_b32 vcc_lo, exec_lo, s2
	s_mov_b32 s2, -1
	s_cbranch_vccnz .LBB48_39
; %bb.11:
	v_cmp_le_i64_e64 s2, s[22:23], s[20:21]
	s_and_b32 vcc_lo, exec_lo, s2
	s_cbranch_vccnz .LBB48_38
; %bb.12:
	v_sub_co_u32 v8, s2, v0, s34
	v_dual_mov_b32 v7, 0 :: v_dual_lshlrev_b32 v10, 2, v0
	v_sub_co_ci_u32_e64 v9, null, 0, 0, s2
	v_cmp_gt_u32_e64 s2, 0x80, v0
	v_cmp_gt_u32_e64 s3, 64, v0
	;; [unrolled: 1-line block ×7, first 2 shown]
	v_cmp_eq_u32_e64 s9, 0, v0
	s_cmp_lg_u32 s33, 0
	s_mov_b32 s35, 0
	s_cselect_b32 s11, -1, 0
	s_mov_b64 s[40:41], s[20:21]
	s_branch .LBB48_15
.LBB48_13:                              ;   in Loop: Header=BB48_15 Depth=1
	s_lshl_b64 s[42:43], s[40:41], 2
	s_wait_alu 0xfffe
	s_add_nc_u64 s[42:43], s[24:25], s[42:43]
	s_wait_dscnt 0x0
	global_store_b32 v7, v1, s[42:43]
.LBB48_14:                              ;   in Loop: Header=BB48_15 Depth=1
	s_wait_alu 0xfffe
	s_or_b32 exec_lo, exec_lo, s10
	s_add_nc_u64 s[40:41], s[40:41], 1
	s_wait_alu 0xfffe
	v_cmp_ge_i64_e64 s10, s[40:41], s[22:23]
	s_and_b32 vcc_lo, exec_lo, s10
	s_wait_alu 0xfffe
	s_cbranch_vccnz .LBB48_38
.LBB48_15:                              ; =>This Loop Header: Depth=1
                                        ;     Child Loop BB48_17 Depth 2
	s_lshl_b64 s[42:43], s[40:41], 3
	v_mov_b32_e32 v3, 0
	s_wait_alu 0xfffe
	s_add_nc_u64 s[42:43], s[12:13], s[42:43]
	s_mov_b32 s27, exec_lo
	s_load_b128 s[48:51], s[42:43], 0x0
	s_wait_kmcnt 0x0
	v_add_co_u32 v1, vcc_lo, s48, v8
	s_wait_alu 0xfffd
	v_add_co_ci_u32_e64 v2, null, s49, v9, vcc_lo
	s_sub_nc_u64 s[42:43], s[50:51], s[34:35]
	s_wait_alu 0xfffe
	v_cmpx_gt_i64_e64 s[42:43], v[1:2]
	s_cbranch_execz .LBB48_19
; %bb.16:                               ;   in Loop: Header=BB48_15 Depth=1
	v_lshlrev_b64_e32 v[3:4], 2, v[1:2]
	s_mov_b32 s37, 0
	s_delay_alu instid0(VALU_DEP_1) | instskip(SKIP_1) | instid1(VALU_DEP_2)
	v_add_co_u32 v5, vcc_lo, s14, v3
	s_wait_alu 0xfffd
	v_add_co_ci_u32_e64 v6, null, s15, v4, vcc_lo
	v_mov_b32_e32 v3, 0
.LBB48_17:                              ;   Parent Loop BB48_15 Depth=1
                                        ; =>  This Inner Loop Header: Depth=2
	global_load_b32 v4, v[5:6], off
	v_add_co_u32 v11, vcc_lo, s16, v1
	s_wait_alu 0xfffd
	v_add_co_ci_u32_e64 v12, null, s17, v2, vcc_lo
	v_add_co_u32 v5, s10, 0x400, v5
	s_wait_alu 0xf1ff
	v_add_co_ci_u32_e64 v6, null, 0, v6, s10
	global_load_i8 v13, v[11:12], off
	s_wait_loadcnt 0x1
	v_subrev_nc_u32_e32 v4, s34, v4
	s_delay_alu instid0(VALU_DEP_1) | instskip(SKIP_2) | instid1(VALU_DEP_2)
	v_ashrrev_i32_e32 v12, 31, v4
	v_add_co_u32 v11, vcc_lo, s18, v4
	s_wait_alu 0xfffd
	v_add_co_ci_u32_e64 v12, null, s19, v12, vcc_lo
	v_add_co_u32 v1, vcc_lo, 0x100, v1
	s_wait_alu 0xfffd
	v_add_co_ci_u32_e64 v2, null, 0, v2, vcc_lo
	global_load_i8 v4, v[11:12], off
	s_wait_loadcnt 0x1
	v_mul_lo_u32 v11, s44, v13
	v_cmp_le_i64_e32 vcc_lo, s[42:43], v[1:2]
	s_or_b32 s37, vcc_lo, s37
	s_wait_loadcnt 0x0
	s_delay_alu instid0(VALU_DEP_2)
	v_mad_co_u64_u32 v[3:4], null, v11, v4, v[3:4]
	s_and_not1_b32 exec_lo, exec_lo, s37
	s_cbranch_execnz .LBB48_17
; %bb.18:                               ;   in Loop: Header=BB48_15 Depth=1
	s_or_b32 exec_lo, exec_lo, s37
.LBB48_19:                              ;   in Loop: Header=BB48_15 Depth=1
	s_delay_alu instid0(SALU_CYCLE_1)
	s_or_b32 exec_lo, exec_lo, s27
	ds_store_b32 v10, v3
	s_wait_dscnt 0x0
	s_barrier_signal -1
	s_barrier_wait -1
	global_inv scope:SCOPE_SE
	s_and_saveexec_b32 s10, s2
	s_cbranch_execz .LBB48_21
; %bb.20:                               ;   in Loop: Header=BB48_15 Depth=1
	ds_load_2addr_stride64_b32 v[1:2], v10 offset1:2
	s_wait_dscnt 0x0
	v_add_nc_u32_e32 v1, v2, v1
	ds_store_b32 v10, v1
.LBB48_21:                              ;   in Loop: Header=BB48_15 Depth=1
	s_wait_alu 0xfffe
	s_or_b32 exec_lo, exec_lo, s10
	s_wait_loadcnt_dscnt 0x0
	s_barrier_signal -1
	s_barrier_wait -1
	global_inv scope:SCOPE_SE
	s_and_saveexec_b32 s10, s3
	s_cbranch_execz .LBB48_23
; %bb.22:                               ;   in Loop: Header=BB48_15 Depth=1
	ds_load_2addr_stride64_b32 v[1:2], v10 offset1:1
	s_wait_dscnt 0x0
	v_add_nc_u32_e32 v1, v2, v1
	ds_store_b32 v10, v1
.LBB48_23:                              ;   in Loop: Header=BB48_15 Depth=1
	s_wait_alu 0xfffe
	s_or_b32 exec_lo, exec_lo, s10
	s_wait_loadcnt_dscnt 0x0
	s_barrier_signal -1
	s_barrier_wait -1
	global_inv scope:SCOPE_SE
	s_and_saveexec_b32 s10, s4
	s_cbranch_execz .LBB48_25
; %bb.24:                               ;   in Loop: Header=BB48_15 Depth=1
	ds_load_2addr_b32 v[1:2], v10 offset1:32
	s_wait_dscnt 0x0
	v_add_nc_u32_e32 v1, v2, v1
	ds_store_b32 v10, v1
.LBB48_25:                              ;   in Loop: Header=BB48_15 Depth=1
	s_wait_alu 0xfffe
	s_or_b32 exec_lo, exec_lo, s10
	s_wait_loadcnt_dscnt 0x0
	s_barrier_signal -1
	s_barrier_wait -1
	global_inv scope:SCOPE_SE
	s_and_saveexec_b32 s10, s5
	s_cbranch_execz .LBB48_27
; %bb.26:                               ;   in Loop: Header=BB48_15 Depth=1
	ds_load_2addr_b32 v[1:2], v10 offset1:16
	s_wait_dscnt 0x0
	v_add_nc_u32_e32 v1, v2, v1
	ds_store_b32 v10, v1
.LBB48_27:                              ;   in Loop: Header=BB48_15 Depth=1
	;; [unrolled: 14-line block ×5, first 2 shown]
	s_wait_alu 0xfffe
	s_or_b32 exec_lo, exec_lo, s10
	s_wait_loadcnt_dscnt 0x0
	s_barrier_signal -1
	s_barrier_wait -1
	global_inv scope:SCOPE_SE
	s_and_saveexec_b32 s10, s9
	s_cbranch_execz .LBB48_35
; %bb.34:                               ;   in Loop: Header=BB48_15 Depth=1
	ds_load_b64 v[1:2], v7
	s_wait_dscnt 0x0
	v_add_nc_u32_e32 v1, v2, v1
	ds_store_b32 v7, v1
.LBB48_35:                              ;   in Loop: Header=BB48_15 Depth=1
	s_wait_alu 0xfffe
	s_or_b32 exec_lo, exec_lo, s10
	s_wait_loadcnt_dscnt 0x0
	s_barrier_signal -1
	s_barrier_wait -1
	global_inv scope:SCOPE_SE
	s_and_saveexec_b32 s10, s9
	s_cbranch_execz .LBB48_14
; %bb.36:                               ;   in Loop: Header=BB48_15 Depth=1
	ds_load_b32 v1, v7
	s_and_not1_b32 vcc_lo, exec_lo, s11
	s_wait_alu 0xfffe
	s_cbranch_vccnz .LBB48_13
; %bb.37:                               ;   in Loop: Header=BB48_15 Depth=1
	s_lshl_b64 s[42:43], s[40:41], 2
	s_wait_alu 0xfffe
	s_add_nc_u64 s[42:43], s[24:25], s[42:43]
	global_load_b32 v2, v7, s[42:43]
	s_wait_loadcnt 0x0
	v_mul_lo_u32 v2, v2, s33
	s_wait_dscnt 0x0
	s_delay_alu instid0(VALU_DEP_1)
	v_add_nc_u32_e32 v1, v2, v1
	s_branch .LBB48_13
.LBB48_38:
	s_mov_b32 s2, 0
.LBB48_39:
	s_wait_alu 0xfffe
	s_and_not1_b32 vcc_lo, exec_lo, s2
	s_wait_alu 0xfffe
	s_cbranch_vccnz .LBB48_74
; %bb.40:
	s_load_b64 s[6:7], s[0:1], 0x18
	v_mov_b32_e32 v1, 0
	v_or_b32_e32 v2, s26, v0
	s_sub_co_i32 s8, s36, s26
	s_mov_b32 s2, exec_lo
	s_wait_kmcnt 0x0
	s_add_nc_u64 s[4:5], s[6:7], s[38:39]
	global_load_b32 v7, v1, s[4:5]
	v_cmpx_eq_u32_e32 0, v2
	s_cbranch_execz .LBB48_44
; %bb.41:
	v_mov_b32_e32 v1, 0
	s_lshl_b64 s[10:11], s[20:21], 2
	s_mov_b32 s3, exec_lo
	s_wait_alu 0xfffe
	s_add_nc_u64 s[10:11], s[24:25], s[10:11]
	v_mbcnt_lo_u32_b32 v3, s3, 0
	global_load_b32 v2, v1, s[10:11]
	s_add_co_i32 s10, s33, -1
	s_mov_b32 s11, exec_lo
	s_wait_loadcnt 0x0
	s_wait_storecnt 0x0
	global_inv scope:SCOPE_DEV
	v_cmpx_eq_u32_e32 0, v3
	s_cbranch_execz .LBB48_43
; %bb.42:
	s_bcnt1_i32_b32 s3, s3
	s_ashr_i32 s9, s8, 31
	s_wait_alu 0xfffe
	s_and_b32 s3, s3, 1
	s_lshl_b64 s[36:37], s[8:9], 2
	s_wait_alu 0xfffe
	v_mov_b32_e32 v3, s3
	s_add_nc_u64 s[36:37], s[6:7], s[36:37]
	global_atomic_xor_b32 v1, v3, s[36:37] scope:SCOPE_DEV
.LBB48_43:
	s_wait_alu 0xfffe
	s_or_b32 exec_lo, exec_lo, s11
	v_mul_lo_u32 v1, v2, s10
.LBB48_44:
	s_wait_alu 0xfffe
	s_or_b32 exec_lo, exec_lo, s2
	s_load_b64 s[2:3], s[28:29], 0x8
	s_ashr_i32 s27, s26, 31
	s_mov_b32 s35, 0
	s_wait_alu 0xfffe
	s_mul_u64 s[10:11], s[26:27], 0xc00
	s_sub_nc_u64 s[36:37], s[30:31], s[34:35]
	s_wait_alu 0xfffe
	s_add_nc_u64 s[10:11], s[36:37], s[10:11]
	s_wait_alu 0xfffe
	v_add_co_u32 v3, s9, s10, v0
	s_delay_alu instid0(VALU_DEP_1)
	v_add_co_ci_u32_e64 v4, null, s11, 0, s9
	s_mov_b32 s9, exec_lo
	s_wait_kmcnt 0x0
	s_sub_nc_u64 s[2:3], s[2:3], s[34:35]
	s_wait_alu 0xfffe
	v_cmpx_gt_i64_e64 s[2:3], v[3:4]
	s_cbranch_execz .LBB48_48
; %bb.45:
	v_lshlrev_b64_e32 v[5:6], 2, v[3:4]
	s_add_nc_u64 s[10:11], s[10:11], 0xc00
	s_wait_alu 0xfffe
	v_cmp_lt_i64_e64 s27, s[10:11], s[2:3]
	s_delay_alu instid0(VALU_DEP_2)
	v_add_co_u32 v5, vcc_lo, s14, v5
	s_wait_alu 0xfffd
	v_add_co_ci_u32_e64 v6, null, s15, v6, vcc_lo
	s_and_b32 s27, s27, exec_lo
	s_cselect_b32 s11, s11, s3
	s_cselect_b32 s10, s10, s2
.LBB48_46:                              ; =>This Inner Loop Header: Depth=1
	global_load_b32 v2, v[5:6], off
	v_add_co_u32 v8, vcc_lo, s16, v3
	s_wait_alu 0xfffd
	v_add_co_ci_u32_e64 v9, null, s17, v4, vcc_lo
	v_add_co_u32 v5, s2, 0x400, v5
	s_wait_alu 0xf1ff
	v_add_co_ci_u32_e64 v6, null, 0, v6, s2
	global_load_i8 v10, v[8:9], off
	s_wait_loadcnt 0x1
	v_subrev_nc_u32_e32 v2, s34, v2
	s_delay_alu instid0(VALU_DEP_1) | instskip(SKIP_2) | instid1(VALU_DEP_2)
	v_ashrrev_i32_e32 v9, 31, v2
	v_add_co_u32 v8, vcc_lo, s18, v2
	s_wait_alu 0xfffd
	v_add_co_ci_u32_e64 v9, null, s19, v9, vcc_lo
	v_add_co_u32 v3, vcc_lo, 0x100, v3
	s_wait_alu 0xfffd
	v_add_co_ci_u32_e64 v4, null, 0, v4, vcc_lo
	global_load_i8 v2, v[8:9], off
	s_wait_loadcnt 0x1
	v_mul_lo_u32 v8, s44, v10
	s_wait_alu 0xfffe
	v_cmp_le_i64_e32 vcc_lo, s[10:11], v[3:4]
	s_or_b32 s35, vcc_lo, s35
	s_wait_loadcnt 0x0
	s_delay_alu instid0(VALU_DEP_2)
	v_mad_co_u64_u32 v[1:2], null, v8, v2, v[1:2]
	s_wait_alu 0xfffe
	s_and_not1_b32 exec_lo, exec_lo, s35
	s_cbranch_execnz .LBB48_46
; %bb.47:
	s_or_b32 exec_lo, exec_lo, s35
.LBB48_48:
	s_delay_alu instid0(SALU_CYCLE_1)
	s_or_b32 exec_lo, exec_lo, s9
	v_lshlrev_b32_e32 v2, 2, v0
	s_mov_b32 s2, exec_lo
	ds_store_b32 v2, v1
	s_wait_storecnt 0x0
	s_wait_loadcnt_dscnt 0x0
	s_barrier_signal -1
	s_barrier_wait -1
	global_inv scope:SCOPE_SE
	v_cmpx_gt_u32_e32 0x80, v0
	s_cbranch_execz .LBB48_50
; %bb.49:
	ds_load_2addr_stride64_b32 v[3:4], v2 offset1:2
	s_wait_dscnt 0x0
	v_add_nc_u32_e32 v1, v4, v3
	ds_store_b32 v2, v1
.LBB48_50:
	s_wait_alu 0xfffe
	s_or_b32 exec_lo, exec_lo, s2
	s_delay_alu instid0(SALU_CYCLE_1)
	s_mov_b32 s2, exec_lo
	s_wait_loadcnt_dscnt 0x0
	s_barrier_signal -1
	s_barrier_wait -1
	global_inv scope:SCOPE_SE
	v_cmpx_gt_u32_e32 64, v0
	s_cbranch_execz .LBB48_52
; %bb.51:
	ds_load_2addr_stride64_b32 v[3:4], v2 offset1:1
	s_wait_dscnt 0x0
	v_add_nc_u32_e32 v1, v4, v3
	ds_store_b32 v2, v1
.LBB48_52:
	s_wait_alu 0xfffe
	s_or_b32 exec_lo, exec_lo, s2
	s_delay_alu instid0(SALU_CYCLE_1)
	s_mov_b32 s2, exec_lo
	s_wait_loadcnt_dscnt 0x0
	s_barrier_signal -1
	s_barrier_wait -1
	global_inv scope:SCOPE_SE
	v_cmpx_gt_u32_e32 32, v0
	s_cbranch_execz .LBB48_54
; %bb.53:
	ds_load_2addr_b32 v[3:4], v2 offset1:32
	s_wait_dscnt 0x0
	v_add_nc_u32_e32 v1, v4, v3
	ds_store_b32 v2, v1
.LBB48_54:
	s_wait_alu 0xfffe
	s_or_b32 exec_lo, exec_lo, s2
	s_delay_alu instid0(SALU_CYCLE_1)
	s_mov_b32 s2, exec_lo
	s_wait_loadcnt_dscnt 0x0
	s_barrier_signal -1
	s_barrier_wait -1
	global_inv scope:SCOPE_SE
	v_cmpx_gt_u32_e32 16, v0
	s_cbranch_execz .LBB48_56
; %bb.55:
	ds_load_2addr_b32 v[3:4], v2 offset1:16
	s_wait_dscnt 0x0
	v_add_nc_u32_e32 v1, v4, v3
	ds_store_b32 v2, v1
.LBB48_56:
	;; [unrolled: 16-line block ×5, first 2 shown]
	s_wait_alu 0xfffe
	s_or_b32 exec_lo, exec_lo, s2
	v_cmp_eq_u32_e32 vcc_lo, 0, v0
	s_wait_loadcnt_dscnt 0x0
	s_barrier_signal -1
	s_barrier_wait -1
	global_inv scope:SCOPE_SE
	s_and_saveexec_b32 s2, vcc_lo
	s_cbranch_execz .LBB48_64
; %bb.63:
	v_mov_b32_e32 v3, 0
	ds_load_b64 v[1:2], v3
	s_wait_dscnt 0x0
	v_add_nc_u32_e32 v1, v2, v1
	ds_store_b32 v3, v1
.LBB48_64:
	s_wait_alu 0xfffe
	s_or_b32 exec_lo, exec_lo, s2
	s_wait_loadcnt_dscnt 0x0
	s_barrier_signal -1
	s_barrier_wait -1
	global_inv scope:SCOPE_SE
	s_and_saveexec_b32 s10, vcc_lo
	s_cbranch_execz .LBB48_73
; %bb.65:
	s_cmp_eq_u32 s26, 0
	s_cbranch_scc1 .LBB48_71
; %bb.66:
	s_ashr_i32 s9, s8, 31
	v_mov_b32_e32 v1, 0
	s_wait_alu 0xfffe
	s_lshl_b64 s[2:3], s[8:9], 2
	s_wait_alu 0xfffe
	s_add_nc_u64 s[2:3], s[6:7], s[2:3]
	s_branch .LBB48_68
.LBB48_67:                              ;   in Loop: Header=BB48_68 Depth=1
	s_wait_alu 0xfffe
	s_or_b32 exec_lo, exec_lo, s6
	s_wait_loadcnt 0x0
	v_readfirstlane_b32 s6, v2
	s_wait_alu 0xf1ff
	s_delay_alu instid0(VALU_DEP_1)
	v_cmp_eq_u32_e32 vcc_lo, s6, v7
	s_cbranch_vccz .LBB48_70
.LBB48_68:                              ; =>This Inner Loop Header: Depth=1
	v_mbcnt_lo_u32_b32 v2, exec_lo, 0
	s_delay_alu instid0(VALU_DEP_1)
	v_cmp_eq_u32_e32 vcc_lo, 0, v2
                                        ; implicit-def: $vgpr2
	s_and_saveexec_b32 s6, vcc_lo
	s_cbranch_execz .LBB48_67
; %bb.69:                               ;   in Loop: Header=BB48_68 Depth=1
	global_load_b32 v2, v1, s[2:3] scope:SCOPE_DEV
	s_branch .LBB48_67
.LBB48_70:
	v_mov_b32_e32 v1, 0
	global_load_u16 v2, v1, s[4:5]
	s_wait_loadcnt 0x0
	v_xor_b32_e32 v2, 1, v2
	global_store_b16 v1, v2, s[4:5]
.LBB48_71:
	s_mov_b32 s2, exec_lo
	s_wait_alu 0xfffe
	v_mbcnt_lo_u32_b32 v1, s2, 0
	s_delay_alu instid0(VALU_DEP_1)
	v_cmp_eq_u32_e32 vcc_lo, 0, v1
	s_and_b32 s3, exec_lo, vcc_lo
	s_wait_alu 0xfffe
	s_mov_b32 exec_lo, s3
	s_cbranch_execz .LBB48_73
; %bb.72:
	v_mov_b32_e32 v1, 0
	s_bcnt1_i32_b32 s2, s2
	ds_load_b32 v2, v1
	s_wait_dscnt 0x0
	s_wait_alu 0xfffe
	v_mul_lo_u32 v2, v2, s2
	s_lshl_b64 s[2:3], s[20:21], 2
	s_wait_alu 0xfffe
	s_add_nc_u64 s[2:3], s[24:25], s[2:3]
	global_atomic_add_u32 v1, v2, s[2:3] scope:SCOPE_DEV
.LBB48_73:
	s_wait_alu 0xfffe
	s_or_b32 exec_lo, exec_lo, s10
.LBB48_74:
	s_mov_b32 s2, 0
.LBB48_75:
	s_wait_alu 0xfffe
	s_and_not1_b32 vcc_lo, exec_lo, s2
	s_wait_alu 0xfffe
	s_cbranch_vccnz .LBB48_119
; %bb.76:
	s_load_b64 s[0:1], s[0:1], 0x8
	v_sub_co_u32 v1, s2, v0, s34
	s_wait_alu 0xf1ff
	v_sub_co_ci_u32_e64 v2, null, 0, 0, s2
	s_mov_b32 s35, 0
	s_wait_kmcnt 0x0
	v_add_co_u32 v1, vcc_lo, s30, v1
	s_wait_alu 0xfffd
	v_add_co_ci_u32_e64 v2, null, s31, v2, vcc_lo
	s_delay_alu instid0(VALU_DEP_2) | instskip(SKIP_1) | instid1(VALU_DEP_2)
	v_add_co_u32 v3, vcc_lo, 0x300, v1
	s_wait_alu 0xfffd
	v_add_co_ci_u32_e64 v4, null, 0, v2, vcc_lo
	s_delay_alu instid0(VALU_DEP_1)
	v_cmp_le_i64_e32 vcc_lo, s[0:1], v[3:4]
	s_and_saveexec_b32 s0, vcc_lo
	s_wait_alu 0xfffe
	s_xor_b32 s1, exec_lo, s0
	s_cbranch_execz .LBB48_81
; %bb.77:
	s_lshl_b64 s[2:3], s[22:23], 3
	s_mov_b32 s4, exec_lo
	s_wait_alu 0xfffe
	s_add_nc_u64 s[2:3], s[12:13], s[2:3]
	s_load_b64 s[2:3], s[2:3], 0x0
	s_wait_kmcnt 0x0
	s_sub_nc_u64 s[2:3], s[2:3], s[34:35]
	s_wait_alu 0xfffe
	v_cmpx_gt_i64_e64 s[2:3], v[1:2]
	s_cbranch_execz .LBB48_80
; %bb.78:
	v_lshlrev_b64_e32 v[3:4], 2, v[1:2]
	v_lshlrev_b32_e32 v5, 2, v0
	s_mov_b32 s5, 0
	s_delay_alu instid0(VALU_DEP_2) | instskip(SKIP_1) | instid1(VALU_DEP_3)
	v_add_co_u32 v3, vcc_lo, s14, v3
	s_wait_alu 0xfffd
	v_add_co_ci_u32_e64 v4, null, s15, v4, vcc_lo
.LBB48_79:                              ; =>This Inner Loop Header: Depth=1
	global_load_b32 v7, v[3:4], off
	v_add_co_u32 v6, vcc_lo, s16, v1
	s_wait_loadcnt 0x0
	v_subrev_nc_u32_e32 v8, s34, v7
	s_wait_alu 0xfffd
	v_add_co_ci_u32_e64 v7, null, s17, v2, vcc_lo
	global_load_i8 v9, v[6:7], off
	v_ashrrev_i32_e32 v7, 31, v8
	v_add_co_u32 v6, vcc_lo, s18, v8
	s_wait_alu 0xfffd
	s_delay_alu instid0(VALU_DEP_2)
	v_add_co_ci_u32_e64 v7, null, s19, v7, vcc_lo
	v_add_co_u32 v1, vcc_lo, 0x100, v1
	s_wait_alu 0xfffd
	v_add_co_ci_u32_e64 v2, null, 0, v2, vcc_lo
	global_load_i8 v6, v[6:7], off
	v_add_co_u32 v3, vcc_lo, 0x400, v3
	v_cmp_le_i64_e64 s0, s[2:3], v[1:2]
	s_wait_alu 0xfffd
	v_add_co_ci_u32_e64 v4, null, 0, v4, vcc_lo
	s_or_b32 s5, s0, s5
	s_wait_loadcnt 0x1
	v_mul_lo_u32 v7, s44, v9
	s_wait_loadcnt 0x0
	s_delay_alu instid0(VALU_DEP_1)
	v_mul_lo_u32 v6, v7, v6
	ds_store_b32 v5, v6
	v_add_nc_u32_e32 v5, 0x400, v5
	s_and_not1_b32 exec_lo, exec_lo, s5
	s_cbranch_execnz .LBB48_79
.LBB48_80:
	s_or_b32 exec_lo, exec_lo, s4
                                        ; implicit-def: $vgpr1
.LBB48_81:
	s_wait_alu 0xfffe
	s_or_saveexec_b32 s0, s1
	v_lshlrev_b32_e32 v9, 2, v0
	s_wait_alu 0xfffe
	s_xor_b32 exec_lo, exec_lo, s0
	s_cbranch_execz .LBB48_83
; %bb.82:
	v_lshlrev_b64_e32 v[3:4], 2, v[1:2]
	s_delay_alu instid0(VALU_DEP_1) | instskip(SKIP_1) | instid1(VALU_DEP_2)
	v_add_co_u32 v3, vcc_lo, s14, v3
	s_wait_alu 0xfffd
	v_add_co_ci_u32_e64 v4, null, s15, v4, vcc_lo
	v_add_co_u32 v1, vcc_lo, s16, v1
	s_wait_alu 0xfffd
	v_add_co_ci_u32_e64 v2, null, s17, v2, vcc_lo
	s_clause 0x3
	global_load_b32 v5, v[3:4], off
	global_load_b32 v6, v[3:4], off offset:1024
	global_load_b32 v7, v[3:4], off offset:2048
	;; [unrolled: 1-line block ×3, first 2 shown]
	s_clause 0x3
	global_load_i8 v10, v[1:2], off
	global_load_i8 v11, v[1:2], off offset:256
	global_load_i8 v12, v[1:2], off offset:512
	;; [unrolled: 1-line block ×3, first 2 shown]
	s_wait_loadcnt 0x7
	v_subrev_nc_u32_e32 v4, s34, v5
	s_wait_loadcnt 0x6
	v_subrev_nc_u32_e32 v5, s34, v6
	;; [unrolled: 2-line block ×4, first 2 shown]
	v_ashrrev_i32_e32 v2, 31, v4
	v_ashrrev_i32_e32 v8, 31, v5
	v_add_co_u32 v1, vcc_lo, s18, v4
	v_ashrrev_i32_e32 v14, 31, v6
	s_wait_alu 0xfffd
	v_add_co_ci_u32_e64 v2, null, s19, v2, vcc_lo
	v_add_co_u32 v3, vcc_lo, s18, v5
	v_ashrrev_i32_e32 v15, 31, v7
	s_wait_alu 0xfffd
	v_add_co_ci_u32_e64 v4, null, s19, v8, vcc_lo
	v_add_co_u32 v5, vcc_lo, s18, v6
	s_wait_alu 0xfffd
	v_add_co_ci_u32_e64 v6, null, s19, v14, vcc_lo
	v_add_co_u32 v7, vcc_lo, s18, v7
	s_wait_alu 0xfffd
	v_add_co_ci_u32_e64 v8, null, s19, v15, vcc_lo
	s_clause 0x3
	global_load_i8 v1, v[1:2], off
	global_load_i8 v2, v[3:4], off
	;; [unrolled: 1-line block ×4, first 2 shown]
	s_wait_loadcnt 0x7
	v_mul_lo_u32 v5, s44, v10
	s_wait_loadcnt 0x6
	v_mul_lo_u32 v6, s44, v11
	;; [unrolled: 2-line block ×8, first 2 shown]
	ds_store_2addr_stride64_b32 v9, v1, v2 offset1:4
	ds_store_2addr_stride64_b32 v9, v3, v4 offset0:8 offset1:12
.LBB48_83:
	s_or_b32 exec_lo, exec_lo, s0
	s_cmp_lt_i32 s26, 2
	s_mov_b32 s0, -1
	s_wait_storecnt 0x0
	s_wait_loadcnt_dscnt 0x0
	s_barrier_signal -1
	s_barrier_wait -1
	global_inv scope:SCOPE_SE
	s_cbranch_scc0 .LBB48_94
; %bb.84:
	v_add_co_u32 v5, s0, s20, v0
	s_wait_alu 0xf1fe
	v_add_co_ci_u32_e64 v6, null, s21, 0, s0
	s_mov_b32 s1, exec_lo
	v_cmpx_gt_i64_e64 s[22:23], v[5:6]
	s_cbranch_execz .LBB48_93
; %bb.85:
	s_cmp_lg_u32 s33, 0
	s_mov_b32 s3, 0
	s_cselect_b32 s2, -1, 0
	s_lshl_b32 s0, s30, 2
	s_wait_alu 0xfffe
	s_sub_co_i32 s4, 0, s0
	s_branch .LBB48_87
.LBB48_86:                              ;   in Loop: Header=BB48_87 Depth=1
	v_add_co_u32 v5, vcc_lo, 0x100, v5
	s_wait_alu 0xfffd
	v_add_co_ci_u32_e64 v6, null, 0, v6, vcc_lo
	v_add_co_u32 v3, s0, s24, v7
	s_wait_alu 0xf1ff
	v_add_co_ci_u32_e64 v4, null, s25, v8, s0
	s_delay_alu instid0(VALU_DEP_3)
	v_cmp_le_i64_e32 vcc_lo, s[22:23], v[5:6]
	global_store_b32 v[3:4], v2, off
	s_or_b32 s3, vcc_lo, s3
	s_wait_alu 0xfffe
	s_and_not1_b32 exec_lo, exec_lo, s3
	s_cbranch_execz .LBB48_93
.LBB48_87:                              ; =>This Loop Header: Depth=1
                                        ;     Child Loop BB48_89 Depth 2
	v_lshlrev_b64_e32 v[1:2], 3, v[5:6]
	s_mov_b32 s0, exec_lo
	s_delay_alu instid0(VALU_DEP_1) | instskip(SKIP_1) | instid1(VALU_DEP_2)
	v_add_co_u32 v1, vcc_lo, s12, v1
	s_wait_alu 0xfffd
	v_add_co_ci_u32_e64 v2, null, s13, v2, vcc_lo
	global_load_b128 v[1:4], v[1:2], off
	s_wait_loadcnt 0x0
	v_mov_b32_e32 v2, 0
	v_subrev_nc_u32_e32 v4, s30, v1
	v_subrev_nc_u32_e32 v3, s30, v3
	s_delay_alu instid0(VALU_DEP_1)
	v_cmpx_lt_i32_e64 v4, v3
	s_cbranch_execz .LBB48_91
; %bb.88:                               ;   in Loop: Header=BB48_87 Depth=1
	v_lshl_add_u32 v1, v1, 2, s4
	v_mov_b32_e32 v2, 0
	s_mov_b32 s5, 0
.LBB48_89:                              ;   Parent Loop BB48_87 Depth=1
                                        ; =>  This Inner Loop Header: Depth=2
	ds_load_b32 v7, v1
	v_add_nc_u32_e32 v4, 1, v4
	v_add_nc_u32_e32 v1, 4, v1
	s_delay_alu instid0(VALU_DEP_2)
	v_cmp_ge_i32_e32 vcc_lo, v4, v3
	s_wait_alu 0xfffe
	s_or_b32 s5, vcc_lo, s5
	s_wait_dscnt 0x0
	v_add_nc_u32_e32 v2, v7, v2
	s_wait_alu 0xfffe
	s_and_not1_b32 exec_lo, exec_lo, s5
	s_cbranch_execnz .LBB48_89
; %bb.90:                               ;   in Loop: Header=BB48_87 Depth=1
	s_or_b32 exec_lo, exec_lo, s5
.LBB48_91:                              ;   in Loop: Header=BB48_87 Depth=1
	s_wait_alu 0xfffe
	s_or_b32 exec_lo, exec_lo, s0
	v_lshlrev_b64_e32 v[7:8], 2, v[5:6]
	s_and_b32 vcc_lo, exec_lo, s2
	s_wait_alu 0xfffe
	s_cbranch_vccz .LBB48_86
; %bb.92:                               ;   in Loop: Header=BB48_87 Depth=1
	s_delay_alu instid0(VALU_DEP_1)
	v_add_co_u32 v3, vcc_lo, s24, v7
	s_wait_alu 0xfffd
	v_add_co_ci_u32_e64 v4, null, s25, v8, vcc_lo
	global_load_b32 v1, v[3:4], off
	s_wait_loadcnt 0x0
	v_mad_co_u64_u32 v[2:3], null, v1, s33, v[2:3]
	s_branch .LBB48_86
.LBB48_93:
	s_wait_alu 0xfffe
	s_or_b32 exec_lo, exec_lo, s1
	s_mov_b32 s0, 0
.LBB48_94:
	s_wait_alu 0xfffe
	s_and_not1_b32 vcc_lo, exec_lo, s0
	s_wait_alu 0xfffe
	s_cbranch_vccnz .LBB48_119
; %bb.95:
	s_clz_i32_u32 s0, s26
	s_add_co_i32 s1, s26, -1
	s_wait_alu 0xfffe
	s_xor_b32 s0, s0, 31
	v_mov_b32_e32 v3, 0
	s_wait_alu 0xfffe
	v_lshrrev_b32_e32 v4, s0, v0
	v_and_b32_e32 v0, s1, v0
	s_mov_b32 s1, exec_lo
	s_delay_alu instid0(VALU_DEP_2) | instskip(SKIP_2) | instid1(VALU_DEP_1)
	v_add_co_u32 v1, s0, s20, v4
	s_wait_alu 0xf1ff
	v_add_co_ci_u32_e64 v2, null, s21, 0, s0
	v_cmp_le_i64_e32 vcc_lo, s[22:23], v[1:2]
	v_cmpx_gt_i64_e64 s[22:23], v[1:2]
	s_cbranch_execz .LBB48_101
; %bb.96:
	v_lshlrev_b32_e32 v3, 3, v4
	s_mov_b32 s2, exec_lo
	s_clause 0x1
	global_load_b32 v4, v3, s[28:29]
	global_load_b32 v3, v3, s[28:29] offset:8
	s_wait_loadcnt 0x1
	v_subrev_nc_u32_e32 v5, s30, v4
	s_wait_loadcnt 0x0
	v_subrev_nc_u32_e32 v4, s30, v3
	v_mov_b32_e32 v3, 0
	s_delay_alu instid0(VALU_DEP_3) | instskip(NEXT) | instid1(VALU_DEP_1)
	v_add_nc_u32_e32 v5, v0, v5
	v_cmpx_lt_i32_e64 v5, v4
	s_cbranch_execz .LBB48_100
; %bb.97:
	v_dual_mov_b32 v3, 0 :: v_dual_lshlrev_b32 v6, 2, v5
	s_lshl_b32 s4, s26, 2
	s_mov_b32 s3, 0
.LBB48_98:                              ; =>This Inner Loop Header: Depth=1
	ds_load_b32 v7, v6
	v_add_nc_u32_e32 v5, s26, v5
	s_wait_alu 0xfffe
	v_add_nc_u32_e32 v6, s4, v6
	s_delay_alu instid0(VALU_DEP_2)
	v_cmp_ge_i32_e64 s0, v5, v4
	s_or_b32 s3, s0, s3
	s_wait_dscnt 0x0
	v_add_nc_u32_e32 v3, v7, v3
	s_wait_alu 0xfffe
	s_and_not1_b32 exec_lo, exec_lo, s3
	s_cbranch_execnz .LBB48_98
; %bb.99:
	s_or_b32 exec_lo, exec_lo, s3
.LBB48_100:
	s_wait_alu 0xfffe
	s_or_b32 exec_lo, exec_lo, s2
.LBB48_101:
	s_wait_alu 0xfffe
	s_or_b32 exec_lo, exec_lo, s1
	s_cmp_lt_u32 s26, 0x81
	s_wait_loadcnt 0x0
	s_wait_storecnt 0x0
	s_barrier_signal -1
	s_barrier_wait -1
	global_inv scope:SCOPE_SE
	ds_store_b32 v9, v3
	s_wait_loadcnt_dscnt 0x0
	s_barrier_signal -1
	s_barrier_wait -1
	global_inv scope:SCOPE_SE
	s_cbranch_scc1 .LBB48_103
; %bb.102:
	ds_load_b32 v4, v9 offset:512
	s_wait_loadcnt_dscnt 0x0
	s_barrier_signal -1
	s_barrier_wait -1
	global_inv scope:SCOPE_SE
	v_add_nc_u32_e32 v3, v4, v3
	ds_store_b32 v9, v3
.LBB48_103:
	s_cmp_lt_u32 s26, 0x41
	s_wait_loadcnt_dscnt 0x0
	s_barrier_signal -1
	s_barrier_wait -1
	global_inv scope:SCOPE_SE
	s_cbranch_scc1 .LBB48_105
; %bb.104:
	ds_load_b32 v4, v9 offset:256
	s_wait_loadcnt_dscnt 0x0
	s_barrier_signal -1
	s_barrier_wait -1
	global_inv scope:SCOPE_SE
	v_add_nc_u32_e32 v3, v4, v3
	ds_store_b32 v9, v3
.LBB48_105:
	s_cmp_lt_u32 s26, 33
	;; [unrolled: 15-line block ×5, first 2 shown]
	s_wait_loadcnt_dscnt 0x0
	s_barrier_signal -1
	s_barrier_wait -1
	global_inv scope:SCOPE_SE
	s_cbranch_scc1 .LBB48_113
; %bb.112:
	ds_load_b32 v4, v9 offset:16
	s_wait_loadcnt_dscnt 0x0
	s_barrier_signal -1
	s_barrier_wait -1
	global_inv scope:SCOPE_SE
	v_add_nc_u32_e32 v3, v4, v3
	ds_store_b32 v9, v3
.LBB48_113:
	s_cmp_eq_u32 s26, 2
	s_wait_loadcnt_dscnt 0x0
	s_barrier_signal -1
	s_barrier_wait -1
	global_inv scope:SCOPE_SE
	s_cbranch_scc1 .LBB48_115
; %bb.114:
	ds_load_b32 v4, v9 offset:8
	s_wait_loadcnt_dscnt 0x0
	s_barrier_signal -1
	s_barrier_wait -1
	global_inv scope:SCOPE_SE
	v_add_nc_u32_e32 v3, v4, v3
	ds_store_b32 v9, v3
.LBB48_115:
	s_wait_loadcnt_dscnt 0x0
	s_barrier_signal -1
	s_barrier_wait -1
	global_inv scope:SCOPE_SE
	ds_load_b32 v4, v9 offset:4
	v_cmp_eq_u32_e64 s0, 0, v0
	s_xor_b32 s1, vcc_lo, -1
	s_wait_loadcnt_dscnt 0x0
	s_barrier_signal -1
	s_barrier_wait -1
	s_wait_alu 0xfffe
	s_and_b32 s0, s0, s1
	global_inv scope:SCOPE_SE
	v_add_nc_u32_e32 v0, v4, v3
	ds_store_b32 v9, v0
	s_wait_alu 0xfffe
	s_and_saveexec_b32 s1, s0
	s_cbranch_execz .LBB48_119
; %bb.116:
	v_lshlrev_b64_e32 v[2:3], 2, v[1:2]
	s_cmp_eq_u32 s33, 0
	s_cbranch_scc1 .LBB48_118
; %bb.117:
	s_delay_alu instid0(VALU_DEP_1) | instskip(SKIP_1) | instid1(VALU_DEP_2)
	v_add_co_u32 v4, vcc_lo, s24, v2
	s_wait_alu 0xfffd
	v_add_co_ci_u32_e64 v5, null, s25, v3, vcc_lo
	global_load_b32 v1, v[4:5], off
	s_wait_loadcnt 0x0
	v_mad_co_u64_u32 v[0:1], null, v1, s33, v[0:1]
.LBB48_118:
	s_delay_alu instid0(VALU_DEP_1) | instskip(SKIP_1) | instid1(VALU_DEP_2)
	v_add_co_u32 v1, vcc_lo, s24, v2
	s_wait_alu 0xfffd
	v_add_co_ci_u32_e64 v2, null, s25, v3, vcc_lo
	global_store_b32 v[1:2], v0, off
.LBB48_119:
	s_endpgm
	.section	.rodata,"a",@progbits
	.p2align	6, 0x0
	.amdhsa_kernel _ZN9rocsparseL22csrmvn_adaptive_kernelIliaaiiEEvbT_PKS1_PjPKT0_NS_24const_host_device_scalarIT4_EES3_S7_PKT1_PKT2_SA_PT3_21rocsparse_index_base_b
		.amdhsa_group_segment_fixed_size 4096
		.amdhsa_private_segment_fixed_size 0
		.amdhsa_kernarg_size 104
		.amdhsa_user_sgpr_count 2
		.amdhsa_user_sgpr_dispatch_ptr 0
		.amdhsa_user_sgpr_queue_ptr 0
		.amdhsa_user_sgpr_kernarg_segment_ptr 1
		.amdhsa_user_sgpr_dispatch_id 0
		.amdhsa_user_sgpr_private_segment_size 0
		.amdhsa_wavefront_size32 1
		.amdhsa_uses_dynamic_stack 0
		.amdhsa_enable_private_segment 0
		.amdhsa_system_sgpr_workgroup_id_x 1
		.amdhsa_system_sgpr_workgroup_id_y 0
		.amdhsa_system_sgpr_workgroup_id_z 0
		.amdhsa_system_sgpr_workgroup_info 0
		.amdhsa_system_vgpr_workitem_id 0
		.amdhsa_next_free_vgpr 16
		.amdhsa_next_free_sgpr 52
		.amdhsa_reserve_vcc 1
		.amdhsa_float_round_mode_32 0
		.amdhsa_float_round_mode_16_64 0
		.amdhsa_float_denorm_mode_32 3
		.amdhsa_float_denorm_mode_16_64 3
		.amdhsa_fp16_overflow 0
		.amdhsa_workgroup_processor_mode 1
		.amdhsa_memory_ordered 1
		.amdhsa_forward_progress 1
		.amdhsa_inst_pref_size 42
		.amdhsa_round_robin_scheduling 0
		.amdhsa_exception_fp_ieee_invalid_op 0
		.amdhsa_exception_fp_denorm_src 0
		.amdhsa_exception_fp_ieee_div_zero 0
		.amdhsa_exception_fp_ieee_overflow 0
		.amdhsa_exception_fp_ieee_underflow 0
		.amdhsa_exception_fp_ieee_inexact 0
		.amdhsa_exception_int_div_zero 0
	.end_amdhsa_kernel
	.section	.text._ZN9rocsparseL22csrmvn_adaptive_kernelIliaaiiEEvbT_PKS1_PjPKT0_NS_24const_host_device_scalarIT4_EES3_S7_PKT1_PKT2_SA_PT3_21rocsparse_index_base_b,"axG",@progbits,_ZN9rocsparseL22csrmvn_adaptive_kernelIliaaiiEEvbT_PKS1_PjPKT0_NS_24const_host_device_scalarIT4_EES3_S7_PKT1_PKT2_SA_PT3_21rocsparse_index_base_b,comdat
.Lfunc_end48:
	.size	_ZN9rocsparseL22csrmvn_adaptive_kernelIliaaiiEEvbT_PKS1_PjPKT0_NS_24const_host_device_scalarIT4_EES3_S7_PKT1_PKT2_SA_PT3_21rocsparse_index_base_b, .Lfunc_end48-_ZN9rocsparseL22csrmvn_adaptive_kernelIliaaiiEEvbT_PKS1_PjPKT0_NS_24const_host_device_scalarIT4_EES3_S7_PKT1_PKT2_SA_PT3_21rocsparse_index_base_b
                                        ; -- End function
	.set _ZN9rocsparseL22csrmvn_adaptive_kernelIliaaiiEEvbT_PKS1_PjPKT0_NS_24const_host_device_scalarIT4_EES3_S7_PKT1_PKT2_SA_PT3_21rocsparse_index_base_b.num_vgpr, 16
	.set _ZN9rocsparseL22csrmvn_adaptive_kernelIliaaiiEEvbT_PKS1_PjPKT0_NS_24const_host_device_scalarIT4_EES3_S7_PKT1_PKT2_SA_PT3_21rocsparse_index_base_b.num_agpr, 0
	.set _ZN9rocsparseL22csrmvn_adaptive_kernelIliaaiiEEvbT_PKS1_PjPKT0_NS_24const_host_device_scalarIT4_EES3_S7_PKT1_PKT2_SA_PT3_21rocsparse_index_base_b.numbered_sgpr, 52
	.set _ZN9rocsparseL22csrmvn_adaptive_kernelIliaaiiEEvbT_PKS1_PjPKT0_NS_24const_host_device_scalarIT4_EES3_S7_PKT1_PKT2_SA_PT3_21rocsparse_index_base_b.num_named_barrier, 0
	.set _ZN9rocsparseL22csrmvn_adaptive_kernelIliaaiiEEvbT_PKS1_PjPKT0_NS_24const_host_device_scalarIT4_EES3_S7_PKT1_PKT2_SA_PT3_21rocsparse_index_base_b.private_seg_size, 0
	.set _ZN9rocsparseL22csrmvn_adaptive_kernelIliaaiiEEvbT_PKS1_PjPKT0_NS_24const_host_device_scalarIT4_EES3_S7_PKT1_PKT2_SA_PT3_21rocsparse_index_base_b.uses_vcc, 1
	.set _ZN9rocsparseL22csrmvn_adaptive_kernelIliaaiiEEvbT_PKS1_PjPKT0_NS_24const_host_device_scalarIT4_EES3_S7_PKT1_PKT2_SA_PT3_21rocsparse_index_base_b.uses_flat_scratch, 0
	.set _ZN9rocsparseL22csrmvn_adaptive_kernelIliaaiiEEvbT_PKS1_PjPKT0_NS_24const_host_device_scalarIT4_EES3_S7_PKT1_PKT2_SA_PT3_21rocsparse_index_base_b.has_dyn_sized_stack, 0
	.set _ZN9rocsparseL22csrmvn_adaptive_kernelIliaaiiEEvbT_PKS1_PjPKT0_NS_24const_host_device_scalarIT4_EES3_S7_PKT1_PKT2_SA_PT3_21rocsparse_index_base_b.has_recursion, 0
	.set _ZN9rocsparseL22csrmvn_adaptive_kernelIliaaiiEEvbT_PKS1_PjPKT0_NS_24const_host_device_scalarIT4_EES3_S7_PKT1_PKT2_SA_PT3_21rocsparse_index_base_b.has_indirect_call, 0
	.section	.AMDGPU.csdata,"",@progbits
; Kernel info:
; codeLenInByte = 5260
; TotalNumSgprs: 54
; NumVgprs: 16
; ScratchSize: 0
; MemoryBound: 0
; FloatMode: 240
; IeeeMode: 1
; LDSByteSize: 4096 bytes/workgroup (compile time only)
; SGPRBlocks: 0
; VGPRBlocks: 1
; NumSGPRsForWavesPerEU: 54
; NumVGPRsForWavesPerEU: 16
; Occupancy: 16
; WaveLimiterHint : 1
; COMPUTE_PGM_RSRC2:SCRATCH_EN: 0
; COMPUTE_PGM_RSRC2:USER_SGPR: 2
; COMPUTE_PGM_RSRC2:TRAP_HANDLER: 0
; COMPUTE_PGM_RSRC2:TGID_X_EN: 1
; COMPUTE_PGM_RSRC2:TGID_Y_EN: 0
; COMPUTE_PGM_RSRC2:TGID_Z_EN: 0
; COMPUTE_PGM_RSRC2:TIDIG_COMP_CNT: 0
	.section	.text._ZN9rocsparseL27csrmvn_symm_adaptive_kernelIliaaiiEEvbT_S1_PKS1_NS_24const_host_device_scalarIT4_EES3_PKT0_PKT1_PKT2_S6_PT3_21rocsparse_index_base_b,"axG",@progbits,_ZN9rocsparseL27csrmvn_symm_adaptive_kernelIliaaiiEEvbT_S1_PKS1_NS_24const_host_device_scalarIT4_EES3_PKT0_PKT1_PKT2_S6_PT3_21rocsparse_index_base_b,comdat
	.globl	_ZN9rocsparseL27csrmvn_symm_adaptive_kernelIliaaiiEEvbT_S1_PKS1_NS_24const_host_device_scalarIT4_EES3_PKT0_PKT1_PKT2_S6_PT3_21rocsparse_index_base_b ; -- Begin function _ZN9rocsparseL27csrmvn_symm_adaptive_kernelIliaaiiEEvbT_S1_PKS1_NS_24const_host_device_scalarIT4_EES3_PKT0_PKT1_PKT2_S6_PT3_21rocsparse_index_base_b
	.p2align	8
	.type	_ZN9rocsparseL27csrmvn_symm_adaptive_kernelIliaaiiEEvbT_S1_PKS1_NS_24const_host_device_scalarIT4_EES3_PKT0_PKT1_PKT2_S6_PT3_21rocsparse_index_base_b,@function
_ZN9rocsparseL27csrmvn_symm_adaptive_kernelIliaaiiEEvbT_S1_PKS1_NS_24const_host_device_scalarIT4_EES3_PKT0_PKT1_PKT2_S6_PT3_21rocsparse_index_base_b: ; @_ZN9rocsparseL27csrmvn_symm_adaptive_kernelIliaaiiEEvbT_S1_PKS1_NS_24const_host_device_scalarIT4_EES3_PKT0_PKT1_PKT2_S6_PT3_21rocsparse_index_base_b
; %bb.0:
	s_clause 0x1
	s_load_b64 s[24:25], s[0:1], 0x58
	s_load_b64 s[4:5], s[0:1], 0x20
	s_mov_b32 s7, -1
                                        ; implicit-def: $sgpr33
	s_wait_kmcnt 0x0
	s_bitcmp1_b32 s25, 0
	s_cselect_b32 s2, -1, 0
	s_delay_alu instid0(SALU_CYCLE_1) | instskip(NEXT) | instid1(SALU_CYCLE_1)
	s_xor_b32 s6, s2, -1
	s_and_b32 vcc_lo, exec_lo, s6
	s_cbranch_vccnz .LBB49_4
; %bb.1:
	s_load_b64 s[2:3], s[0:1], 0x48
	s_and_not1_b32 vcc_lo, exec_lo, s7
	s_cbranch_vccz .LBB49_5
.LBB49_2:
	s_and_b32 vcc_lo, exec_lo, s6
	s_cbranch_vccz .LBB49_6
.LBB49_3:
	s_wait_kmcnt 0x0
	s_load_b32 s3, s[2:3], 0x0
	s_cbranch_execz .LBB49_7
	s_branch .LBB49_8
.LBB49_4:
	s_load_b32 s33, s[4:5], 0x0
	s_load_b64 s[2:3], s[0:1], 0x48
	s_cbranch_execnz .LBB49_2
.LBB49_5:
	s_wait_kmcnt 0x0
	s_mov_b32 s33, s4
	s_and_b32 vcc_lo, exec_lo, s6
	s_cbranch_vccnz .LBB49_3
.LBB49_6:
                                        ; implicit-def: $sgpr3
.LBB49_7:
	s_wait_kmcnt 0x0
	s_mov_b32 s3, s2
.LBB49_8:
	s_wait_kmcnt 0x0
	s_cmp_lg_u32 s33, 0
	s_cselect_b32 s2, -1, 0
	s_cmp_lg_u32 s3, 1
	s_cselect_b32 s3, -1, 0
	s_delay_alu instid0(SALU_CYCLE_1) | instskip(NEXT) | instid1(SALU_CYCLE_1)
	s_or_b32 s2, s2, s3
	s_and_not1_b32 vcc_lo, exec_lo, s2
	s_cbranch_vccnz .LBB49_141
; %bb.9:
	s_load_b64 s[4:5], s[0:1], 0x18
	s_mov_b32 s2, ttmp9
	s_ashr_i32 s3, ttmp9, 31
	v_dual_mov_b32 v1, 0 :: v_dual_lshlrev_b32 v16, 2, v0
	s_lshl_b64 s[2:3], s[2:3], 3
	ds_store_2addr_stride64_b32 v16, v1, v1 offset1:4
	ds_store_2addr_stride64_b32 v16, v1, v1 offset0:8 offset1:12
	s_wait_dscnt 0x0
	s_barrier_signal -1
	s_barrier_wait -1
	global_inv scope:SCOPE_SE
	s_wait_kmcnt 0x0
	s_add_nc_u64 s[2:3], s[4:5], s[2:3]
	s_load_b128 s[16:19], s[2:3], 0x0
	s_clause 0x1
	s_load_b256 s[8:15], s[0:1], 0x28
	s_load_b64 s[20:21], s[0:1], 0x50
	s_wait_kmcnt 0x0
	s_sub_nc_u64 s[22:23], s[18:19], s[16:17]
	s_delay_alu instid0(SALU_CYCLE_1)
	v_cmp_gt_i64_e64 s2, s[22:23], 2
	s_and_b32 vcc_lo, exec_lo, s2
	s_mov_b32 s2, -1
	s_cbranch_vccnz .LBB49_40
; %bb.10:
	v_cmp_le_i64_e64 s2, s[18:19], s[16:17]
	v_sub_co_u32 v5, s3, v0, s24
	s_delay_alu instid0(VALU_DEP_1)
	v_sub_co_ci_u32_e64 v6, null, 0, 0, s3
	s_mov_b32 s25, 0
	s_and_b32 vcc_lo, exec_lo, s2
	s_cbranch_vccnz .LBB49_30
; %bb.11:
	v_cmp_gt_u32_e64 s2, 0x100, v0
	v_cmp_gt_u32_e64 s3, 64, v0
	v_cmp_gt_u32_e64 s4, 16, v0
	v_cmp_gt_u32_e64 s5, 4, v0
	v_cmp_eq_u32_e64 s6, 0, v0
	v_mov_b32_e32 v7, 0
	s_mov_b64 s[26:27], s[16:17]
	s_branch .LBB49_13
.LBB49_12:                              ;   in Loop: Header=BB49_13 Depth=1
	s_wait_alu 0xfffe
	s_or_b32 exec_lo, exec_lo, s7
	s_add_nc_u64 s[26:27], s[26:27], 1
	s_wait_alu 0xfffe
	v_cmp_ge_i64_e64 s7, s[26:27], s[18:19]
	s_and_b32 vcc_lo, exec_lo, s7
	s_wait_alu 0xfffe
	s_cbranch_vccnz .LBB49_30
.LBB49_13:                              ; =>This Loop Header: Depth=1
                                        ;     Child Loop BB49_15 Depth 2
	s_lshl_b64 s[28:29], s[26:27], 3
	v_mov_b32_e32 v8, 0
	s_wait_alu 0xfffe
	s_add_nc_u64 s[28:29], s[8:9], s[28:29]
	s_load_b128 s[28:31], s[28:29], 0x0
	s_wait_kmcnt 0x0
	v_add_co_u32 v1, vcc_lo, s28, v5
	s_wait_alu 0xfffd
	v_add_co_ci_u32_e64 v2, null, s29, v6, vcc_lo
	s_sub_nc_u64 s[28:29], s[30:31], s[24:25]
	s_mov_b32 s30, exec_lo
	s_wait_alu 0xfffe
	v_cmpx_gt_i64_e64 s[28:29], v[1:2]
	s_cbranch_execz .LBB49_17
; %bb.14:                               ;   in Loop: Header=BB49_13 Depth=1
	v_lshlrev_b64_e32 v[3:4], 2, v[1:2]
	v_mov_b32_e32 v8, 0
	s_mov_b32 s31, 0
	s_delay_alu instid0(VALU_DEP_2) | instskip(SKIP_1) | instid1(VALU_DEP_3)
	v_add_co_u32 v3, vcc_lo, s10, v3
	s_wait_alu 0xfffd
	v_add_co_ci_u32_e64 v4, null, s11, v4, vcc_lo
.LBB49_15:                              ;   Parent Loop BB49_13 Depth=1
                                        ; =>  This Inner Loop Header: Depth=2
	global_load_b32 v9, v[3:4], off
	v_add_co_u32 v3, s7, 0x400, v3
	s_wait_alu 0xf1ff
	v_add_co_ci_u32_e64 v4, null, 0, v4, s7
	s_wait_loadcnt 0x0
	v_subrev_nc_u32_e32 v11, s24, v9
	v_add_co_u32 v9, vcc_lo, s12, v1
	s_wait_alu 0xfffd
	v_add_co_ci_u32_e64 v10, null, s13, v2, vcc_lo
	s_delay_alu instid0(VALU_DEP_3) | instskip(SKIP_2) | instid1(VALU_DEP_2)
	v_ashrrev_i32_e32 v12, 31, v11
	v_add_co_u32 v11, vcc_lo, s14, v11
	s_wait_alu 0xfffd
	v_add_co_ci_u32_e64 v12, null, s15, v12, vcc_lo
	v_add_co_u32 v1, vcc_lo, 0x100, v1
	global_load_i8 v9, v[9:10], off
	global_load_i8 v10, v[11:12], off
	s_wait_alu 0xfffd
	v_add_co_ci_u32_e64 v2, null, 0, v2, vcc_lo
	s_delay_alu instid0(VALU_DEP_1)
	v_cmp_le_i64_e32 vcc_lo, s[28:29], v[1:2]
	s_or_b32 s31, vcc_lo, s31
	s_wait_loadcnt 0x0
	v_mad_i32_i24 v8, v10, v9, v8
	s_and_not1_b32 exec_lo, exec_lo, s31
	s_cbranch_execnz .LBB49_15
; %bb.16:                               ;   in Loop: Header=BB49_13 Depth=1
	s_or_b32 exec_lo, exec_lo, s31
.LBB49_17:                              ;   in Loop: Header=BB49_13 Depth=1
	s_delay_alu instid0(SALU_CYCLE_1)
	s_or_b32 exec_lo, exec_lo, s30
	ds_store_b32 v16, v8
	s_wait_loadcnt_dscnt 0x0
	s_barrier_signal -1
	s_barrier_wait -1
	global_inv scope:SCOPE_SE
	s_and_saveexec_b32 s7, s2
	s_cbranch_execz .LBB49_19
; %bb.18:                               ;   in Loop: Header=BB49_13 Depth=1
	ds_load_2addr_stride64_b32 v[1:2], v16 offset1:4
	ds_load_2addr_stride64_b32 v[3:4], v16 offset0:8 offset1:12
	s_wait_dscnt 0x0
	v_add_nc_u32_e32 v2, v3, v2
	s_delay_alu instid0(VALU_DEP_1)
	v_add3_u32 v1, v2, v4, v1
	ds_store_b32 v16, v1
.LBB49_19:                              ;   in Loop: Header=BB49_13 Depth=1
	s_wait_alu 0xfffe
	s_or_b32 exec_lo, exec_lo, s7
	s_wait_loadcnt_dscnt 0x0
	s_barrier_signal -1
	s_barrier_wait -1
	global_inv scope:SCOPE_SE
	s_and_saveexec_b32 s7, s3
	s_cbranch_execz .LBB49_21
; %bb.20:                               ;   in Loop: Header=BB49_13 Depth=1
	ds_load_2addr_stride64_b32 v[1:2], v16 offset1:1
	ds_load_2addr_stride64_b32 v[3:4], v16 offset0:2 offset1:3
	s_wait_dscnt 0x0
	v_add_nc_u32_e32 v2, v3, v2
	s_delay_alu instid0(VALU_DEP_1)
	v_add3_u32 v1, v2, v4, v1
	ds_store_b32 v16, v1
.LBB49_21:                              ;   in Loop: Header=BB49_13 Depth=1
	s_wait_alu 0xfffe
	s_or_b32 exec_lo, exec_lo, s7
	s_wait_loadcnt_dscnt 0x0
	s_barrier_signal -1
	s_barrier_wait -1
	global_inv scope:SCOPE_SE
	s_and_saveexec_b32 s7, s4
	s_cbranch_execz .LBB49_23
; %bb.22:                               ;   in Loop: Header=BB49_13 Depth=1
	ds_load_2addr_b32 v[1:2], v16 offset1:16
	ds_load_2addr_b32 v[3:4], v16 offset0:32 offset1:48
	s_wait_dscnt 0x0
	v_add_nc_u32_e32 v2, v3, v2
	s_delay_alu instid0(VALU_DEP_1)
	v_add3_u32 v1, v2, v4, v1
	ds_store_b32 v16, v1
.LBB49_23:                              ;   in Loop: Header=BB49_13 Depth=1
	s_wait_alu 0xfffe
	s_or_b32 exec_lo, exec_lo, s7
	s_wait_loadcnt_dscnt 0x0
	s_barrier_signal -1
	s_barrier_wait -1
	global_inv scope:SCOPE_SE
	s_and_saveexec_b32 s7, s5
	s_cbranch_execz .LBB49_25
; %bb.24:                               ;   in Loop: Header=BB49_13 Depth=1
	ds_load_2addr_b32 v[1:2], v16 offset1:4
	ds_load_2addr_b32 v[3:4], v16 offset0:8 offset1:12
	s_wait_dscnt 0x0
	v_add_nc_u32_e32 v2, v3, v2
	s_delay_alu instid0(VALU_DEP_1)
	v_add3_u32 v1, v2, v4, v1
	ds_store_b32 v16, v1
.LBB49_25:                              ;   in Loop: Header=BB49_13 Depth=1
	s_wait_alu 0xfffe
	s_or_b32 exec_lo, exec_lo, s7
	s_wait_loadcnt_dscnt 0x0
	s_barrier_signal -1
	s_barrier_wait -1
	global_inv scope:SCOPE_SE
	s_and_saveexec_b32 s7, s6
	s_cbranch_execz .LBB49_27
; %bb.26:                               ;   in Loop: Header=BB49_13 Depth=1
	ds_load_2addr_b32 v[1:2], v7 offset0:1 offset1:2
	ds_load_b32 v3, v7 offset:12
	ds_load_b32 v4, v16
	s_wait_dscnt 0x2
	v_add_nc_u32_e32 v1, v2, v1
	s_wait_dscnt 0x0
	s_delay_alu instid0(VALU_DEP_1)
	v_add3_u32 v1, v1, v3, v4
	ds_store_b32 v16, v1
.LBB49_27:                              ;   in Loop: Header=BB49_13 Depth=1
	s_wait_alu 0xfffe
	s_or_b32 exec_lo, exec_lo, s7
	s_wait_loadcnt_dscnt 0x0
	s_barrier_signal -1
	s_barrier_wait -1
	global_inv scope:SCOPE_SE
	s_and_saveexec_b32 s7, s6
	s_cbranch_execz .LBB49_12
; %bb.28:                               ;   in Loop: Header=BB49_13 Depth=1
	s_mov_b32 s28, exec_lo
	s_wait_alu 0xfffe
	v_mbcnt_lo_u32_b32 v1, s28, 0
	s_delay_alu instid0(VALU_DEP_1)
	v_cmp_eq_u32_e32 vcc_lo, 0, v1
	s_and_b32 s29, exec_lo, vcc_lo
	s_wait_alu 0xfffe
	s_mov_b32 exec_lo, s29
	s_cbranch_execz .LBB49_12
; %bb.29:                               ;   in Loop: Header=BB49_13 Depth=1
	ds_load_b32 v1, v7
	s_bcnt1_i32_b32 s28, s28
	s_wait_dscnt 0x0
	v_mul_lo_u32 v1, v1, s33
	s_wait_alu 0xfffe
	s_delay_alu instid0(VALU_DEP_1)
	v_mul_lo_u32 v1, v1, s28
	s_lshl_b64 s[28:29], s[26:27], 2
	s_wait_alu 0xfffe
	s_add_nc_u64 s[28:29], s[20:21], s[28:29]
	global_atomic_add_u32 v7, v1, s[28:29] scope:SCOPE_DEV
	s_branch .LBB49_12
.LBB49_30:
	s_lshl_b64 s[2:3], s[16:17], 3
	s_lshl_b64 s[4:5], s[18:19], 3
	s_wait_alu 0xfffe
	s_add_nc_u64 s[2:3], s[8:9], s[2:3]
	s_add_nc_u64 s[4:5], s[8:9], s[4:5]
	s_clause 0x1
	s_load_b64 s[2:3], s[2:3], 0x0
	s_load_b64 s[4:5], s[4:5], 0x0
	s_wait_kmcnt 0x0
	v_add_co_u32 v1, vcc_lo, s2, v5
	s_wait_alu 0xfffd
	v_add_co_ci_u32_e64 v2, null, s3, v6, vcc_lo
	s_sub_nc_u64 s[4:5], s[4:5], s[24:25]
	s_mov_b32 s3, exec_lo
	v_cmpx_gt_i64_e64 s[4:5], v[1:2]
	s_cbranch_execz .LBB49_39
; %bb.31:
	s_add_nc_u64 s[6:7], s[18:19], -1
	s_add_nc_u64 s[26:27], s[18:19], -2
	s_wait_alu 0xfffe
	v_cmp_lt_i64_e64 s2, s[16:17], s[6:7]
	s_cmp_lg_u64 s[16:17], s[26:27]
	s_mov_b32 s26, 0
	s_cselect_b32 s25, -1, 0
	s_wait_alu 0xfffe
	s_and_b32 s25, s2, s25
	s_branch .LBB49_33
.LBB49_32:                              ;   in Loop: Header=BB49_33 Depth=1
	s_wait_alu 0xfffe
	s_or_b32 exec_lo, exec_lo, s2
	v_add_co_u32 v1, vcc_lo, 0x100, v1
	s_wait_alu 0xfffd
	v_add_co_ci_u32_e64 v2, null, 0, v2, vcc_lo
	s_delay_alu instid0(VALU_DEP_1)
	v_cmp_le_i64_e32 vcc_lo, s[4:5], v[1:2]
	s_or_b32 s26, vcc_lo, s26
	s_wait_alu 0xfffe
	s_and_not1_b32 exec_lo, exec_lo, s26
	s_cbranch_execz .LBB49_39
.LBB49_33:                              ; =>This Loop Header: Depth=1
                                        ;     Child Loop BB49_35 Depth 2
	v_dual_mov_b32 v3, s16 :: v_dual_mov_b32 v4, s17
	v_dual_mov_b32 v5, s6 :: v_dual_mov_b32 v6, s7
	s_wait_alu 0xfffe
	s_and_not1_b32 vcc_lo, exec_lo, s25
	s_wait_alu 0xfffe
	s_cbranch_vccnz .LBB49_37
; %bb.34:                               ;   in Loop: Header=BB49_33 Depth=1
	v_dual_mov_b32 v3, s16 :: v_dual_mov_b32 v4, s17
	v_dual_mov_b32 v5, s6 :: v_dual_mov_b32 v6, s7
	s_mov_b32 s27, 0
.LBB49_35:                              ;   Parent Loop BB49_33 Depth=1
                                        ; =>  This Inner Loop Header: Depth=2
	s_delay_alu instid0(VALU_DEP_1) | instskip(SKIP_1) | instid1(VALU_DEP_2)
	v_add_co_u32 v7, vcc_lo, v5, v3
	s_wait_alu 0xfffd
	v_add_co_ci_u32_e64 v8, null, v6, v4, vcc_lo
	s_delay_alu instid0(VALU_DEP_1) | instskip(NEXT) | instid1(VALU_DEP_1)
	v_lshrrev_b32_e32 v9, 31, v8
	v_add_co_u32 v7, vcc_lo, v7, v9
	s_wait_alu 0xfffd
	v_add_co_ci_u32_e64 v8, null, 0, v8, vcc_lo
	s_delay_alu instid0(VALU_DEP_1) | instskip(NEXT) | instid1(VALU_DEP_1)
	v_ashrrev_i64 v[7:8], 1, v[7:8]
	v_lshlrev_b64_e32 v[9:10], 3, v[7:8]
	s_delay_alu instid0(VALU_DEP_1) | instskip(SKIP_1) | instid1(VALU_DEP_2)
	v_add_co_u32 v9, vcc_lo, s8, v9
	s_wait_alu 0xfffd
	v_add_co_ci_u32_e64 v10, null, s9, v10, vcc_lo
	global_load_b64 v[9:10], v[9:10], off
	s_wait_loadcnt 0x0
	v_sub_co_u32 v9, vcc_lo, v9, s24
	s_wait_alu 0xfffd
	v_subrev_co_ci_u32_e64 v10, null, 0, v10, vcc_lo
	s_delay_alu instid0(VALU_DEP_1) | instskip(SKIP_3) | instid1(VALU_DEP_2)
	v_cmp_lt_i64_e32 vcc_lo, v[1:2], v[9:10]
	s_wait_alu 0xfffd
	v_dual_cndmask_b32 v6, v6, v8 :: v_dual_cndmask_b32 v5, v5, v7
	v_dual_cndmask_b32 v4, v8, v4 :: v_dual_cndmask_b32 v3, v7, v3
	v_add_co_u32 v7, vcc_lo, v5, -1
	s_wait_alu 0xfffd
	s_delay_alu instid0(VALU_DEP_3) | instskip(NEXT) | instid1(VALU_DEP_3)
	v_add_co_ci_u32_e64 v8, null, -1, v6, vcc_lo
	v_cmp_ge_i64_e32 vcc_lo, v[3:4], v[5:6]
	s_delay_alu instid0(VALU_DEP_2)
	v_cmp_eq_u64_e64 s2, v[3:4], v[7:8]
	s_or_b32 s2, vcc_lo, s2
	s_wait_alu 0xfffe
	s_and_b32 s2, exec_lo, s2
	s_wait_alu 0xfffe
	s_or_b32 s27, s2, s27
	s_wait_alu 0xfffe
	s_and_not1_b32 exec_lo, exec_lo, s27
	s_cbranch_execnz .LBB49_35
; %bb.36:                               ;   in Loop: Header=BB49_33 Depth=1
	s_or_b32 exec_lo, exec_lo, s27
.LBB49_37:                              ;   in Loop: Header=BB49_33 Depth=1
	v_lshlrev_b64_e32 v[7:8], 3, v[5:6]
	v_lshlrev_b64_e32 v[9:10], 2, v[1:2]
	s_mov_b32 s2, exec_lo
	s_delay_alu instid0(VALU_DEP_2) | instskip(SKIP_1) | instid1(VALU_DEP_3)
	v_add_co_u32 v7, vcc_lo, s8, v7
	s_wait_alu 0xfffd
	v_add_co_ci_u32_e64 v8, null, s9, v8, vcc_lo
	s_delay_alu instid0(VALU_DEP_3)
	v_add_co_u32 v9, vcc_lo, s10, v9
	s_wait_alu 0xfffd
	v_add_co_ci_u32_e64 v10, null, s11, v10, vcc_lo
	global_load_b64 v[7:8], v[7:8], off
	global_load_b32 v9, v[9:10], off
	s_wait_loadcnt 0x1
	v_sub_co_u32 v7, vcc_lo, v7, s24
	s_wait_alu 0xfffd
	v_subrev_co_ci_u32_e64 v8, null, 0, v8, vcc_lo
	s_delay_alu instid0(VALU_DEP_1) | instskip(SKIP_2) | instid1(VALU_DEP_1)
	v_cmp_lt_i64_e32 vcc_lo, v[1:2], v[7:8]
	s_wait_loadcnt 0x0
	v_subrev_nc_u32_e32 v7, s24, v9
	v_ashrrev_i32_e32 v8, 31, v7
	s_wait_alu 0xfffd
	v_dual_cndmask_b32 v4, v6, v4 :: v_dual_cndmask_b32 v3, v5, v3
	s_delay_alu instid0(VALU_DEP_1)
	v_cmpx_ne_u64_e64 v[3:4], v[7:8]
	s_cbranch_execz .LBB49_32
; %bb.38:                               ;   in Loop: Header=BB49_33 Depth=1
	v_add_co_u32 v5, vcc_lo, s12, v1
	s_wait_alu 0xfffd
	v_add_co_ci_u32_e64 v6, null, s13, v2, vcc_lo
	v_add_co_u32 v3, vcc_lo, s14, v3
	s_wait_alu 0xfffd
	v_add_co_ci_u32_e64 v4, null, s15, v4, vcc_lo
	global_load_i8 v5, v[5:6], off
	global_load_i8 v6, v[3:4], off
	v_lshlrev_b64_e32 v[3:4], 2, v[7:8]
	s_delay_alu instid0(VALU_DEP_1) | instskip(SKIP_1) | instid1(VALU_DEP_2)
	v_add_co_u32 v3, vcc_lo, s20, v3
	s_wait_alu 0xfffd
	v_add_co_ci_u32_e64 v4, null, s21, v4, vcc_lo
	s_wait_loadcnt 0x1
	v_mul_lo_u32 v5, s33, v5
	s_wait_loadcnt 0x0
	s_delay_alu instid0(VALU_DEP_1)
	v_mul_lo_u32 v5, v5, v6
	global_atomic_add_u32 v[3:4], v5, off scope:SCOPE_DEV
	s_branch .LBB49_32
.LBB49_39:
	s_wait_alu 0xfffe
	s_or_b32 exec_lo, exec_lo, s3
	s_mov_b32 s2, 0
.LBB49_40:
	s_wait_alu 0xfffe
	s_and_b32 vcc_lo, exec_lo, s2
	s_wait_alu 0xfffe
	s_cbranch_vccz .LBB49_141
; %bb.41:
	s_load_b32 s2, s[0:1], 0x6c
	s_mov_b32 s25, 0
	s_mov_b64 s[28:29], 0
	s_wait_alu 0xfffe
	s_mov_b32 s7, s25
	s_wait_kmcnt 0x0
	s_and_b32 s6, s2, 0xffff
	s_wait_alu 0xfffe
	v_cmp_lt_u64_e64 s2, s[6:7], s[22:23]
	s_and_b32 vcc_lo, exec_lo, s2
	s_wait_alu 0xfffe
	s_cbranch_vccnz .LBB49_43
; %bb.42:
	v_cvt_f32_u32_e32 v1, s22
	s_sub_co_i32 s3, 0, s22
	s_delay_alu instid0(VALU_DEP_1) | instskip(NEXT) | instid1(TRANS32_DEP_1)
	v_rcp_iflag_f32_e32 v1, v1
	v_mul_f32_e32 v1, 0x4f7ffffe, v1
	s_delay_alu instid0(VALU_DEP_1) | instskip(NEXT) | instid1(VALU_DEP_1)
	v_cvt_u32_f32_e32 v1, v1
	v_readfirstlane_b32 s2, v1
	s_wait_alu 0xfffe
	s_mul_i32 s3, s3, s2
	s_wait_alu 0xfffe
	s_mul_hi_u32 s3, s2, s3
	s_wait_alu 0xfffe
	s_add_co_i32 s2, s2, s3
	s_wait_alu 0xfffe
	s_mul_hi_u32 s2, s6, s2
	s_wait_alu 0xfffe
	s_mul_i32 s3, s2, s22
	s_add_co_i32 s4, s2, 1
	s_wait_alu 0xfffe
	s_sub_co_i32 s3, s6, s3
	s_wait_alu 0xfffe
	s_sub_co_i32 s5, s3, s22
	s_cmp_ge_u32 s3, s22
	s_cselect_b32 s2, s4, s2
	s_wait_alu 0xfffe
	s_cselect_b32 s3, s5, s3
	s_add_co_i32 s4, s2, 1
	s_wait_alu 0xfffe
	s_cmp_ge_u32 s3, s22
	s_cselect_b32 s28, s4, s2
.LBB49_43:
	s_lshl_b64 s[2:3], s[16:17], 3
	v_sub_co_u32 v1, s7, v0, s24
	s_wait_alu 0xfffe
	s_add_nc_u64 s[26:27], s[8:9], s[2:3]
	s_load_b64 s[4:5], s[26:27], 0x0
	s_load_b128 s[0:3], s[0:1], 0x8
	v_sub_co_ci_u32_e64 v2, null, 0, 0, s7
	s_wait_kmcnt 0x0
	v_add_co_u32 v4, vcc_lo, s4, v1
	s_wait_alu 0xfffd
	s_delay_alu instid0(VALU_DEP_2) | instskip(SKIP_1) | instid1(VALU_DEP_3)
	v_add_co_ci_u32_e64 v5, null, s5, v2, vcc_lo
	v_mov_b32_e32 v1, 0
	v_add_co_u32 v2, vcc_lo, 0x300, v4
	s_wait_alu 0xfffd
	s_delay_alu instid0(VALU_DEP_3) | instskip(NEXT) | instid1(VALU_DEP_1)
	v_add_co_ci_u32_e64 v3, null, 0, v5, vcc_lo
	v_cmp_le_i64_e32 vcc_lo, s[0:1], v[2:3]
	s_and_saveexec_b32 s0, vcc_lo
	s_wait_alu 0xfffe
	s_xor_b32 s1, exec_lo, s0
	s_cbranch_execz .LBB49_48
; %bb.44:
	s_lshl_b64 s[30:31], s[18:19], 3
	s_mov_b32 s7, exec_lo
	s_add_nc_u64 s[30:31], s[8:9], s[30:31]
	s_load_b64 s[30:31], s[30:31], 0x0
	s_wait_kmcnt 0x0
	s_sub_nc_u64 s[30:31], s[30:31], s[4:5]
	s_delay_alu instid0(SALU_CYCLE_1)
	v_cmpx_gt_i64_e64 s[30:31], v[0:1]
	s_cbranch_execz .LBB49_47
; %bb.45:
	v_dual_mov_b32 v8, v16 :: v_dual_mov_b32 v7, v1
	v_mov_b32_e32 v6, v0
	s_sub_nc_u64 s[34:35], s[4:5], s[24:25]
	s_mov_b32 s29, 0
	s_add_nc_u64 s[34:35], s[12:13], s[34:35]
.LBB49_46:                              ; =>This Inner Loop Header: Depth=1
	s_delay_alu instid0(VALU_DEP_1) | instid1(SALU_CYCLE_1)
	v_add_co_u32 v9, s0, s34, v6
	s_wait_alu 0xf1ff
	v_add_co_ci_u32_e64 v10, null, s35, v7, s0
	v_add_co_u32 v6, s0, 0x100, v6
	s_wait_alu 0xf1ff
	v_add_co_ci_u32_e64 v7, null, 0, v7, s0
	global_load_i8 v9, v[9:10], off
	v_cmp_le_i64_e64 s0, s[30:31], v[6:7]
	s_wait_alu 0xfffe
	s_or_b32 s29, s0, s29
	s_wait_loadcnt 0x0
	v_mul_lo_u32 v9, s33, v9
	ds_store_b32 v8, v9
	v_add_nc_u32_e32 v8, 0x400, v8
	s_wait_alu 0xfffe
	s_and_not1_b32 exec_lo, exec_lo, s29
	s_cbranch_execnz .LBB49_46
.LBB49_47:
	s_or_b32 exec_lo, exec_lo, s7
.LBB49_48:
	s_wait_alu 0xfffe
	s_and_not1_saveexec_b32 s1, s1
	s_cbranch_execz .LBB49_50
; %bb.49:
	v_add_co_u32 v6, s0, s12, v4
	s_wait_alu 0xf1ff
	v_add_co_ci_u32_e64 v7, null, s13, v5, s0
	s_clause 0x3
	global_load_i8 v8, v[6:7], off
	global_load_i8 v9, v[6:7], off offset:256
	global_load_i8 v10, v[6:7], off offset:512
	;; [unrolled: 1-line block ×3, first 2 shown]
	s_wait_loadcnt 0x3
	v_mul_lo_u32 v7, s33, v8
	s_wait_loadcnt 0x2
	v_mul_lo_u32 v8, s33, v9
	;; [unrolled: 2-line block ×4, first 2 shown]
	ds_store_2addr_stride64_b32 v16, v7, v8 offset1:4
	ds_store_2addr_stride64_b32 v16, v9, v6 offset0:8 offset1:12
.LBB49_50:
	s_wait_alu 0xfffe
	s_or_b32 exec_lo, exec_lo, s1
	v_lshl_add_u32 v17, v0, 2, 0x1000
	s_mov_b32 s1, exec_lo
	v_cmpx_gt_i64_e64 s[2:3], v[0:1]
	s_cbranch_execz .LBB49_53
; %bb.51:
	v_mov_b32_e32 v7, v1
	v_lshl_add_u32 v8, v0, 2, 0x1000
	v_dual_mov_b32 v9, 0 :: v_dual_mov_b32 v6, v0
	s_mov_b32 s7, 0
.LBB49_52:                              ; =>This Inner Loop Header: Depth=1
	s_delay_alu instid0(VALU_DEP_1)
	v_add_co_u32 v6, s0, 0x100, v6
	s_wait_alu 0xf1ff
	v_add_co_ci_u32_e64 v7, null, 0, v7, s0
	ds_store_b32 v8, v9
	v_add_nc_u32_e32 v8, 0x400, v8
	v_cmp_le_i64_e64 s0, s[2:3], v[6:7]
	s_wait_alu 0xfffe
	s_or_b32 s7, s0, s7
	s_wait_alu 0xfffe
	s_and_not1_b32 exec_lo, exec_lo, s7
	s_cbranch_execnz .LBB49_52
.LBB49_53:
	s_wait_alu 0xfffe
	s_or_b32 exec_lo, exec_lo, s1
	v_cmp_ge_i64_e64 s7, s[18:19], s[2:3]
	s_sub_nc_u64 s[0:1], s[18:19], s[2:3]
	s_wait_storecnt 0x0
	s_wait_loadcnt_dscnt 0x0
	s_barrier_signal -1
	s_barrier_wait -1
	global_inv scope:SCOPE_SE
	s_and_b32 s7, s7, exec_lo
	s_wait_alu 0xfffe
	s_cselect_b32 s13, s1, 0
	s_cselect_b32 s12, s0, 0
	s_and_saveexec_b32 s0, vcc_lo
	s_wait_alu 0xfffe
	s_xor_b32 s7, exec_lo, s0
	s_cbranch_execz .LBB49_70
; %bb.54:
	s_lshl_b64 s[0:1], s[18:19], 3
	s_mov_b32 s29, exec_lo
	s_wait_alu 0xfffe
	s_add_nc_u64 s[0:1], s[8:9], s[0:1]
	s_load_b64 s[0:1], s[0:1], 0x0
	s_wait_kmcnt 0x0
	s_sub_nc_u64 s[30:31], s[0:1], s[4:5]
	s_wait_alu 0xfffe
	v_cmpx_gt_i64_e64 s[30:31], v[0:1]
	s_cbranch_execz .LBB49_69
; %bb.55:
	s_add_nc_u64 s[34:35], s[18:19], -2
	s_sub_nc_u64 s[36:37], s[0:1], s[24:25]
	s_wait_alu 0xfffe
	s_cmp_lg_u64 s[16:17], s[34:35]
	s_add_nc_u64 s[34:35], s[18:19], -1
	s_cselect_b32 s33, -1, 0
	s_mov_b64 s[38:39], 0
	s_mov_b32 s1, 0
	s_branch .LBB49_58
.LBB49_56:                              ;   in Loop: Header=BB49_58 Depth=1
	s_wait_alu 0xfffe
	s_or_b32 exec_lo, exec_lo, s0
.LBB49_57:                              ;   in Loop: Header=BB49_58 Depth=1
	s_delay_alu instid0(SALU_CYCLE_1)
	s_or_b32 exec_lo, exec_lo, s40
	v_add_co_u32 v2, vcc_lo, s14, v2
	s_wait_alu 0xfffd
	v_add_co_ci_u32_e64 v3, null, s15, v3, vcc_lo
	s_add_nc_u64 s[38:39], s[38:39], 0x100
	global_load_i8 v7, v[2:3], off
	s_wait_alu 0xfffe
	v_add_co_u32 v2, s0, s38, v0
	s_wait_alu 0xf1ff
	v_add_co_ci_u32_e64 v3, null, s39, 0, s0
	s_delay_alu instid0(VALU_DEP_1)
	v_cmp_le_i64_e32 vcc_lo, s[30:31], v[2:3]
	v_lshlrev_b32_e32 v2, 2, v10
	s_or_b32 s1, vcc_lo, s1
	s_wait_loadcnt_dscnt 0x0
	v_mul_lo_u32 v6, v6, v7
	ds_store_b32 v2, v6
	s_wait_alu 0xfffe
	s_and_not1_b32 exec_lo, exec_lo, s1
	s_cbranch_execz .LBB49_69
.LBB49_58:                              ; =>This Loop Header: Depth=1
                                        ;     Child Loop BB49_60 Depth 2
	v_add_co_u32 v6, vcc_lo, s38, v4
	s_wait_alu 0xfffd
	v_add_co_ci_u32_e64 v7, null, s39, v5, vcc_lo
	v_dual_mov_b32 v8, s16 :: v_dual_mov_b32 v9, s17
	s_wait_alu 0xfffe
	v_dual_mov_b32 v10, s34 :: v_dual_mov_b32 v11, s35
	s_and_not1_b32 vcc_lo, exec_lo, s33
	s_wait_alu 0xfffe
	s_cbranch_vccnz .LBB49_62
; %bb.59:                               ;   in Loop: Header=BB49_58 Depth=1
	v_dual_mov_b32 v8, s16 :: v_dual_mov_b32 v9, s17
	v_dual_mov_b32 v10, s34 :: v_dual_mov_b32 v11, s35
	s_mov_b32 s40, 0
.LBB49_60:                              ;   Parent Loop BB49_58 Depth=1
                                        ; =>  This Inner Loop Header: Depth=2
	s_delay_alu instid0(VALU_DEP_1) | instskip(SKIP_1) | instid1(VALU_DEP_2)
	v_add_co_u32 v2, vcc_lo, v10, v8
	s_wait_alu 0xfffd
	v_add_co_ci_u32_e64 v3, null, v11, v9, vcc_lo
	s_delay_alu instid0(VALU_DEP_1) | instskip(NEXT) | instid1(VALU_DEP_1)
	v_lshrrev_b32_e32 v12, 31, v3
	v_add_co_u32 v2, vcc_lo, v2, v12
	s_wait_alu 0xfffd
	v_add_co_ci_u32_e64 v3, null, 0, v3, vcc_lo
	s_delay_alu instid0(VALU_DEP_1) | instskip(NEXT) | instid1(VALU_DEP_1)
	v_ashrrev_i64 v[2:3], 1, v[2:3]
	v_lshlrev_b64_e32 v[12:13], 3, v[2:3]
	s_delay_alu instid0(VALU_DEP_1) | instskip(SKIP_1) | instid1(VALU_DEP_2)
	v_add_co_u32 v12, vcc_lo, s8, v12
	s_wait_alu 0xfffd
	v_add_co_ci_u32_e64 v13, null, s9, v13, vcc_lo
	global_load_b64 v[12:13], v[12:13], off
	s_wait_loadcnt 0x0
	v_sub_co_u32 v12, vcc_lo, v12, s24
	s_wait_alu 0xfffd
	v_subrev_co_ci_u32_e64 v13, null, 0, v13, vcc_lo
	s_delay_alu instid0(VALU_DEP_1) | instskip(SKIP_3) | instid1(VALU_DEP_2)
	v_cmp_lt_i64_e32 vcc_lo, v[6:7], v[12:13]
	s_wait_alu 0xfffd
	v_dual_cndmask_b32 v11, v11, v3 :: v_dual_cndmask_b32 v10, v10, v2
	v_dual_cndmask_b32 v9, v3, v9 :: v_dual_cndmask_b32 v8, v2, v8
	v_add_co_u32 v2, vcc_lo, v10, -1
	s_wait_alu 0xfffd
	s_delay_alu instid0(VALU_DEP_3) | instskip(NEXT) | instid1(VALU_DEP_3)
	v_add_co_ci_u32_e64 v3, null, -1, v11, vcc_lo
	v_cmp_ge_i64_e32 vcc_lo, v[8:9], v[10:11]
	s_delay_alu instid0(VALU_DEP_2)
	v_cmp_eq_u64_e64 s0, v[8:9], v[2:3]
	s_or_b32 s0, vcc_lo, s0
	s_wait_alu 0xfffe
	s_and_b32 s0, exec_lo, s0
	s_wait_alu 0xfffe
	s_or_b32 s40, s0, s40
	s_delay_alu instid0(SALU_CYCLE_1)
	s_and_not1_b32 exec_lo, exec_lo, s40
	s_cbranch_execnz .LBB49_60
; %bb.61:                               ;   in Loop: Header=BB49_58 Depth=1
	s_or_b32 exec_lo, exec_lo, s40
.LBB49_62:                              ;   in Loop: Header=BB49_58 Depth=1
	s_delay_alu instid0(VALU_DEP_1) | instskip(SKIP_2) | instid1(VALU_DEP_3)
	v_lshlrev_b64_e32 v[2:3], 3, v[10:11]
	v_lshlrev_b64_e32 v[12:13], 2, v[6:7]
	v_cmp_le_i64_e64 s0, s[36:37], v[6:7]
	v_add_co_u32 v2, vcc_lo, s8, v2
	s_wait_alu 0xfffd
	s_delay_alu instid0(VALU_DEP_4) | instskip(NEXT) | instid1(VALU_DEP_4)
	v_add_co_ci_u32_e64 v3, null, s9, v3, vcc_lo
	v_add_co_u32 v12, vcc_lo, s10, v12
	s_wait_alu 0xfffd
	v_add_co_ci_u32_e64 v13, null, s11, v13, vcc_lo
	global_load_b64 v[2:3], v[2:3], off
	global_load_b32 v14, v[12:13], off
	s_wait_loadcnt 0x1
	v_sub_co_u32 v12, vcc_lo, v2, s24
	s_wait_alu 0xfffd
	v_subrev_co_ci_u32_e64 v13, null, 0, v3, vcc_lo
	s_wait_loadcnt 0x0
	v_subrev_nc_u32_e32 v2, s24, v14
	s_delay_alu instid0(VALU_DEP_2) | instskip(NEXT) | instid1(VALU_DEP_2)
	v_cmp_lt_i64_e32 vcc_lo, v[6:7], v[12:13]
                                        ; implicit-def: $vgpr6
	v_ashrrev_i32_e32 v3, 31, v2
	s_wait_alu 0xfffd
	v_dual_cndmask_b32 v9, v11, v9 :: v_dual_cndmask_b32 v8, v10, v8
	v_add_co_u32 v10, null, s38, v0
	s_delay_alu instid0(VALU_DEP_2) | instskip(NEXT) | instid1(VALU_DEP_2)
	v_cmp_eq_u64_e32 vcc_lo, v[8:9], v[2:3]
	v_lshlrev_b32_e32 v7, 2, v10
	s_or_b32 s0, vcc_lo, s0
	s_wait_alu 0xfffe
	s_and_saveexec_b32 s40, s0
	s_delay_alu instid0(SALU_CYCLE_1)
	s_xor_b32 s0, exec_lo, s40
; %bb.63:                               ;   in Loop: Header=BB49_58 Depth=1
	ds_load_b32 v6, v7
                                        ; implicit-def: $vgpr7
                                        ; implicit-def: $vgpr8_vgpr9
; %bb.64:                               ;   in Loop: Header=BB49_58 Depth=1
	s_wait_alu 0xfffe
	s_and_not1_saveexec_b32 s40, s0
	s_cbranch_execz .LBB49_57
; %bb.65:                               ;   in Loop: Header=BB49_58 Depth=1
	v_cmp_gt_i64_e32 vcc_lo, s[12:13], v[2:3]
	v_cmp_le_i64_e64 s0, s[18:19], v[2:3]
                                        ; implicit-def: $vgpr6
	s_or_b32 s0, vcc_lo, s0
	s_wait_alu 0xfffe
	s_and_saveexec_b32 s41, s0
	s_delay_alu instid0(SALU_CYCLE_1)
	s_xor_b32 s0, exec_lo, s41
	s_cbranch_execz .LBB49_67
; %bb.66:                               ;   in Loop: Header=BB49_58 Depth=1
	v_add_co_u32 v8, vcc_lo, s14, v8
	s_wait_alu 0xfffd
	v_add_co_ci_u32_e64 v9, null, s15, v9, vcc_lo
	s_wait_dscnt 0x0
	ds_load_b32 v6, v7
	global_load_i8 v9, v[8:9], off
	v_lshlrev_b64_e32 v[7:8], 2, v[2:3]
	s_delay_alu instid0(VALU_DEP_1) | instskip(SKIP_1) | instid1(VALU_DEP_2)
	v_add_co_u32 v7, vcc_lo, s20, v7
	s_wait_alu 0xfffd
	v_add_co_ci_u32_e64 v8, null, s21, v8, vcc_lo
	s_wait_loadcnt_dscnt 0x0
	v_mul_lo_u32 v9, v6, v9
	global_atomic_add_u32 v[7:8], v9, off scope:SCOPE_DEV
                                        ; implicit-def: $vgpr7
                                        ; implicit-def: $vgpr8_vgpr9
.LBB49_67:                              ;   in Loop: Header=BB49_58 Depth=1
	s_wait_alu 0xfffe
	s_and_not1_saveexec_b32 s0, s0
	s_cbranch_execz .LBB49_56
; %bb.68:                               ;   in Loop: Header=BB49_58 Depth=1
	v_add_co_u32 v8, vcc_lo, s14, v8
	s_wait_alu 0xfffd
	v_add_co_ci_u32_e64 v9, null, s15, v9, vcc_lo
	s_wait_dscnt 0x0
	ds_load_b32 v6, v7
	v_subrev_nc_u32_e32 v7, s12, v2
	global_load_i8 v8, v[8:9], off
	v_lshl_add_u32 v7, v7, 2, 0x1000
	s_wait_loadcnt_dscnt 0x0
	v_mul_lo_u32 v8, v6, v8
	ds_add_u32 v7, v8
	s_branch .LBB49_56
.LBB49_69:
	s_or_b32 exec_lo, exec_lo, s29
                                        ; implicit-def: $vgpr2_vgpr3
                                        ; implicit-def: $vgpr4
.LBB49_70:
	s_wait_alu 0xfffe
	s_and_not1_saveexec_b32 s1, s7
	s_cbranch_execz .LBB49_112
; %bb.71:
	s_add_nc_u64 s[30:31], s[18:19], -1
	s_add_nc_u64 s[34:35], s[18:19], -2
	v_dual_mov_b32 v8, s16 :: v_dual_mov_b32 v9, s17
	s_wait_alu 0xfffe
	v_dual_mov_b32 v10, s30 :: v_dual_mov_b32 v11, s31
	s_cmp_lg_u64 s[16:17], s[34:35]
	s_cselect_b32 s7, -1, 0
	s_cmp_eq_u64 s[16:17], s[34:35]
	s_cbranch_scc1 .LBB49_75
; %bb.72:
	v_dual_mov_b32 v8, s16 :: v_dual_mov_b32 v9, s17
	v_dual_mov_b32 v10, s30 :: v_dual_mov_b32 v11, s31
	s_mov_b32 s29, 0
.LBB49_73:                              ; =>This Inner Loop Header: Depth=1
	s_delay_alu instid0(VALU_DEP_1) | instskip(SKIP_1) | instid1(VALU_DEP_2)
	v_add_co_u32 v6, vcc_lo, v10, v8
	s_wait_alu 0xfffd
	v_add_co_ci_u32_e64 v7, null, v11, v9, vcc_lo
	s_delay_alu instid0(VALU_DEP_1) | instskip(NEXT) | instid1(VALU_DEP_1)
	v_lshrrev_b32_e32 v12, 31, v7
	v_add_co_u32 v6, vcc_lo, v6, v12
	s_wait_alu 0xfffd
	v_add_co_ci_u32_e64 v7, null, 0, v7, vcc_lo
	s_delay_alu instid0(VALU_DEP_1) | instskip(NEXT) | instid1(VALU_DEP_1)
	v_ashrrev_i64 v[6:7], 1, v[6:7]
	v_lshlrev_b64_e32 v[12:13], 3, v[6:7]
	s_delay_alu instid0(VALU_DEP_1) | instskip(SKIP_1) | instid1(VALU_DEP_2)
	v_add_co_u32 v12, vcc_lo, s8, v12
	s_wait_alu 0xfffd
	v_add_co_ci_u32_e64 v13, null, s9, v13, vcc_lo
	global_load_b64 v[12:13], v[12:13], off
	s_wait_loadcnt 0x0
	v_sub_co_u32 v12, vcc_lo, v12, s24
	s_wait_alu 0xfffd
	v_subrev_co_ci_u32_e64 v13, null, 0, v13, vcc_lo
	s_delay_alu instid0(VALU_DEP_1) | instskip(SKIP_3) | instid1(VALU_DEP_2)
	v_cmp_lt_i64_e32 vcc_lo, v[4:5], v[12:13]
	s_wait_alu 0xfffd
	v_dual_cndmask_b32 v11, v11, v7 :: v_dual_cndmask_b32 v10, v10, v6
	v_dual_cndmask_b32 v9, v7, v9 :: v_dual_cndmask_b32 v8, v6, v8
	v_add_co_u32 v6, vcc_lo, v10, -1
	s_wait_alu 0xfffd
	s_delay_alu instid0(VALU_DEP_3) | instskip(NEXT) | instid1(VALU_DEP_3)
	v_add_co_ci_u32_e64 v7, null, -1, v11, vcc_lo
	v_cmp_ge_i64_e32 vcc_lo, v[8:9], v[10:11]
	s_delay_alu instid0(VALU_DEP_2)
	v_cmp_eq_u64_e64 s0, v[8:9], v[6:7]
	s_or_b32 s0, vcc_lo, s0
	s_wait_alu 0xfffe
	s_and_b32 s0, exec_lo, s0
	s_wait_alu 0xfffe
	s_or_b32 s29, s0, s29
	s_wait_alu 0xfffe
	s_and_not1_b32 exec_lo, exec_lo, s29
	s_cbranch_execnz .LBB49_73
; %bb.74:
	s_or_b32 exec_lo, exec_lo, s29
.LBB49_75:
	v_lshlrev_b64_e32 v[6:7], 3, v[10:11]
	v_lshlrev_b64_e32 v[12:13], 2, v[4:5]
	s_mov_b32 s29, exec_lo
	s_delay_alu instid0(VALU_DEP_2) | instskip(SKIP_1) | instid1(VALU_DEP_3)
	v_add_co_u32 v6, vcc_lo, s8, v6
	s_wait_alu 0xfffd
	v_add_co_ci_u32_e64 v7, null, s9, v7, vcc_lo
	global_load_b64 v[14:15], v[6:7], off
	v_add_co_u32 v6, vcc_lo, s10, v12
	s_wait_alu 0xfffd
	v_add_co_ci_u32_e64 v7, null, s11, v13, vcc_lo
	s_lshl_b64 s[10:11], s[18:19], 3
	s_wait_alu 0xfffe
	s_add_nc_u64 s[10:11], s[8:9], s[10:11]
	global_load_b32 v18, v[6:7], off
	s_wait_loadcnt 0x1
	v_sub_co_u32 v12, vcc_lo, v14, s24
	s_wait_alu 0xfffd
	v_subrev_co_ci_u32_e64 v13, null, 0, v15, vcc_lo
	s_delay_alu instid0(VALU_DEP_1) | instskip(SKIP_2) | instid1(VALU_DEP_1)
	v_cmp_lt_i64_e32 vcc_lo, v[4:5], v[12:13]
	s_wait_loadcnt 0x0
	v_subrev_nc_u32_e32 v12, s24, v18
	v_ashrrev_i32_e32 v13, 31, v12
	s_wait_alu 0xfffd
	v_dual_cndmask_b32 v9, v11, v9 :: v_dual_cndmask_b32 v8, v10, v8
	s_delay_alu instid0(VALU_DEP_1)
	v_cmpx_ne_u64_e64 v[8:9], v[12:13]
	s_cbranch_execz .LBB49_81
; %bb.76:
	s_load_b64 s[34:35], s[10:11], 0x0
	s_wait_kmcnt 0x0
	s_sub_nc_u64 s[34:35], s[34:35], s[24:25]
	s_wait_alu 0xfffe
	v_cmp_gt_i64_e32 vcc_lo, s[34:35], v[4:5]
	s_and_b32 exec_lo, exec_lo, vcc_lo
	s_cbranch_execz .LBB49_81
; %bb.77:
	v_cmp_gt_i64_e32 vcc_lo, s[12:13], v[12:13]
	v_cmp_le_i64_e64 s0, s[18:19], v[12:13]
	s_or_b32 s0, vcc_lo, s0
	s_wait_alu 0xfffe
	s_and_saveexec_b32 s33, s0
	s_wait_alu 0xfffe
	s_xor_b32 s0, exec_lo, s33
	s_cbranch_execz .LBB49_79
; %bb.78:
	v_add_co_u32 v8, vcc_lo, s14, v8
	s_wait_alu 0xfffd
	v_add_co_ci_u32_e64 v9, null, s15, v9, vcc_lo
	ds_load_b32 v11, v16
	global_load_i8 v10, v[8:9], off
	v_lshlrev_b64_e32 v[8:9], 2, v[12:13]
	s_delay_alu instid0(VALU_DEP_1) | instskip(SKIP_1) | instid1(VALU_DEP_2)
	v_add_co_u32 v8, vcc_lo, s20, v8
	s_wait_alu 0xfffd
	v_add_co_ci_u32_e64 v9, null, s21, v9, vcc_lo
	s_wait_loadcnt_dscnt 0x0
	v_mul_lo_u32 v10, v11, v10
	global_atomic_add_u32 v[8:9], v10, off scope:SCOPE_DEV
                                        ; implicit-def: $vgpr8_vgpr9
.LBB49_79:
	s_wait_alu 0xfffe
	s_and_not1_saveexec_b32 s0, s0
	s_cbranch_execz .LBB49_81
; %bb.80:
	v_add_co_u32 v8, vcc_lo, s14, v8
	s_wait_alu 0xfffd
	v_add_co_ci_u32_e64 v9, null, s15, v9, vcc_lo
	v_subrev_nc_u32_e32 v10, s12, v12
	global_load_i8 v8, v[8:9], off
	ds_load_b32 v9, v16
	s_wait_loadcnt_dscnt 0x0
	v_mul_lo_u32 v8, v9, v8
	v_lshl_add_u32 v9, v10, 2, 0x1000
	ds_add_u32 v9, v8
.LBB49_81:
	s_or_b32 exec_lo, exec_lo, s29
	v_add_co_u32 v8, vcc_lo, s14, v12
	s_wait_alu 0xfffd
	v_add_co_ci_u32_e64 v9, null, s15, v13, vcc_lo
	v_cndmask_b32_e64 v18, 0, 1, s7
	v_dual_mov_b32 v10, s16 :: v_dual_mov_b32 v11, s17
	global_load_i8 v8, v[8:9], off
	ds_load_b32 v9, v16
	v_dual_mov_b32 v12, s30 :: v_dual_mov_b32 v13, s31
	s_wait_loadcnt_dscnt 0x0
	v_mul_lo_u32 v14, v9, v8
	v_add_co_u32 v8, vcc_lo, 0x100, v4
	s_wait_alu 0xfffd
	v_add_co_ci_u32_e64 v9, null, 0, v5, vcc_lo
	s_and_not1_b32 vcc_lo, exec_lo, s7
	ds_store_b32 v16, v14
	s_wait_alu 0xfffe
	s_cbranch_vccnz .LBB49_85
; %bb.82:
	v_dual_mov_b32 v10, s16 :: v_dual_mov_b32 v11, s17
	v_dual_mov_b32 v12, s30 :: v_dual_mov_b32 v13, s31
	s_mov_b32 s7, 0
.LBB49_83:                              ; =>This Inner Loop Header: Depth=1
	s_delay_alu instid0(VALU_DEP_1) | instskip(SKIP_1) | instid1(VALU_DEP_2)
	v_add_co_u32 v14, vcc_lo, v12, v10
	s_wait_alu 0xfffd
	v_add_co_ci_u32_e64 v15, null, v13, v11, vcc_lo
	s_delay_alu instid0(VALU_DEP_1) | instskip(NEXT) | instid1(VALU_DEP_1)
	v_lshrrev_b32_e32 v19, 31, v15
	v_add_co_u32 v14, vcc_lo, v14, v19
	s_wait_alu 0xfffd
	v_add_co_ci_u32_e64 v15, null, 0, v15, vcc_lo
	s_delay_alu instid0(VALU_DEP_1) | instskip(NEXT) | instid1(VALU_DEP_1)
	v_ashrrev_i64 v[14:15], 1, v[14:15]
	v_lshlrev_b64_e32 v[19:20], 3, v[14:15]
	s_delay_alu instid0(VALU_DEP_1) | instskip(SKIP_1) | instid1(VALU_DEP_2)
	v_add_co_u32 v19, vcc_lo, s8, v19
	s_wait_alu 0xfffd
	v_add_co_ci_u32_e64 v20, null, s9, v20, vcc_lo
	global_load_b64 v[19:20], v[19:20], off
	s_wait_loadcnt 0x0
	v_sub_co_u32 v19, vcc_lo, v19, s24
	s_wait_alu 0xfffd
	v_subrev_co_ci_u32_e64 v20, null, 0, v20, vcc_lo
	s_delay_alu instid0(VALU_DEP_1) | instskip(SKIP_3) | instid1(VALU_DEP_2)
	v_cmp_lt_i64_e32 vcc_lo, v[8:9], v[19:20]
	s_wait_alu 0xfffd
	v_dual_cndmask_b32 v13, v13, v15 :: v_dual_cndmask_b32 v12, v12, v14
	v_dual_cndmask_b32 v11, v15, v11 :: v_dual_cndmask_b32 v10, v14, v10
	v_add_co_u32 v14, vcc_lo, v12, -1
	s_wait_alu 0xfffd
	s_delay_alu instid0(VALU_DEP_3) | instskip(NEXT) | instid1(VALU_DEP_3)
	v_add_co_ci_u32_e64 v15, null, -1, v13, vcc_lo
	v_cmp_ge_i64_e32 vcc_lo, v[10:11], v[12:13]
	s_delay_alu instid0(VALU_DEP_2)
	v_cmp_eq_u64_e64 s0, v[10:11], v[14:15]
	s_or_b32 s0, vcc_lo, s0
	s_wait_alu 0xfffe
	s_and_b32 s0, exec_lo, s0
	s_wait_alu 0xfffe
	s_or_b32 s7, s0, s7
	s_wait_alu 0xfffe
	s_and_not1_b32 exec_lo, exec_lo, s7
	s_cbranch_execnz .LBB49_83
; %bb.84:
	s_or_b32 exec_lo, exec_lo, s7
.LBB49_85:
	v_lshlrev_b64_e32 v[14:15], 3, v[12:13]
	s_mov_b32 s7, exec_lo
	s_delay_alu instid0(VALU_DEP_1) | instskip(SKIP_1) | instid1(VALU_DEP_2)
	v_add_co_u32 v14, vcc_lo, s8, v14
	s_wait_alu 0xfffd
	v_add_co_ci_u32_e64 v15, null, s9, v15, vcc_lo
	global_load_b64 v[14:15], v[14:15], off
	global_load_b32 v19, v[6:7], off offset:1024
	s_wait_loadcnt 0x1
	v_sub_co_u32 v14, vcc_lo, v14, s24
	s_wait_alu 0xfffd
	v_subrev_co_ci_u32_e64 v15, null, 0, v15, vcc_lo
	s_delay_alu instid0(VALU_DEP_1) | instskip(SKIP_2) | instid1(VALU_DEP_1)
	v_cmp_lt_i64_e32 vcc_lo, v[8:9], v[14:15]
	s_wait_loadcnt 0x0
	v_subrev_nc_u32_e32 v14, s24, v19
	v_ashrrev_i32_e32 v15, 31, v14
	s_wait_alu 0xfffd
	v_dual_cndmask_b32 v11, v13, v11 :: v_dual_cndmask_b32 v10, v12, v10
	s_delay_alu instid0(VALU_DEP_1)
	v_cmpx_ne_u64_e64 v[10:11], v[14:15]
	s_cbranch_execz .LBB49_91
; %bb.86:
	s_load_b64 s[34:35], s[10:11], 0x0
	s_wait_kmcnt 0x0
	s_sub_nc_u64 s[34:35], s[34:35], s[24:25]
	s_wait_alu 0xfffe
	v_cmp_gt_i64_e32 vcc_lo, s[34:35], v[8:9]
	s_and_b32 exec_lo, exec_lo, vcc_lo
	s_cbranch_execz .LBB49_91
; %bb.87:
	v_cmp_gt_i64_e32 vcc_lo, s[12:13], v[14:15]
	v_cmp_le_i64_e64 s0, s[18:19], v[14:15]
	s_or_b32 s0, vcc_lo, s0
	s_wait_alu 0xfffe
	s_and_saveexec_b32 s29, s0
	s_wait_alu 0xfffe
	s_xor_b32 s0, exec_lo, s29
	s_cbranch_execz .LBB49_89
; %bb.88:
	v_add_co_u32 v8, vcc_lo, s14, v10
	s_wait_alu 0xfffd
	v_add_co_ci_u32_e64 v9, null, s15, v11, vcc_lo
	ds_load_b32 v11, v16 offset:1024
	global_load_i8 v10, v[8:9], off
	v_lshlrev_b64_e32 v[8:9], 2, v[14:15]
	s_delay_alu instid0(VALU_DEP_1) | instskip(SKIP_1) | instid1(VALU_DEP_2)
	v_add_co_u32 v8, vcc_lo, s20, v8
	s_wait_alu 0xfffd
	v_add_co_ci_u32_e64 v9, null, s21, v9, vcc_lo
	s_wait_loadcnt_dscnt 0x0
	v_mul_lo_u32 v10, v11, v10
	global_atomic_add_u32 v[8:9], v10, off scope:SCOPE_DEV
                                        ; implicit-def: $vgpr10_vgpr11
.LBB49_89:
	s_wait_alu 0xfffe
	s_and_not1_saveexec_b32 s0, s0
	s_cbranch_execz .LBB49_91
; %bb.90:
	v_add_co_u32 v8, vcc_lo, s14, v10
	s_wait_alu 0xfffd
	v_add_co_ci_u32_e64 v9, null, s15, v11, vcc_lo
	v_subrev_nc_u32_e32 v10, s12, v14
	global_load_i8 v8, v[8:9], off
	ds_load_b32 v9, v16 offset:1024
	s_wait_loadcnt_dscnt 0x0
	v_mul_lo_u32 v8, v9, v8
	v_lshl_add_u32 v9, v10, 2, 0x1000
	ds_add_u32 v9, v8
.LBB49_91:
	s_wait_alu 0xfffe
	s_or_b32 exec_lo, exec_lo, s7
	v_add_co_u32 v8, vcc_lo, s14, v14
	s_wait_alu 0xfffd
	v_add_co_ci_u32_e64 v9, null, s15, v15, vcc_lo
	v_cmp_ne_u32_e32 vcc_lo, 1, v18
	v_add_co_u32 v4, s0, 0x200, v4
	global_load_i8 v8, v[8:9], off
	ds_load_b32 v9, v16 offset:1024
	s_wait_alu 0xf1ff
	v_add_co_ci_u32_e64 v5, null, 0, v5, s0
	v_dual_mov_b32 v10, s30 :: v_dual_mov_b32 v11, s31
	s_and_b32 vcc_lo, exec_lo, vcc_lo
	s_wait_loadcnt_dscnt 0x0
	v_mul_lo_u32 v12, v9, v8
	v_dual_mov_b32 v8, s16 :: v_dual_mov_b32 v9, s17
	ds_store_b32 v16, v12 offset:1024
	s_wait_alu 0xfffe
	s_cbranch_vccnz .LBB49_95
; %bb.92:
	v_dual_mov_b32 v8, s16 :: v_dual_mov_b32 v9, s17
	v_dual_mov_b32 v10, s30 :: v_dual_mov_b32 v11, s31
	s_mov_b32 s7, 0
.LBB49_93:                              ; =>This Inner Loop Header: Depth=1
	s_delay_alu instid0(VALU_DEP_1) | instskip(SKIP_1) | instid1(VALU_DEP_2)
	v_add_co_u32 v12, vcc_lo, v10, v8
	s_wait_alu 0xfffd
	v_add_co_ci_u32_e64 v13, null, v11, v9, vcc_lo
	s_delay_alu instid0(VALU_DEP_1) | instskip(NEXT) | instid1(VALU_DEP_1)
	v_lshrrev_b32_e32 v14, 31, v13
	v_add_co_u32 v12, vcc_lo, v12, v14
	s_wait_alu 0xfffd
	v_add_co_ci_u32_e64 v13, null, 0, v13, vcc_lo
	s_delay_alu instid0(VALU_DEP_1) | instskip(NEXT) | instid1(VALU_DEP_1)
	v_ashrrev_i64 v[12:13], 1, v[12:13]
	v_lshlrev_b64_e32 v[14:15], 3, v[12:13]
	s_delay_alu instid0(VALU_DEP_1) | instskip(SKIP_1) | instid1(VALU_DEP_2)
	v_add_co_u32 v14, vcc_lo, s8, v14
	s_wait_alu 0xfffd
	v_add_co_ci_u32_e64 v15, null, s9, v15, vcc_lo
	global_load_b64 v[14:15], v[14:15], off
	s_wait_loadcnt 0x0
	v_sub_co_u32 v14, vcc_lo, v14, s24
	s_wait_alu 0xfffd
	v_subrev_co_ci_u32_e64 v15, null, 0, v15, vcc_lo
	s_delay_alu instid0(VALU_DEP_1) | instskip(SKIP_3) | instid1(VALU_DEP_2)
	v_cmp_lt_i64_e32 vcc_lo, v[4:5], v[14:15]
	s_wait_alu 0xfffd
	v_dual_cndmask_b32 v11, v11, v13 :: v_dual_cndmask_b32 v10, v10, v12
	v_dual_cndmask_b32 v9, v13, v9 :: v_dual_cndmask_b32 v8, v12, v8
	v_add_co_u32 v12, vcc_lo, v10, -1
	s_wait_alu 0xfffd
	s_delay_alu instid0(VALU_DEP_3) | instskip(NEXT) | instid1(VALU_DEP_3)
	v_add_co_ci_u32_e64 v13, null, -1, v11, vcc_lo
	v_cmp_ge_i64_e32 vcc_lo, v[8:9], v[10:11]
	s_delay_alu instid0(VALU_DEP_2)
	v_cmp_eq_u64_e64 s0, v[8:9], v[12:13]
	s_or_b32 s0, vcc_lo, s0
	s_wait_alu 0xfffe
	s_and_b32 s0, exec_lo, s0
	s_wait_alu 0xfffe
	s_or_b32 s7, s0, s7
	s_wait_alu 0xfffe
	s_and_not1_b32 exec_lo, exec_lo, s7
	s_cbranch_execnz .LBB49_93
; %bb.94:
	s_or_b32 exec_lo, exec_lo, s7
.LBB49_95:
	v_lshlrev_b64_e32 v[12:13], 3, v[10:11]
	s_mov_b32 s7, exec_lo
	s_delay_alu instid0(VALU_DEP_1) | instskip(SKIP_1) | instid1(VALU_DEP_2)
	v_add_co_u32 v12, vcc_lo, s8, v12
	s_wait_alu 0xfffd
	v_add_co_ci_u32_e64 v13, null, s9, v13, vcc_lo
	global_load_b64 v[12:13], v[12:13], off
	global_load_b32 v14, v[6:7], off offset:2048
	s_wait_loadcnt 0x1
	v_sub_co_u32 v12, vcc_lo, v12, s24
	s_wait_alu 0xfffd
	v_subrev_co_ci_u32_e64 v13, null, 0, v13, vcc_lo
	s_delay_alu instid0(VALU_DEP_1) | instskip(SKIP_2) | instid1(VALU_DEP_1)
	v_cmp_lt_i64_e32 vcc_lo, v[4:5], v[12:13]
	s_wait_loadcnt 0x0
	v_subrev_nc_u32_e32 v12, s24, v14
	v_ashrrev_i32_e32 v13, 31, v12
	s_wait_alu 0xfffd
	v_dual_cndmask_b32 v9, v11, v9 :: v_dual_cndmask_b32 v8, v10, v8
	s_delay_alu instid0(VALU_DEP_1)
	v_cmpx_ne_u64_e64 v[8:9], v[12:13]
	s_cbranch_execz .LBB49_101
; %bb.96:
	s_load_b64 s[34:35], s[10:11], 0x0
	s_wait_kmcnt 0x0
	s_sub_nc_u64 s[34:35], s[34:35], s[24:25]
	s_wait_alu 0xfffe
	v_cmp_gt_i64_e32 vcc_lo, s[34:35], v[4:5]
	s_and_b32 exec_lo, exec_lo, vcc_lo
	s_cbranch_execz .LBB49_101
; %bb.97:
	v_cmp_gt_i64_e32 vcc_lo, s[12:13], v[12:13]
	v_cmp_le_i64_e64 s0, s[18:19], v[12:13]
	s_or_b32 s0, vcc_lo, s0
	s_wait_alu 0xfffe
	s_and_saveexec_b32 s29, s0
	s_wait_alu 0xfffe
	s_xor_b32 s0, exec_lo, s29
	s_cbranch_execz .LBB49_99
; %bb.98:
	v_add_co_u32 v4, vcc_lo, s14, v8
	s_wait_alu 0xfffd
	v_add_co_ci_u32_e64 v5, null, s15, v9, vcc_lo
	ds_load_b32 v9, v16 offset:2048
	global_load_i8 v8, v[4:5], off
	v_lshlrev_b64_e32 v[4:5], 2, v[12:13]
	s_delay_alu instid0(VALU_DEP_1) | instskip(SKIP_1) | instid1(VALU_DEP_2)
	v_add_co_u32 v4, vcc_lo, s20, v4
	s_wait_alu 0xfffd
	v_add_co_ci_u32_e64 v5, null, s21, v5, vcc_lo
	s_wait_loadcnt_dscnt 0x0
	v_mul_lo_u32 v8, v9, v8
	global_atomic_add_u32 v[4:5], v8, off scope:SCOPE_DEV
                                        ; implicit-def: $vgpr8_vgpr9
.LBB49_99:
	s_wait_alu 0xfffe
	s_and_not1_saveexec_b32 s0, s0
	s_cbranch_execz .LBB49_101
; %bb.100:
	v_add_co_u32 v4, vcc_lo, s14, v8
	s_wait_alu 0xfffd
	v_add_co_ci_u32_e64 v5, null, s15, v9, vcc_lo
	v_subrev_nc_u32_e32 v8, s12, v12
	global_load_i8 v4, v[4:5], off
	ds_load_b32 v5, v16 offset:2048
	s_wait_loadcnt_dscnt 0x0
	v_mul_lo_u32 v4, v5, v4
	v_lshl_add_u32 v5, v8, 2, 0x1000
	ds_add_u32 v5, v4
.LBB49_101:
	s_wait_alu 0xfffe
	s_or_b32 exec_lo, exec_lo, s7
	v_add_co_u32 v4, vcc_lo, s14, v12
	s_wait_alu 0xfffd
	v_add_co_ci_u32_e64 v5, null, s15, v13, vcc_lo
	v_cmp_ne_u32_e32 vcc_lo, 1, v18
	v_dual_mov_b32 v8, s30 :: v_dual_mov_b32 v9, s31
	global_load_i8 v4, v[4:5], off
	ds_load_b32 v5, v16 offset:2048
	s_and_b32 vcc_lo, exec_lo, vcc_lo
	s_wait_loadcnt_dscnt 0x0
	v_mul_lo_u32 v10, v5, v4
	v_dual_mov_b32 v4, s16 :: v_dual_mov_b32 v5, s17
	ds_store_b32 v16, v10 offset:2048
	s_wait_alu 0xfffe
	s_cbranch_vccnz .LBB49_105
; %bb.102:
	v_dual_mov_b32 v4, s16 :: v_dual_mov_b32 v5, s17
	v_dual_mov_b32 v8, s30 :: v_dual_mov_b32 v9, s31
	s_mov_b32 s7, 0
.LBB49_103:                             ; =>This Inner Loop Header: Depth=1
	s_delay_alu instid0(VALU_DEP_1) | instskip(SKIP_1) | instid1(VALU_DEP_2)
	v_add_co_u32 v10, vcc_lo, v8, v4
	s_wait_alu 0xfffd
	v_add_co_ci_u32_e64 v11, null, v9, v5, vcc_lo
	s_delay_alu instid0(VALU_DEP_1) | instskip(NEXT) | instid1(VALU_DEP_1)
	v_lshrrev_b32_e32 v12, 31, v11
	v_add_co_u32 v10, vcc_lo, v10, v12
	s_wait_alu 0xfffd
	v_add_co_ci_u32_e64 v11, null, 0, v11, vcc_lo
	s_delay_alu instid0(VALU_DEP_1) | instskip(NEXT) | instid1(VALU_DEP_1)
	v_ashrrev_i64 v[10:11], 1, v[10:11]
	v_lshlrev_b64_e32 v[12:13], 3, v[10:11]
	s_delay_alu instid0(VALU_DEP_1) | instskip(SKIP_1) | instid1(VALU_DEP_2)
	v_add_co_u32 v12, vcc_lo, s8, v12
	s_wait_alu 0xfffd
	v_add_co_ci_u32_e64 v13, null, s9, v13, vcc_lo
	global_load_b64 v[12:13], v[12:13], off
	s_wait_loadcnt 0x0
	v_sub_co_u32 v12, vcc_lo, v12, s24
	s_wait_alu 0xfffd
	v_subrev_co_ci_u32_e64 v13, null, 0, v13, vcc_lo
	s_delay_alu instid0(VALU_DEP_1) | instskip(SKIP_3) | instid1(VALU_DEP_2)
	v_cmp_lt_i64_e32 vcc_lo, v[2:3], v[12:13]
	s_wait_alu 0xfffd
	v_dual_cndmask_b32 v9, v9, v11 :: v_dual_cndmask_b32 v8, v8, v10
	v_dual_cndmask_b32 v5, v11, v5 :: v_dual_cndmask_b32 v4, v10, v4
	v_add_co_u32 v10, vcc_lo, v8, -1
	s_wait_alu 0xfffd
	s_delay_alu instid0(VALU_DEP_3) | instskip(NEXT) | instid1(VALU_DEP_3)
	v_add_co_ci_u32_e64 v11, null, -1, v9, vcc_lo
	v_cmp_ge_i64_e32 vcc_lo, v[4:5], v[8:9]
	s_delay_alu instid0(VALU_DEP_2)
	v_cmp_eq_u64_e64 s0, v[4:5], v[10:11]
	s_or_b32 s0, vcc_lo, s0
	s_wait_alu 0xfffe
	s_and_b32 s0, exec_lo, s0
	s_wait_alu 0xfffe
	s_or_b32 s7, s0, s7
	s_wait_alu 0xfffe
	s_and_not1_b32 exec_lo, exec_lo, s7
	s_cbranch_execnz .LBB49_103
; %bb.104:
	s_or_b32 exec_lo, exec_lo, s7
.LBB49_105:
	v_lshlrev_b64_e32 v[10:11], 3, v[8:9]
	s_mov_b32 s7, exec_lo
	s_delay_alu instid0(VALU_DEP_1) | instskip(SKIP_1) | instid1(VALU_DEP_2)
	v_add_co_u32 v10, vcc_lo, s8, v10
	s_wait_alu 0xfffd
	v_add_co_ci_u32_e64 v11, null, s9, v11, vcc_lo
	global_load_b64 v[10:11], v[10:11], off
	global_load_b32 v12, v[6:7], off offset:3072
	s_wait_loadcnt 0x1
	v_sub_co_u32 v6, vcc_lo, v10, s24
	s_wait_alu 0xfffd
	v_subrev_co_ci_u32_e64 v7, null, 0, v11, vcc_lo
	s_delay_alu instid0(VALU_DEP_1) | instskip(SKIP_2) | instid1(VALU_DEP_1)
	v_cmp_lt_i64_e32 vcc_lo, v[2:3], v[6:7]
	s_wait_loadcnt 0x0
	v_subrev_nc_u32_e32 v6, s24, v12
	v_ashrrev_i32_e32 v7, 31, v6
	s_wait_alu 0xfffd
	v_dual_cndmask_b32 v5, v9, v5 :: v_dual_cndmask_b32 v4, v8, v4
	s_delay_alu instid0(VALU_DEP_1)
	v_cmpx_ne_u64_e64 v[4:5], v[6:7]
	s_cbranch_execz .LBB49_111
; %bb.106:
	s_load_b64 s[10:11], s[10:11], 0x0
	s_wait_kmcnt 0x0
	s_sub_nc_u64 s[10:11], s[10:11], s[24:25]
	s_wait_alu 0xfffe
	v_cmp_gt_i64_e32 vcc_lo, s[10:11], v[2:3]
	s_and_b32 exec_lo, exec_lo, vcc_lo
	s_cbranch_execz .LBB49_111
; %bb.107:
	v_cmp_gt_i64_e32 vcc_lo, s[12:13], v[6:7]
	v_cmp_le_i64_e64 s0, s[18:19], v[6:7]
	s_or_b32 s0, vcc_lo, s0
	s_wait_alu 0xfffe
	s_and_saveexec_b32 s10, s0
	s_wait_alu 0xfffe
	s_xor_b32 s0, exec_lo, s10
	s_cbranch_execz .LBB49_109
; %bb.108:
	v_add_co_u32 v2, vcc_lo, s14, v4
	s_wait_alu 0xfffd
	v_add_co_ci_u32_e64 v3, null, s15, v5, vcc_lo
	ds_load_b32 v5, v16 offset:3072
	global_load_i8 v4, v[2:3], off
	v_lshlrev_b64_e32 v[2:3], 2, v[6:7]
	s_delay_alu instid0(VALU_DEP_1) | instskip(SKIP_1) | instid1(VALU_DEP_2)
	v_add_co_u32 v2, vcc_lo, s20, v2
	s_wait_alu 0xfffd
	v_add_co_ci_u32_e64 v3, null, s21, v3, vcc_lo
	s_wait_loadcnt_dscnt 0x0
	v_mul_lo_u32 v4, v5, v4
	global_atomic_add_u32 v[2:3], v4, off scope:SCOPE_DEV
                                        ; implicit-def: $vgpr4_vgpr5
.LBB49_109:
	s_wait_alu 0xfffe
	s_and_not1_saveexec_b32 s0, s0
	s_cbranch_execz .LBB49_111
; %bb.110:
	v_add_co_u32 v2, vcc_lo, s14, v4
	s_wait_alu 0xfffd
	v_add_co_ci_u32_e64 v3, null, s15, v5, vcc_lo
	v_subrev_nc_u32_e32 v4, s12, v6
	global_load_i8 v2, v[2:3], off
	ds_load_b32 v3, v16 offset:3072
	s_wait_loadcnt_dscnt 0x0
	v_mul_lo_u32 v2, v3, v2
	v_lshl_add_u32 v3, v4, 2, 0x1000
	ds_add_u32 v3, v2
.LBB49_111:
	s_wait_alu 0xfffe
	s_or_b32 exec_lo, exec_lo, s7
	v_add_co_u32 v2, vcc_lo, s14, v6
	s_wait_alu 0xfffd
	v_add_co_ci_u32_e64 v3, null, s15, v7, vcc_lo
	global_load_i8 v2, v[2:3], off
	ds_load_b32 v3, v16 offset:3072
	s_wait_loadcnt_dscnt 0x0
	v_mul_lo_u32 v2, v3, v2
	ds_store_b32 v16, v2 offset:3072
.LBB49_112:
	s_wait_alu 0xfffe
	s_or_b32 exec_lo, exec_lo, s1
	v_cmp_lt_i64_e64 s0, s[18:19], s[2:3]
	s_mov_b32 s1, exec_lo
	s_wait_storecnt 0x0
	s_wait_loadcnt_dscnt 0x0
	s_barrier_signal -1
	s_barrier_wait -1
	global_inv scope:SCOPE_SE
	s_and_b32 s0, s0, exec_lo
	s_cselect_b32 s13, s19, s3
	s_cselect_b32 s12, s18, s2
	s_wait_alu 0xfffe
	s_sub_nc_u64 s[10:11], s[12:13], s[22:23]
	s_wait_alu 0xfffe
	v_cmpx_gt_i64_e64 s[10:11], v[0:1]
	s_cbranch_execz .LBB49_115
; %bb.113:
	v_cmp_gt_i64_e64 s0, s[18:19], s[2:3]
	v_dual_mov_b32 v5, v1 :: v_dual_lshlrev_b32 v2, 2, v0
	v_mov_b32_e32 v4, v0
	s_and_b32 s0, s0, exec_lo
	s_cselect_b32 s15, s19, s3
	s_cselect_b32 s14, s18, s2
	s_lshl_b64 s[2:3], s[2:3], 2
	s_wait_alu 0xfffe
	s_lshl_b64 s[14:15], s[14:15], 2
	s_wait_alu 0xfffe
	v_add_co_u32 v2, s0, s14, v2
	s_wait_alu 0xf1ff
	v_add_co_ci_u32_e64 v3, null, s15, 0, s0
	s_delay_alu instid0(VALU_DEP_2) | instskip(SKIP_1) | instid1(VALU_DEP_2)
	v_sub_co_u32 v2, vcc_lo, v2, s2
	s_wait_alu 0xfffd
	v_subrev_co_ci_u32_e64 v3, null, s3, v3, vcc_lo
	s_mov_b32 s2, 0
	v_add_co_u32 v2, vcc_lo, s20, v2
	s_wait_alu 0xfffd
	v_add_co_ci_u32_e64 v3, null, s21, v3, vcc_lo
.LBB49_114:                             ; =>This Inner Loop Header: Depth=1
	ds_load_b32 v6, v17
	v_add_co_u32 v4, vcc_lo, 0x100, v4
	s_wait_alu 0xfffd
	v_add_co_ci_u32_e64 v5, null, 0, v5, vcc_lo
	v_add_nc_u32_e32 v17, 0x400, v17
	s_delay_alu instid0(VALU_DEP_2)
	v_cmp_le_i64_e32 vcc_lo, s[10:11], v[4:5]
	s_wait_alu 0xfffe
	s_or_b32 s2, vcc_lo, s2
	s_wait_dscnt 0x0
	global_atomic_add_u32 v[2:3], v6, off scope:SCOPE_DEV
	v_add_co_u32 v2, s0, 0x400, v2
	s_wait_alu 0xf1ff
	v_add_co_ci_u32_e64 v3, null, 0, v3, s0
	s_wait_alu 0xfffe
	s_and_not1_b32 exec_lo, exec_lo, s2
	s_cbranch_execnz .LBB49_114
.LBB49_115:
	s_or_b32 exec_lo, exec_lo, s1
	s_add_co_i32 s0, s28, -1
	v_add_co_u32 v6, s2, s16, v0
	s_wait_alu 0xfffe
	s_ashr_i32 s1, s0, 1
	v_add_co_ci_u32_e64 v7, null, s17, 0, s2
	s_wait_alu 0xfffe
	s_or_b32 s0, s1, s0
	s_wait_loadcnt 0x0
	s_wait_storecnt 0x0
	s_wait_alu 0xfffe
	s_ashr_i32 s1, s0, 2
	s_barrier_signal -1
	s_wait_alu 0xfffe
	s_or_b32 s0, s1, s0
	s_barrier_wait -1
	s_wait_alu 0xfffe
	s_ashr_i32 s1, s0, 4
	global_inv scope:SCOPE_SE
	s_wait_alu 0xfffe
	s_or_b32 s0, s1, s0
	s_wait_alu 0xfffe
	s_ashr_i32 s1, s0, 8
	s_wait_alu 0xfffe
	s_or_b32 s0, s1, s0
	s_wait_alu 0xfffe
	s_ashr_i32 s1, s0, 16
	s_wait_alu 0xfffe
	s_or_b32 s1, s1, s0
	s_mov_b32 s0, -1
	s_wait_alu 0xfffe
	s_add_co_i32 s1, s1, 1
	s_wait_alu 0xfffe
	s_ashr_i32 s2, s1, 1
	s_wait_alu 0xfffe
	s_cmp_gt_i32 s2, 1
	s_cbranch_scc1 .LBB49_124
; %bb.116:
	s_mov_b32 s0, exec_lo
	v_cmpx_gt_i64_e64 s[18:19], v[6:7]
	s_cbranch_execz .LBB49_123
; %bb.117:
	s_sub_co_i32 s1, s12, s18
	v_dual_mov_b32 v9, v7 :: v_dual_mov_b32 v8, v6
	s_lshl_b32 s7, s4, 2
	s_wait_alu 0xfffe
	s_lshl_b32 s1, s1, 2
	s_mov_b32 s3, 0
	s_wait_alu 0xfffe
	s_addk_co_i32 s1, 0x1000
	s_sub_co_i32 s7, 0, s7
	s_branch .LBB49_119
.LBB49_118:                             ;   in Loop: Header=BB49_119 Depth=1
	s_wait_alu 0xfffe
	s_or_b32 exec_lo, exec_lo, s11
	v_lshl_add_u32 v2, v8, 2, s1
	ds_load_b32 v4, v2
	v_lshlrev_b64_e32 v[2:3], 2, v[8:9]
	s_delay_alu instid0(VALU_DEP_1) | instskip(SKIP_1) | instid1(VALU_DEP_2)
	v_add_co_u32 v2, vcc_lo, s20, v2
	s_wait_alu 0xfffd
	v_add_co_ci_u32_e64 v3, null, s21, v3, vcc_lo
	v_add_co_u32 v8, vcc_lo, v8, s6
	s_wait_alu 0xfffd
	v_add_co_ci_u32_e64 v9, null, 0, v9, vcc_lo
	s_delay_alu instid0(VALU_DEP_1)
	v_cmp_le_i64_e32 vcc_lo, s[18:19], v[8:9]
	s_wait_dscnt 0x0
	v_add_nc_u32_e32 v4, v4, v12
	s_or_b32 s3, vcc_lo, s3
	global_atomic_add_u32 v[2:3], v4, off scope:SCOPE_DEV
	s_wait_alu 0xfffe
	s_and_not1_b32 exec_lo, exec_lo, s3
	s_cbranch_execz .LBB49_123
.LBB49_119:                             ; =>This Loop Header: Depth=1
                                        ;     Child Loop BB49_121 Depth 2
	v_lshlrev_b64_e32 v[2:3], 3, v[8:9]
	v_mov_b32_e32 v12, 0
	s_mov_b32 s11, exec_lo
	s_delay_alu instid0(VALU_DEP_2) | instskip(SKIP_1) | instid1(VALU_DEP_3)
	v_add_co_u32 v2, vcc_lo, s8, v2
	s_wait_alu 0xfffd
	v_add_co_ci_u32_e64 v3, null, s9, v3, vcc_lo
	global_load_b128 v[2:5], v[2:3], off
	s_wait_loadcnt 0x0
	v_cmpx_lt_i64_e64 v[2:3], v[4:5]
	s_cbranch_execz .LBB49_118
; %bb.120:                              ;   in Loop: Header=BB49_119 Depth=1
	v_sub_co_u32 v4, vcc_lo, v4, s4
	s_wait_alu 0xfffd
	v_subrev_co_ci_u32_e64 v5, null, s5, v5, vcc_lo
	v_sub_co_u32 v10, vcc_lo, v2, s4
	s_wait_alu 0xfffd
	v_subrev_co_ci_u32_e64 v11, null, s5, v3, vcc_lo
	s_wait_alu 0xfffe
	v_lshl_add_u32 v2, v2, 2, s7
	v_mov_b32_e32 v12, 0
	s_mov_b32 s12, 0
.LBB49_121:                             ;   Parent Loop BB49_119 Depth=1
                                        ; =>  This Inner Loop Header: Depth=2
	ds_load_b32 v3, v2
	v_add_co_u32 v10, vcc_lo, v10, 1
	s_wait_alu 0xfffd
	v_add_co_ci_u32_e64 v11, null, 0, v11, vcc_lo
	v_add_nc_u32_e32 v2, 4, v2
	s_delay_alu instid0(VALU_DEP_2)
	v_cmp_ge_i64_e32 vcc_lo, v[10:11], v[4:5]
	s_wait_alu 0xfffe
	s_or_b32 s12, vcc_lo, s12
	s_wait_dscnt 0x0
	v_add_nc_u32_e32 v12, v3, v12
	s_wait_alu 0xfffe
	s_and_not1_b32 exec_lo, exec_lo, s12
	s_cbranch_execnz .LBB49_121
; %bb.122:                              ;   in Loop: Header=BB49_119 Depth=1
	s_or_b32 exec_lo, exec_lo, s12
	s_branch .LBB49_118
.LBB49_123:
	s_wait_alu 0xfffe
	s_or_b32 exec_lo, exec_lo, s0
	s_mov_b32 s0, 0
.LBB49_124:
	s_wait_alu 0xfffe
	s_and_not1_b32 vcc_lo, exec_lo, s0
	s_wait_alu 0xfffe
	s_cbranch_vccnz .LBB49_141
; %bb.125:
	s_cvt_f32_u32 s0, s2
	s_sub_co_i32 s1, 0, s2
	s_wait_alu 0xfffe
	s_delay_alu instid0(SALU_CYCLE_1) | instskip(NEXT) | instid1(TRANS32_DEP_1)
	v_rcp_iflag_f32_e32 v2, s0
	v_readfirstlane_b32 s0, v2
	s_mul_f32 s0, s0, 0x4f7ffffe
	s_wait_alu 0xfffe
	s_delay_alu instid0(SALU_CYCLE_2) | instskip(SKIP_1) | instid1(SALU_CYCLE_2)
	s_cvt_u32_f32 s0, s0
	s_wait_alu 0xfffe
	s_mul_i32 s3, s1, s0
	s_wait_alu 0xfffe
	s_mul_hi_u32 s3, s0, s3
	s_wait_alu 0xfffe
	s_add_co_i32 s0, s0, s3
	s_mov_b32 s3, 0
	s_wait_alu 0xfffe
	v_mul_hi_u32 v2, v0, s0
	s_mov_b32 s0, exec_lo
	s_delay_alu instid0(VALU_DEP_1) | instskip(NEXT) | instid1(VALU_DEP_1)
	v_mul_lo_u32 v3, v2, s2
	v_sub_nc_u32_e32 v3, v0, v3
	s_delay_alu instid0(VALU_DEP_1) | instskip(SKIP_2) | instid1(VALU_DEP_2)
	v_subrev_nc_u32_e32 v5, s2, v3
	v_cmp_le_u32_e32 vcc_lo, s2, v3
	s_wait_alu 0xfffd
	v_dual_cndmask_b32 v3, v3, v5 :: v_dual_add_nc_u32 v4, 1, v2
	s_delay_alu instid0(VALU_DEP_1) | instskip(NEXT) | instid1(VALU_DEP_2)
	v_dual_cndmask_b32 v2, v2, v4 :: v_dual_mov_b32 v5, 0
	v_cmp_le_u32_e32 vcc_lo, s2, v3
	s_delay_alu instid0(VALU_DEP_2) | instskip(SKIP_1) | instid1(VALU_DEP_1)
	v_add_nc_u32_e32 v4, 1, v2
	s_wait_alu 0xfffd
	v_cndmask_b32_e32 v4, v2, v4, vcc_lo
	s_delay_alu instid0(VALU_DEP_1) | instskip(NEXT) | instid1(VALU_DEP_1)
	v_lshlrev_b64_e32 v[2:3], 3, v[4:5]
	v_add_co_u32 v2, vcc_lo, s26, v2
	s_wait_alu 0xfffd
	s_delay_alu instid0(VALU_DEP_2)
	v_add_co_ci_u32_e64 v3, null, s27, v3, vcc_lo
	global_load_b128 v[8:11], v[2:3], off
	s_wait_loadcnt 0x0
	v_sub_co_u32 v2, vcc_lo, v8, s4
	s_wait_alu 0xfffd
	v_subrev_co_ci_u32_e64 v3, null, s5, v9, vcc_lo
	v_sub_co_u32 v12, vcc_lo, v10, s4
	s_wait_alu 0xfffd
	v_subrev_co_ci_u32_e64 v13, null, s5, v11, vcc_lo
	v_mov_b32_e32 v8, v5
	s_delay_alu instid0(VALU_DEP_3) | instskip(SKIP_1) | instid1(VALU_DEP_3)
	v_sub_co_u32 v14, vcc_lo, v12, v2
	s_wait_alu 0xfffd
	v_sub_co_ci_u32_e64 v9, null, v13, v3, vcc_lo
                                        ; implicit-def: $vgpr10_vgpr11
	s_delay_alu instid0(VALU_DEP_1)
	v_cmpx_ne_u64_e32 0, v[8:9]
	s_wait_alu 0xfffe
	s_xor_b32 s6, exec_lo, s0
	s_cbranch_execz .LBB49_127
; %bb.126:
	s_add_nc_u64 s[4:5], s[2:3], 0
	s_mov_b32 s15, s3
	s_wait_alu 0xfffe
	s_xor_b64 s[4:5], s[4:5], 0
	s_mov_b32 s19, s3
	s_wait_alu 0xfffe
	s_cvt_f32_u32 s0, s4
	s_cvt_f32_u32 s7, s5
	s_sub_nc_u64 s[12:13], 0, s[4:5]
	v_ashrrev_i32_e32 v17, 31, v9
	s_wait_alu 0xfffe
	s_fmamk_f32 s0, s7, 0x4f800000, s0
	s_delay_alu instid0(VALU_DEP_1) | instskip(SKIP_1) | instid1(SALU_CYCLE_1)
	v_add_co_u32 v8, vcc_lo, v14, v17
	s_wait_alu 0xfffe
	v_s_rcp_f32 s0, s0
	s_wait_alu 0xfffd
	v_add_co_ci_u32_e64 v9, null, v9, v17, vcc_lo
	v_xor_b32_e32 v18, v8, v17
	s_delay_alu instid0(VALU_DEP_2) | instskip(NEXT) | instid1(TRANS32_DEP_1)
	v_xor_b32_e32 v19, v9, v17
	s_mul_f32 s0, s0, 0x5f7ffffc
	s_wait_alu 0xfffe
	s_delay_alu instid0(SALU_CYCLE_2) | instskip(SKIP_1) | instid1(SALU_CYCLE_2)
	s_mul_f32 s7, s0, 0x2f800000
	s_wait_alu 0xfffe
	s_trunc_f32 s7, s7
	s_wait_alu 0xfffe
	s_delay_alu instid0(SALU_CYCLE_2) | instskip(SKIP_2) | instid1(SALU_CYCLE_1)
	s_fmamk_f32 s0, s7, 0xcf800000, s0
	s_cvt_u32_f32 s9, s7
	s_wait_alu 0xfffe
	s_cvt_u32_f32 s8, s0
	s_wait_alu 0xfffe
	s_delay_alu instid0(SALU_CYCLE_2)
	s_mul_u64 s[16:17], s[12:13], s[8:9]
	s_wait_alu 0xfffe
	s_mul_hi_u32 s25, s8, s17
	s_mul_i32 s24, s8, s17
	s_mul_hi_u32 s14, s8, s16
	s_mul_i32 s7, s9, s16
	s_wait_alu 0xfffe
	s_add_nc_u64 s[14:15], s[14:15], s[24:25]
	s_mul_hi_u32 s0, s9, s16
	s_mul_hi_u32 s11, s9, s17
	s_wait_alu 0xfffe
	s_add_co_u32 s7, s14, s7
	s_add_co_ci_u32 s18, s15, s0
	s_mul_i32 s16, s9, s17
	s_add_co_ci_u32 s17, s11, 0
	s_wait_alu 0xfffe
	s_add_nc_u64 s[14:15], s[18:19], s[16:17]
	s_mov_b32 s17, s3
	s_wait_alu 0xfffe
	s_add_co_u32 s8, s8, s14
	s_cselect_b32 s0, -1, 0
	s_wait_alu 0xfffe
	s_cmp_lg_u32 s0, 0
	s_add_co_ci_u32 s9, s9, s15
	s_mov_b32 s15, s3
	s_wait_alu 0xfffe
	s_mul_u64 s[12:13], s[12:13], s[8:9]
	s_wait_alu 0xfffe
	s_mul_hi_u32 s19, s8, s13
	s_mul_i32 s18, s8, s13
	s_mul_hi_u32 s16, s8, s12
	s_mul_i32 s3, s9, s12
	s_wait_alu 0xfffe
	s_add_nc_u64 s[16:17], s[16:17], s[18:19]
	s_mul_hi_u32 s0, s9, s12
	s_mul_hi_u32 s7, s9, s13
	s_wait_alu 0xfffe
	s_add_co_u32 s3, s16, s3
	s_add_co_ci_u32 s14, s17, s0
	s_mul_i32 s12, s9, s13
	s_add_co_ci_u32 s13, s7, 0
	s_wait_alu 0xfffe
	s_add_nc_u64 s[12:13], s[14:15], s[12:13]
	s_wait_alu 0xfffe
	s_add_co_u32 s0, s8, s12
	s_cselect_b32 s3, -1, 0
	s_wait_alu 0xfffe
	v_mul_hi_u32 v20, v18, s0
	s_cmp_lg_u32 s3, 0
	v_mad_co_u64_u32 v[10:11], null, v19, s0, 0
	s_add_co_ci_u32 s3, s9, s13
	s_wait_alu 0xfffe
	v_mad_co_u64_u32 v[8:9], null, v18, s3, 0
	v_mad_co_u64_u32 v[14:15], null, v19, s3, 0
	s_delay_alu instid0(VALU_DEP_2) | instskip(SKIP_1) | instid1(VALU_DEP_3)
	v_add_co_u32 v8, vcc_lo, v20, v8
	s_wait_alu 0xfffd
	v_add_co_ci_u32_e64 v9, null, 0, v9, vcc_lo
	s_delay_alu instid0(VALU_DEP_2) | instskip(SKIP_1) | instid1(VALU_DEP_2)
	v_add_co_u32 v8, vcc_lo, v8, v10
	s_wait_alu 0xfffd
	v_add_co_ci_u32_e32 v8, vcc_lo, v9, v11, vcc_lo
	s_wait_alu 0xfffd
	v_add_co_ci_u32_e32 v9, vcc_lo, 0, v15, vcc_lo
	s_delay_alu instid0(VALU_DEP_2) | instskip(SKIP_1) | instid1(VALU_DEP_2)
	v_add_co_u32 v10, vcc_lo, v8, v14
	s_wait_alu 0xfffd
	v_add_co_ci_u32_e64 v11, null, 0, v9, vcc_lo
	s_delay_alu instid0(VALU_DEP_2) | instskip(SKIP_1) | instid1(VALU_DEP_3)
	v_mul_lo_u32 v14, s5, v10
	v_mad_co_u64_u32 v[8:9], null, s4, v10, 0
	v_mul_lo_u32 v15, s4, v11
	s_delay_alu instid0(VALU_DEP_2) | instskip(NEXT) | instid1(VALU_DEP_2)
	v_sub_co_u32 v8, vcc_lo, v18, v8
	v_add3_u32 v9, v9, v15, v14
	v_add_co_u32 v15, s0, v10, 2
	s_wait_alu 0xf1ff
	v_add_co_ci_u32_e64 v18, null, 0, v11, s0
	s_delay_alu instid0(VALU_DEP_3) | instskip(SKIP_3) | instid1(VALU_DEP_3)
	v_sub_nc_u32_e32 v14, v19, v9
	v_sub_co_u32 v20, s0, v8, s4
	s_wait_alu 0xfffd
	v_sub_co_ci_u32_e64 v9, null, v19, v9, vcc_lo
	v_subrev_co_ci_u32_e64 v14, null, s5, v14, vcc_lo
	s_delay_alu instid0(VALU_DEP_3) | instskip(SKIP_1) | instid1(VALU_DEP_2)
	v_cmp_le_u32_e32 vcc_lo, s4, v20
	s_wait_alu 0xf1ff
	v_subrev_co_ci_u32_e64 v14, null, 0, v14, s0
	s_wait_alu 0xfffd
	v_cndmask_b32_e64 v19, 0, -1, vcc_lo
	v_cmp_eq_u32_e64 s0, s5, v9
	s_delay_alu instid0(VALU_DEP_3)
	v_cmp_le_u32_e32 vcc_lo, s5, v14
	s_wait_alu 0xfffd
	v_cndmask_b32_e64 v20, 0, -1, vcc_lo
	v_cmp_le_u32_e32 vcc_lo, s4, v8
	s_wait_alu 0xfffd
	v_cndmask_b32_e64 v8, 0, -1, vcc_lo
	;; [unrolled: 3-line block ×3, first 2 shown]
	v_cmp_eq_u32_e32 vcc_lo, s5, v14
	s_wait_alu 0xf1ff
	s_delay_alu instid0(VALU_DEP_2)
	v_cndmask_b32_e64 v8, v21, v8, s0
	s_wait_alu 0xfffd
	v_cndmask_b32_e32 v14, v20, v19, vcc_lo
	v_add_co_u32 v19, vcc_lo, v10, 1
	s_wait_alu 0xfffd
	v_add_co_ci_u32_e64 v20, null, 0, v11, vcc_lo
	s_delay_alu instid0(VALU_DEP_3) | instskip(SKIP_1) | instid1(VALU_DEP_2)
	v_cmp_ne_u32_e32 vcc_lo, 0, v14
	s_wait_alu 0xfffd
	v_dual_cndmask_b32 v9, v20, v18 :: v_dual_cndmask_b32 v14, v19, v15
	v_cmp_ne_u32_e32 vcc_lo, 0, v8
	s_wait_alu 0xfffd
	s_delay_alu instid0(VALU_DEP_2) | instskip(NEXT) | instid1(VALU_DEP_1)
	v_dual_cndmask_b32 v8, v11, v9 :: v_dual_cndmask_b32 v9, v10, v14
                                        ; implicit-def: $vgpr14
	v_xor_b32_e32 v8, v8, v17
	s_delay_alu instid0(VALU_DEP_2) | instskip(NEXT) | instid1(VALU_DEP_1)
	v_xor_b32_e32 v9, v9, v17
	v_sub_co_u32 v10, vcc_lo, v9, v17
	s_wait_alu 0xfffd
	s_delay_alu instid0(VALU_DEP_3)
	v_sub_co_ci_u32_e64 v11, null, v8, v17, vcc_lo
.LBB49_127:
	s_wait_alu 0xfffe
	s_and_not1_saveexec_b32 s0, s6
	s_cbranch_execz .LBB49_129
; %bb.128:
	v_cvt_f32_u32_e32 v8, s2
	s_delay_alu instid0(VALU_DEP_1) | instskip(NEXT) | instid1(TRANS32_DEP_1)
	v_rcp_iflag_f32_e32 v8, v8
	v_mul_f32_e32 v8, 0x4f7ffffe, v8
	s_delay_alu instid0(VALU_DEP_1) | instskip(NEXT) | instid1(VALU_DEP_1)
	v_cvt_u32_f32_e32 v8, v8
	v_mul_lo_u32 v9, s1, v8
	s_delay_alu instid0(VALU_DEP_1) | instskip(NEXT) | instid1(VALU_DEP_1)
	v_mul_hi_u32 v9, v8, v9
	v_add_nc_u32_e32 v8, v8, v9
	s_delay_alu instid0(VALU_DEP_1) | instskip(NEXT) | instid1(VALU_DEP_1)
	v_mul_hi_u32 v8, v14, v8
	v_mul_lo_u32 v9, v8, s2
	v_add_nc_u32_e32 v10, 1, v8
	s_delay_alu instid0(VALU_DEP_2) | instskip(NEXT) | instid1(VALU_DEP_1)
	v_sub_nc_u32_e32 v9, v14, v9
	v_subrev_nc_u32_e32 v11, s2, v9
	v_cmp_le_u32_e32 vcc_lo, s2, v9
	s_wait_alu 0xfffd
	s_delay_alu instid0(VALU_DEP_2) | instskip(SKIP_1) | instid1(VALU_DEP_2)
	v_dual_cndmask_b32 v9, v9, v11 :: v_dual_cndmask_b32 v8, v8, v10
	v_mov_b32_e32 v11, 0
	v_cmp_le_u32_e32 vcc_lo, s2, v9
	s_delay_alu instid0(VALU_DEP_3) | instskip(SKIP_1) | instid1(VALU_DEP_1)
	v_add_nc_u32_e32 v10, 1, v8
	s_wait_alu 0xfffd
	v_cndmask_b32_e32 v10, v8, v10, vcc_lo
.LBB49_129:
	s_wait_alu 0xfffe
	s_or_b32 exec_lo, exec_lo, s0
	v_mov_b32_e32 v14, 0
	s_mov_b32 s0, exec_lo
	v_cmpx_gt_i64_e64 s[22:23], v[4:5]
	s_cbranch_execz .LBB49_137
; %bb.130:
	s_add_co_i32 s1, s2, -1
	s_wait_alu 0xfffe
	v_and_b32_e32 v4, s1, v0
	v_mov_b32_e32 v14, 0
	s_mov_b32 s1, exec_lo
	s_delay_alu instid0(VALU_DEP_2)
	v_lshlrev_b32_e32 v15, 2, v4
	v_cmpx_lt_i64_e32 0, v[10:11]
	s_cbranch_execz .LBB49_134
; %bb.131:
	v_mov_b32_e32 v8, v10
	s_delay_alu instid0(VALU_DEP_3)
	v_lshl_add_u32 v5, v2, 2, v15
	v_dual_mov_b32 v14, 0 :: v_dual_mov_b32 v9, v11
	s_lshl_b32 s4, s2, 2
	s_mov_b32 s3, 0
.LBB49_132:                             ; =>This Inner Loop Header: Depth=1
	ds_load_b32 v17, v5
	v_add_co_u32 v8, vcc_lo, v8, -1
	s_wait_alu 0xfffd
	v_add_co_ci_u32_e64 v9, null, -1, v9, vcc_lo
	s_wait_alu 0xfffe
	v_add_nc_u32_e32 v5, s4, v5
	s_delay_alu instid0(VALU_DEP_2)
	v_cmp_eq_u64_e32 vcc_lo, 0, v[8:9]
	s_or_b32 s3, vcc_lo, s3
	s_wait_dscnt 0x0
	v_add_nc_u32_e32 v14, v17, v14
	s_wait_alu 0xfffe
	s_and_not1_b32 exec_lo, exec_lo, s3
	s_cbranch_execnz .LBB49_132
; %bb.133:
	s_or_b32 exec_lo, exec_lo, s3
.LBB49_134:
	s_wait_alu 0xfffe
	s_or_b32 exec_lo, exec_lo, s1
	v_mad_co_u64_u32 v[2:3], null, v10, s2, v[2:3]
	v_mov_b32_e32 v5, 0
	s_mov_b32 s1, exec_lo
	s_delay_alu instid0(VALU_DEP_2) | instskip(NEXT) | instid1(VALU_DEP_3)
	v_mad_co_u64_u32 v[8:9], null, v11, s2, v[3:4]
	v_sub_co_u32 v9, vcc_lo, v12, v2
	s_wait_alu 0xfffd
	s_delay_alu instid0(VALU_DEP_2) | instskip(NEXT) | instid1(VALU_DEP_1)
	v_sub_co_ci_u32_e64 v10, null, v13, v8, vcc_lo
	v_cmpx_gt_i64_e64 v[9:10], v[4:5]
	s_cbranch_execz .LBB49_136
; %bb.135:
	v_lshl_add_u32 v2, v2, 2, v15
	ds_load_b32 v2, v2
	s_wait_dscnt 0x0
	v_add_nc_u32_e32 v14, v2, v14
.LBB49_136:
	s_wait_alu 0xfffe
	s_or_b32 exec_lo, exec_lo, s1
.LBB49_137:
	s_wait_alu 0xfffe
	s_or_b32 exec_lo, exec_lo, s0
	s_wait_storecnt 0x0
	s_barrier_signal -1
	s_barrier_wait -1
	global_inv scope:SCOPE_SE
	ds_store_b32 v16, v14
	s_wait_loadcnt_dscnt 0x0
	s_barrier_signal -1
	s_barrier_wait -1
	global_inv scope:SCOPE_SE
	s_mov_b32 s0, exec_lo
	v_cmpx_gt_i64_e64 s[22:23], v[0:1]
	s_cbranch_execz .LBB49_141
; %bb.138:
	v_mul_lo_u32 v1, s2, v0
	s_delay_alu instid0(VALU_DEP_1)
	v_dual_mov_b32 v1, 0 :: v_dual_lshlrev_b32 v2, 2, v1
.LBB49_139:                             ; =>This Inner Loop Header: Depth=1
	ds_load_b32 v3, v2
	v_add_nc_u32_e32 v2, 4, v2
	s_add_co_i32 s2, s2, -1
	s_wait_alu 0xfffe
	s_cmp_eq_u32 s2, 0
	s_wait_dscnt 0x0
	v_add_nc_u32_e32 v1, v3, v1
	s_cbranch_scc0 .LBB49_139
; %bb.140:
	v_lshlrev_b32_e32 v0, 2, v0
	s_lshl_b32 s0, s10, 2
	v_lshlrev_b64_e32 v[2:3], 2, v[6:7]
	s_wait_alu 0xfffe
	s_delay_alu instid0(VALU_DEP_2)
	v_add3_u32 v0, 0x1000, s0, v0
	ds_load_b32 v0, v0
	s_wait_dscnt 0x0
	v_add_nc_u32_e32 v4, v0, v1
	v_add_co_u32 v0, vcc_lo, s20, v2
	s_wait_alu 0xfffd
	v_add_co_ci_u32_e64 v1, null, s21, v3, vcc_lo
	global_atomic_add_u32 v[0:1], v4, off scope:SCOPE_DEV
.LBB49_141:
	s_endpgm
	.section	.rodata,"a",@progbits
	.p2align	6, 0x0
	.amdhsa_kernel _ZN9rocsparseL27csrmvn_symm_adaptive_kernelIliaaiiEEvbT_S1_PKS1_NS_24const_host_device_scalarIT4_EES3_PKT0_PKT1_PKT2_S6_PT3_21rocsparse_index_base_b
		.amdhsa_group_segment_fixed_size 4096
		.amdhsa_private_segment_fixed_size 0
		.amdhsa_kernarg_size 352
		.amdhsa_user_sgpr_count 2
		.amdhsa_user_sgpr_dispatch_ptr 0
		.amdhsa_user_sgpr_queue_ptr 0
		.amdhsa_user_sgpr_kernarg_segment_ptr 1
		.amdhsa_user_sgpr_dispatch_id 0
		.amdhsa_user_sgpr_private_segment_size 0
		.amdhsa_wavefront_size32 1
		.amdhsa_uses_dynamic_stack 0
		.amdhsa_enable_private_segment 0
		.amdhsa_system_sgpr_workgroup_id_x 1
		.amdhsa_system_sgpr_workgroup_id_y 0
		.amdhsa_system_sgpr_workgroup_id_z 0
		.amdhsa_system_sgpr_workgroup_info 0
		.amdhsa_system_vgpr_workitem_id 0
		.amdhsa_next_free_vgpr 22
		.amdhsa_next_free_sgpr 42
		.amdhsa_reserve_vcc 1
		.amdhsa_float_round_mode_32 0
		.amdhsa_float_round_mode_16_64 0
		.amdhsa_float_denorm_mode_32 3
		.amdhsa_float_denorm_mode_16_64 3
		.amdhsa_fp16_overflow 0
		.amdhsa_workgroup_processor_mode 1
		.amdhsa_memory_ordered 1
		.amdhsa_forward_progress 1
		.amdhsa_inst_pref_size 75
		.amdhsa_round_robin_scheduling 0
		.amdhsa_exception_fp_ieee_invalid_op 0
		.amdhsa_exception_fp_denorm_src 0
		.amdhsa_exception_fp_ieee_div_zero 0
		.amdhsa_exception_fp_ieee_overflow 0
		.amdhsa_exception_fp_ieee_underflow 0
		.amdhsa_exception_fp_ieee_inexact 0
		.amdhsa_exception_int_div_zero 0
	.end_amdhsa_kernel
	.section	.text._ZN9rocsparseL27csrmvn_symm_adaptive_kernelIliaaiiEEvbT_S1_PKS1_NS_24const_host_device_scalarIT4_EES3_PKT0_PKT1_PKT2_S6_PT3_21rocsparse_index_base_b,"axG",@progbits,_ZN9rocsparseL27csrmvn_symm_adaptive_kernelIliaaiiEEvbT_S1_PKS1_NS_24const_host_device_scalarIT4_EES3_PKT0_PKT1_PKT2_S6_PT3_21rocsparse_index_base_b,comdat
.Lfunc_end49:
	.size	_ZN9rocsparseL27csrmvn_symm_adaptive_kernelIliaaiiEEvbT_S1_PKS1_NS_24const_host_device_scalarIT4_EES3_PKT0_PKT1_PKT2_S6_PT3_21rocsparse_index_base_b, .Lfunc_end49-_ZN9rocsparseL27csrmvn_symm_adaptive_kernelIliaaiiEEvbT_S1_PKS1_NS_24const_host_device_scalarIT4_EES3_PKT0_PKT1_PKT2_S6_PT3_21rocsparse_index_base_b
                                        ; -- End function
	.set _ZN9rocsparseL27csrmvn_symm_adaptive_kernelIliaaiiEEvbT_S1_PKS1_NS_24const_host_device_scalarIT4_EES3_PKT0_PKT1_PKT2_S6_PT3_21rocsparse_index_base_b.num_vgpr, 22
	.set _ZN9rocsparseL27csrmvn_symm_adaptive_kernelIliaaiiEEvbT_S1_PKS1_NS_24const_host_device_scalarIT4_EES3_PKT0_PKT1_PKT2_S6_PT3_21rocsparse_index_base_b.num_agpr, 0
	.set _ZN9rocsparseL27csrmvn_symm_adaptive_kernelIliaaiiEEvbT_S1_PKS1_NS_24const_host_device_scalarIT4_EES3_PKT0_PKT1_PKT2_S6_PT3_21rocsparse_index_base_b.numbered_sgpr, 42
	.set _ZN9rocsparseL27csrmvn_symm_adaptive_kernelIliaaiiEEvbT_S1_PKS1_NS_24const_host_device_scalarIT4_EES3_PKT0_PKT1_PKT2_S6_PT3_21rocsparse_index_base_b.num_named_barrier, 0
	.set _ZN9rocsparseL27csrmvn_symm_adaptive_kernelIliaaiiEEvbT_S1_PKS1_NS_24const_host_device_scalarIT4_EES3_PKT0_PKT1_PKT2_S6_PT3_21rocsparse_index_base_b.private_seg_size, 0
	.set _ZN9rocsparseL27csrmvn_symm_adaptive_kernelIliaaiiEEvbT_S1_PKS1_NS_24const_host_device_scalarIT4_EES3_PKT0_PKT1_PKT2_S6_PT3_21rocsparse_index_base_b.uses_vcc, 1
	.set _ZN9rocsparseL27csrmvn_symm_adaptive_kernelIliaaiiEEvbT_S1_PKS1_NS_24const_host_device_scalarIT4_EES3_PKT0_PKT1_PKT2_S6_PT3_21rocsparse_index_base_b.uses_flat_scratch, 0
	.set _ZN9rocsparseL27csrmvn_symm_adaptive_kernelIliaaiiEEvbT_S1_PKS1_NS_24const_host_device_scalarIT4_EES3_PKT0_PKT1_PKT2_S6_PT3_21rocsparse_index_base_b.has_dyn_sized_stack, 0
	.set _ZN9rocsparseL27csrmvn_symm_adaptive_kernelIliaaiiEEvbT_S1_PKS1_NS_24const_host_device_scalarIT4_EES3_PKT0_PKT1_PKT2_S6_PT3_21rocsparse_index_base_b.has_recursion, 0
	.set _ZN9rocsparseL27csrmvn_symm_adaptive_kernelIliaaiiEEvbT_S1_PKS1_NS_24const_host_device_scalarIT4_EES3_PKT0_PKT1_PKT2_S6_PT3_21rocsparse_index_base_b.has_indirect_call, 0
	.section	.AMDGPU.csdata,"",@progbits
; Kernel info:
; codeLenInByte = 9544
; TotalNumSgprs: 44
; NumVgprs: 22
; ScratchSize: 0
; MemoryBound: 0
; FloatMode: 240
; IeeeMode: 1
; LDSByteSize: 4096 bytes/workgroup (compile time only)
; SGPRBlocks: 0
; VGPRBlocks: 2
; NumSGPRsForWavesPerEU: 44
; NumVGPRsForWavesPerEU: 22
; Occupancy: 16
; WaveLimiterHint : 1
; COMPUTE_PGM_RSRC2:SCRATCH_EN: 0
; COMPUTE_PGM_RSRC2:USER_SGPR: 2
; COMPUTE_PGM_RSRC2:TRAP_HANDLER: 0
; COMPUTE_PGM_RSRC2:TGID_X_EN: 1
; COMPUTE_PGM_RSRC2:TGID_Y_EN: 0
; COMPUTE_PGM_RSRC2:TGID_Z_EN: 0
; COMPUTE_PGM_RSRC2:TIDIG_COMP_CNT: 0
	.section	.text._ZL33csrmvn_symm_large_adaptive_kernelIliaaiiEvbT_PKS0_N9rocsparse24const_host_device_scalarIT4_EES2_PKT0_PKT1_PKT2_S6_PT3_21rocsparse_index_base_b,"axG",@progbits,_ZL33csrmvn_symm_large_adaptive_kernelIliaaiiEvbT_PKS0_N9rocsparse24const_host_device_scalarIT4_EES2_PKT0_PKT1_PKT2_S6_PT3_21rocsparse_index_base_b,comdat
	.globl	_ZL33csrmvn_symm_large_adaptive_kernelIliaaiiEvbT_PKS0_N9rocsparse24const_host_device_scalarIT4_EES2_PKT0_PKT1_PKT2_S6_PT3_21rocsparse_index_base_b ; -- Begin function _ZL33csrmvn_symm_large_adaptive_kernelIliaaiiEvbT_PKS0_N9rocsparse24const_host_device_scalarIT4_EES2_PKT0_PKT1_PKT2_S6_PT3_21rocsparse_index_base_b
	.p2align	8
	.type	_ZL33csrmvn_symm_large_adaptive_kernelIliaaiiEvbT_PKS0_N9rocsparse24const_host_device_scalarIT4_EES2_PKT0_PKT1_PKT2_S6_PT3_21rocsparse_index_base_b,@function
_ZL33csrmvn_symm_large_adaptive_kernelIliaaiiEvbT_PKS0_N9rocsparse24const_host_device_scalarIT4_EES2_PKT0_PKT1_PKT2_S6_PT3_21rocsparse_index_base_b: ; @_ZL33csrmvn_symm_large_adaptive_kernelIliaaiiEvbT_PKS0_N9rocsparse24const_host_device_scalarIT4_EES2_PKT0_PKT1_PKT2_S6_PT3_21rocsparse_index_base_b
; %bb.0:
	s_clause 0x1
	s_load_b64 s[6:7], s[0:1], 0x50
	s_load_b64 s[4:5], s[0:1], 0x18
	s_mov_b32 s8, -1
                                        ; implicit-def: $sgpr26
	s_wait_kmcnt 0x0
	s_bitcmp1_b32 s7, 0
	s_cselect_b32 s2, -1, 0
	s_delay_alu instid0(SALU_CYCLE_1) | instskip(NEXT) | instid1(SALU_CYCLE_1)
	s_xor_b32 s7, s2, -1
	s_and_b32 vcc_lo, exec_lo, s7
	s_cbranch_vccnz .LBB50_4
; %bb.1:
	s_load_b64 s[2:3], s[0:1], 0x40
	s_and_not1_b32 vcc_lo, exec_lo, s8
	s_cbranch_vccz .LBB50_5
.LBB50_2:
	s_and_b32 vcc_lo, exec_lo, s7
	s_cbranch_vccz .LBB50_6
.LBB50_3:
	s_wait_kmcnt 0x0
	s_load_b32 s3, s[2:3], 0x0
	s_cbranch_execz .LBB50_7
	s_branch .LBB50_8
.LBB50_4:
	s_load_b32 s26, s[4:5], 0x0
	s_load_b64 s[2:3], s[0:1], 0x40
	s_cbranch_execnz .LBB50_2
.LBB50_5:
	s_wait_kmcnt 0x0
	s_mov_b32 s26, s4
	s_and_b32 vcc_lo, exec_lo, s7
	s_cbranch_vccnz .LBB50_3
.LBB50_6:
                                        ; implicit-def: $sgpr3
.LBB50_7:
	s_wait_kmcnt 0x0
	s_mov_b32 s3, s2
.LBB50_8:
	s_wait_kmcnt 0x0
	s_cmp_lg_u32 s26, 0
	s_mov_b32 s7, 0
	s_cselect_b32 s2, -1, 0
	s_cmp_lg_u32 s3, 1
	s_cselect_b32 s3, -1, 0
	s_delay_alu instid0(SALU_CYCLE_1) | instskip(NEXT) | instid1(SALU_CYCLE_1)
	s_or_b32 s2, s2, s3
	s_and_not1_b32 vcc_lo, exec_lo, s2
	s_cbranch_vccnz .LBB50_36
; %bb.9:
	s_load_b64 s[4:5], s[0:1], 0x10
	s_mov_b32 s2, ttmp9
	s_ashr_i32 s3, ttmp9, 31
	v_dual_mov_b32 v5, 0 :: v_dual_lshlrev_b32 v4, 2, v0
	s_lshl_b64 s[2:3], s[2:3], 3
	ds_store_2addr_stride64_b32 v4, v5, v5 offset1:4
	ds_store_2addr_stride64_b32 v4, v5, v5 offset0:8 offset1:12
	s_wait_dscnt 0x0
	s_barrier_signal -1
	s_barrier_wait -1
	global_inv scope:SCOPE_SE
	s_wait_kmcnt 0x0
	s_add_nc_u64 s[2:3], s[4:5], s[2:3]
	s_load_b128 s[16:19], s[2:3], 0x0
	s_clause 0x1
	s_load_b256 s[8:15], s[0:1], 0x20
	s_load_b64 s[20:21], s[0:1], 0x48
	v_sub_co_u32 v6, s1, v0, s6
	s_delay_alu instid0(VALU_DEP_1)
	v_sub_co_ci_u32_e64 v7, null, 0, 0, s1
	s_wait_kmcnt 0x0
	v_cmp_ge_i64_e64 s0, s[16:17], s[18:19]
	s_and_b32 vcc_lo, exec_lo, s0
	s_cbranch_vccnz .LBB50_27
; %bb.10:
	v_cmp_gt_u32_e64 s0, 64, v0
	v_cmp_gt_u32_e64 s1, 16, v0
	;; [unrolled: 1-line block ×3, first 2 shown]
	v_cmp_eq_u32_e64 s3, 0, v0
	s_mov_b64 s[22:23], s[16:17]
	s_branch .LBB50_12
.LBB50_11:                              ;   in Loop: Header=BB50_12 Depth=1
	s_wait_alu 0xfffe
	s_or_b32 exec_lo, exec_lo, s4
	s_add_nc_u64 s[22:23], s[22:23], 1
	s_wait_alu 0xfffe
	v_cmp_ge_i64_e64 s4, s[22:23], s[18:19]
	s_and_b32 vcc_lo, exec_lo, s4
	s_wait_alu 0xfffe
	s_cbranch_vccnz .LBB50_27
.LBB50_12:                              ; =>This Loop Header: Depth=1
                                        ;     Child Loop BB50_14 Depth 2
	s_lshl_b64 s[4:5], s[22:23], 3
	v_mov_b32_e32 v8, 0
	s_wait_alu 0xfffe
	s_add_nc_u64 s[4:5], s[8:9], s[4:5]
	s_load_b128 s[28:31], s[4:5], 0x0
	s_mov_b32 s5, exec_lo
	s_wait_kmcnt 0x0
	v_add_co_u32 v0, vcc_lo, s28, v6
	s_wait_alu 0xfffd
	v_add_co_ci_u32_e64 v1, null, s29, v7, vcc_lo
	s_sub_nc_u64 s[24:25], s[30:31], s[6:7]
	s_wait_alu 0xfffe
	v_cmpx_gt_i64_e64 s[24:25], v[0:1]
	s_cbranch_execz .LBB50_16
; %bb.13:                               ;   in Loop: Header=BB50_12 Depth=1
	v_lshlrev_b64_e32 v[2:3], 2, v[0:1]
	v_mov_b32_e32 v8, 0
	s_mov_b32 s27, 0
	s_delay_alu instid0(VALU_DEP_2) | instskip(SKIP_1) | instid1(VALU_DEP_3)
	v_add_co_u32 v2, vcc_lo, s10, v2
	s_wait_alu 0xfffd
	v_add_co_ci_u32_e64 v3, null, s11, v3, vcc_lo
.LBB50_14:                              ;   Parent Loop BB50_12 Depth=1
                                        ; =>  This Inner Loop Header: Depth=2
	global_load_b32 v9, v[2:3], off
	v_add_co_u32 v2, s4, 0x400, v2
	s_wait_alu 0xf1ff
	v_add_co_ci_u32_e64 v3, null, 0, v3, s4
	s_wait_loadcnt 0x0
	v_subrev_nc_u32_e32 v11, s6, v9
	v_add_co_u32 v9, vcc_lo, s12, v0
	s_wait_alu 0xfffd
	v_add_co_ci_u32_e64 v10, null, s13, v1, vcc_lo
	s_delay_alu instid0(VALU_DEP_3) | instskip(SKIP_2) | instid1(VALU_DEP_2)
	v_ashrrev_i32_e32 v12, 31, v11
	v_add_co_u32 v11, vcc_lo, s14, v11
	s_wait_alu 0xfffd
	v_add_co_ci_u32_e64 v12, null, s15, v12, vcc_lo
	v_add_co_u32 v0, vcc_lo, 0x100, v0
	global_load_i8 v9, v[9:10], off
	global_load_i8 v10, v[11:12], off
	s_wait_alu 0xfffd
	v_add_co_ci_u32_e64 v1, null, 0, v1, vcc_lo
	s_delay_alu instid0(VALU_DEP_1)
	v_cmp_le_i64_e32 vcc_lo, s[24:25], v[0:1]
	s_wait_alu 0xfffe
	s_or_b32 s27, vcc_lo, s27
	s_wait_loadcnt 0x0
	v_mad_i32_i24 v8, v10, v9, v8
	s_wait_alu 0xfffe
	s_and_not1_b32 exec_lo, exec_lo, s27
	s_cbranch_execnz .LBB50_14
; %bb.15:                               ;   in Loop: Header=BB50_12 Depth=1
	s_or_b32 exec_lo, exec_lo, s27
.LBB50_16:                              ;   in Loop: Header=BB50_12 Depth=1
	s_delay_alu instid0(SALU_CYCLE_1)
	s_or_b32 exec_lo, exec_lo, s5
	ds_store_b32 v4, v8
	s_wait_loadcnt_dscnt 0x0
	s_barrier_signal -1
	s_barrier_wait -1
	global_inv scope:SCOPE_SE
	ds_load_2addr_stride64_b32 v[0:1], v4 offset1:4
	ds_load_2addr_stride64_b32 v[2:3], v4 offset0:8 offset1:12
	s_wait_dscnt 0x0
	v_add_nc_u32_e32 v1, v2, v1
	s_delay_alu instid0(VALU_DEP_1)
	v_add3_u32 v0, v1, v3, v0
	ds_store_b32 v4, v0
	s_wait_loadcnt_dscnt 0x0
	s_barrier_signal -1
	s_barrier_wait -1
	global_inv scope:SCOPE_SE
	s_and_saveexec_b32 s4, s0
	s_cbranch_execz .LBB50_18
; %bb.17:                               ;   in Loop: Header=BB50_12 Depth=1
	ds_load_2addr_stride64_b32 v[0:1], v4 offset1:1
	ds_load_2addr_stride64_b32 v[2:3], v4 offset0:2 offset1:3
	s_wait_dscnt 0x0
	v_add_nc_u32_e32 v1, v2, v1
	s_delay_alu instid0(VALU_DEP_1)
	v_add3_u32 v0, v1, v3, v0
	ds_store_b32 v4, v0
.LBB50_18:                              ;   in Loop: Header=BB50_12 Depth=1
	s_wait_alu 0xfffe
	s_or_b32 exec_lo, exec_lo, s4
	s_wait_loadcnt_dscnt 0x0
	s_barrier_signal -1
	s_barrier_wait -1
	global_inv scope:SCOPE_SE
	s_and_saveexec_b32 s4, s1
	s_cbranch_execz .LBB50_20
; %bb.19:                               ;   in Loop: Header=BB50_12 Depth=1
	ds_load_2addr_b32 v[0:1], v4 offset1:16
	ds_load_2addr_b32 v[2:3], v4 offset0:32 offset1:48
	s_wait_dscnt 0x0
	v_add_nc_u32_e32 v1, v2, v1
	s_delay_alu instid0(VALU_DEP_1)
	v_add3_u32 v0, v1, v3, v0
	ds_store_b32 v4, v0
.LBB50_20:                              ;   in Loop: Header=BB50_12 Depth=1
	s_wait_alu 0xfffe
	s_or_b32 exec_lo, exec_lo, s4
	s_wait_loadcnt_dscnt 0x0
	s_barrier_signal -1
	s_barrier_wait -1
	global_inv scope:SCOPE_SE
	s_and_saveexec_b32 s4, s2
	s_cbranch_execz .LBB50_22
; %bb.21:                               ;   in Loop: Header=BB50_12 Depth=1
	ds_load_2addr_b32 v[0:1], v4 offset1:4
	ds_load_2addr_b32 v[2:3], v4 offset0:8 offset1:12
	s_wait_dscnt 0x0
	v_add_nc_u32_e32 v1, v2, v1
	s_delay_alu instid0(VALU_DEP_1)
	v_add3_u32 v0, v1, v3, v0
	ds_store_b32 v4, v0
.LBB50_22:                              ;   in Loop: Header=BB50_12 Depth=1
	s_wait_alu 0xfffe
	s_or_b32 exec_lo, exec_lo, s4
	s_wait_loadcnt_dscnt 0x0
	s_barrier_signal -1
	s_barrier_wait -1
	global_inv scope:SCOPE_SE
	s_and_saveexec_b32 s4, s3
	s_cbranch_execz .LBB50_24
; %bb.23:                               ;   in Loop: Header=BB50_12 Depth=1
	ds_load_2addr_b32 v[0:1], v5 offset0:1 offset1:2
	ds_load_b32 v2, v5 offset:12
	ds_load_b32 v3, v4
	s_wait_dscnt 0x2
	v_add_nc_u32_e32 v0, v1, v0
	s_wait_dscnt 0x0
	s_delay_alu instid0(VALU_DEP_1)
	v_add3_u32 v0, v0, v2, v3
	ds_store_b32 v4, v0
.LBB50_24:                              ;   in Loop: Header=BB50_12 Depth=1
	s_wait_alu 0xfffe
	s_or_b32 exec_lo, exec_lo, s4
	s_wait_loadcnt_dscnt 0x0
	s_barrier_signal -1
	s_barrier_wait -1
	global_inv scope:SCOPE_SE
	s_and_saveexec_b32 s4, s3
	s_cbranch_execz .LBB50_11
; %bb.25:                               ;   in Loop: Header=BB50_12 Depth=1
	s_mov_b32 s5, exec_lo
	s_wait_alu 0xfffe
	v_mbcnt_lo_u32_b32 v0, s5, 0
	s_delay_alu instid0(VALU_DEP_1)
	v_cmp_eq_u32_e32 vcc_lo, 0, v0
	s_and_b32 s24, exec_lo, vcc_lo
	s_wait_alu 0xfffe
	s_mov_b32 exec_lo, s24
	s_cbranch_execz .LBB50_11
; %bb.26:                               ;   in Loop: Header=BB50_12 Depth=1
	ds_load_b32 v0, v5
	s_bcnt1_i32_b32 s5, s5
	s_lshl_b64 s[24:25], s[22:23], 2
	s_wait_alu 0xfffe
	s_add_nc_u64 s[24:25], s[20:21], s[24:25]
	s_wait_dscnt 0x0
	v_mul_lo_u32 v0, v0, s26
	s_delay_alu instid0(VALU_DEP_1)
	v_mul_lo_u32 v0, v0, s5
	global_atomic_add_u32 v5, v0, s[24:25] scope:SCOPE_DEV
	s_branch .LBB50_11
.LBB50_27:
	s_lshl_b64 s[0:1], s[16:17], 3
	s_lshl_b64 s[2:3], s[18:19], 3
	s_wait_alu 0xfffe
	s_add_nc_u64 s[0:1], s[8:9], s[0:1]
	s_add_nc_u64 s[2:3], s[8:9], s[2:3]
	s_clause 0x1
	s_load_b64 s[0:1], s[0:1], 0x0
	s_load_b64 s[2:3], s[2:3], 0x0
	s_wait_kmcnt 0x0
	v_add_co_u32 v0, vcc_lo, s0, v6
	s_wait_alu 0xfffd
	v_add_co_ci_u32_e64 v1, null, s1, v7, vcc_lo
	s_sub_nc_u64 s[2:3], s[2:3], s[6:7]
	s_mov_b32 s0, exec_lo
	v_cmpx_gt_i64_e64 s[2:3], v[0:1]
	s_cbranch_execz .LBB50_36
; %bb.28:
	s_add_nc_u64 s[4:5], s[18:19], -1
	s_add_nc_u64 s[0:1], s[18:19], -2
	s_wait_alu 0xfffe
	v_cmp_lt_i64_e64 s7, s[16:17], s[4:5]
	s_cmp_lg_u64 s[16:17], s[0:1]
	s_cselect_b32 s0, -1, 0
	s_wait_alu 0xfffe
	s_and_b32 s1, s7, s0
	s_mov_b32 s7, 0
	s_branch .LBB50_30
.LBB50_29:                              ;   in Loop: Header=BB50_30 Depth=1
	s_wait_alu 0xfffe
	s_or_b32 exec_lo, exec_lo, s0
	v_add_co_u32 v0, vcc_lo, 0x100, v0
	s_wait_alu 0xfffd
	v_add_co_ci_u32_e64 v1, null, 0, v1, vcc_lo
	s_delay_alu instid0(VALU_DEP_1)
	v_cmp_le_i64_e32 vcc_lo, s[2:3], v[0:1]
	s_or_b32 s7, vcc_lo, s7
	s_wait_alu 0xfffe
	s_and_not1_b32 exec_lo, exec_lo, s7
	s_cbranch_execz .LBB50_36
.LBB50_30:                              ; =>This Loop Header: Depth=1
                                        ;     Child Loop BB50_32 Depth 2
	v_dual_mov_b32 v2, s16 :: v_dual_mov_b32 v3, s17
	v_dual_mov_b32 v4, s4 :: v_dual_mov_b32 v5, s5
	s_wait_alu 0xfffe
	s_and_not1_b32 vcc_lo, exec_lo, s1
	s_wait_alu 0xfffe
	s_cbranch_vccnz .LBB50_34
; %bb.31:                               ;   in Loop: Header=BB50_30 Depth=1
	v_dual_mov_b32 v2, s16 :: v_dual_mov_b32 v3, s17
	v_dual_mov_b32 v4, s4 :: v_dual_mov_b32 v5, s5
	s_mov_b32 s18, 0
.LBB50_32:                              ;   Parent Loop BB50_30 Depth=1
                                        ; =>  This Inner Loop Header: Depth=2
	s_delay_alu instid0(VALU_DEP_1) | instskip(SKIP_1) | instid1(VALU_DEP_2)
	v_add_co_u32 v6, vcc_lo, v4, v2
	s_wait_alu 0xfffd
	v_add_co_ci_u32_e64 v7, null, v5, v3, vcc_lo
	s_delay_alu instid0(VALU_DEP_1) | instskip(NEXT) | instid1(VALU_DEP_1)
	v_lshrrev_b32_e32 v8, 31, v7
	v_add_co_u32 v6, vcc_lo, v6, v8
	s_wait_alu 0xfffd
	v_add_co_ci_u32_e64 v7, null, 0, v7, vcc_lo
	s_delay_alu instid0(VALU_DEP_1) | instskip(NEXT) | instid1(VALU_DEP_1)
	v_ashrrev_i64 v[6:7], 1, v[6:7]
	v_lshlrev_b64_e32 v[8:9], 3, v[6:7]
	s_delay_alu instid0(VALU_DEP_1) | instskip(SKIP_1) | instid1(VALU_DEP_2)
	v_add_co_u32 v8, vcc_lo, s8, v8
	s_wait_alu 0xfffd
	v_add_co_ci_u32_e64 v9, null, s9, v9, vcc_lo
	global_load_b64 v[8:9], v[8:9], off
	s_wait_loadcnt 0x0
	v_sub_co_u32 v8, vcc_lo, v8, s6
	s_wait_alu 0xfffd
	v_subrev_co_ci_u32_e64 v9, null, 0, v9, vcc_lo
	s_delay_alu instid0(VALU_DEP_1) | instskip(SKIP_3) | instid1(VALU_DEP_2)
	v_cmp_lt_i64_e32 vcc_lo, v[0:1], v[8:9]
	s_wait_alu 0xfffd
	v_dual_cndmask_b32 v5, v5, v7 :: v_dual_cndmask_b32 v4, v4, v6
	v_dual_cndmask_b32 v3, v7, v3 :: v_dual_cndmask_b32 v2, v6, v2
	v_add_co_u32 v6, vcc_lo, v4, -1
	s_wait_alu 0xfffd
	s_delay_alu instid0(VALU_DEP_3) | instskip(NEXT) | instid1(VALU_DEP_3)
	v_add_co_ci_u32_e64 v7, null, -1, v5, vcc_lo
	v_cmp_ge_i64_e32 vcc_lo, v[2:3], v[4:5]
	s_delay_alu instid0(VALU_DEP_2)
	v_cmp_eq_u64_e64 s0, v[2:3], v[6:7]
	s_or_b32 s0, vcc_lo, s0
	s_wait_alu 0xfffe
	s_and_b32 s0, exec_lo, s0
	s_wait_alu 0xfffe
	s_or_b32 s18, s0, s18
	s_wait_alu 0xfffe
	s_and_not1_b32 exec_lo, exec_lo, s18
	s_cbranch_execnz .LBB50_32
; %bb.33:                               ;   in Loop: Header=BB50_30 Depth=1
	s_or_b32 exec_lo, exec_lo, s18
.LBB50_34:                              ;   in Loop: Header=BB50_30 Depth=1
	v_lshlrev_b64_e32 v[6:7], 3, v[4:5]
	v_lshlrev_b64_e32 v[8:9], 2, v[0:1]
	s_mov_b32 s0, exec_lo
	s_delay_alu instid0(VALU_DEP_2) | instskip(SKIP_1) | instid1(VALU_DEP_3)
	v_add_co_u32 v6, vcc_lo, s8, v6
	s_wait_alu 0xfffd
	v_add_co_ci_u32_e64 v7, null, s9, v7, vcc_lo
	s_delay_alu instid0(VALU_DEP_3)
	v_add_co_u32 v8, vcc_lo, s10, v8
	s_wait_alu 0xfffd
	v_add_co_ci_u32_e64 v9, null, s11, v9, vcc_lo
	global_load_b64 v[6:7], v[6:7], off
	global_load_b32 v8, v[8:9], off
	s_wait_loadcnt 0x1
	v_sub_co_u32 v6, vcc_lo, v6, s6
	s_wait_alu 0xfffd
	v_subrev_co_ci_u32_e64 v7, null, 0, v7, vcc_lo
	s_delay_alu instid0(VALU_DEP_1) | instskip(SKIP_2) | instid1(VALU_DEP_1)
	v_cmp_lt_i64_e32 vcc_lo, v[0:1], v[6:7]
	s_wait_loadcnt 0x0
	v_subrev_nc_u32_e32 v6, s6, v8
	v_ashrrev_i32_e32 v7, 31, v6
	s_wait_alu 0xfffd
	v_dual_cndmask_b32 v3, v5, v3 :: v_dual_cndmask_b32 v2, v4, v2
	s_delay_alu instid0(VALU_DEP_1)
	v_cmpx_ne_u64_e64 v[2:3], v[6:7]
	s_cbranch_execz .LBB50_29
; %bb.35:                               ;   in Loop: Header=BB50_30 Depth=1
	v_add_co_u32 v4, vcc_lo, s12, v0
	s_wait_alu 0xfffd
	v_add_co_ci_u32_e64 v5, null, s13, v1, vcc_lo
	v_add_co_u32 v2, vcc_lo, s14, v2
	s_wait_alu 0xfffd
	v_add_co_ci_u32_e64 v3, null, s15, v3, vcc_lo
	global_load_i8 v4, v[4:5], off
	global_load_i8 v5, v[2:3], off
	v_lshlrev_b64_e32 v[2:3], 2, v[6:7]
	s_delay_alu instid0(VALU_DEP_1) | instskip(SKIP_1) | instid1(VALU_DEP_2)
	v_add_co_u32 v2, vcc_lo, s20, v2
	s_wait_alu 0xfffd
	v_add_co_ci_u32_e64 v3, null, s21, v3, vcc_lo
	s_wait_loadcnt 0x1
	v_mul_lo_u32 v4, s26, v4
	s_wait_loadcnt 0x0
	s_delay_alu instid0(VALU_DEP_1)
	v_mul_lo_u32 v4, v4, v5
	global_atomic_add_u32 v[2:3], v4, off scope:SCOPE_DEV
	s_branch .LBB50_29
.LBB50_36:
	s_endpgm
	.section	.rodata,"a",@progbits
	.p2align	6, 0x0
	.amdhsa_kernel _ZL33csrmvn_symm_large_adaptive_kernelIliaaiiEvbT_PKS0_N9rocsparse24const_host_device_scalarIT4_EES2_PKT0_PKT1_PKT2_S6_PT3_21rocsparse_index_base_b
		.amdhsa_group_segment_fixed_size 4096
		.amdhsa_private_segment_fixed_size 0
		.amdhsa_kernarg_size 88
		.amdhsa_user_sgpr_count 2
		.amdhsa_user_sgpr_dispatch_ptr 0
		.amdhsa_user_sgpr_queue_ptr 0
		.amdhsa_user_sgpr_kernarg_segment_ptr 1
		.amdhsa_user_sgpr_dispatch_id 0
		.amdhsa_user_sgpr_private_segment_size 0
		.amdhsa_wavefront_size32 1
		.amdhsa_uses_dynamic_stack 0
		.amdhsa_enable_private_segment 0
		.amdhsa_system_sgpr_workgroup_id_x 1
		.amdhsa_system_sgpr_workgroup_id_y 0
		.amdhsa_system_sgpr_workgroup_id_z 0
		.amdhsa_system_sgpr_workgroup_info 0
		.amdhsa_system_vgpr_workitem_id 0
		.amdhsa_next_free_vgpr 13
		.amdhsa_next_free_sgpr 32
		.amdhsa_reserve_vcc 1
		.amdhsa_float_round_mode_32 0
		.amdhsa_float_round_mode_16_64 0
		.amdhsa_float_denorm_mode_32 3
		.amdhsa_float_denorm_mode_16_64 3
		.amdhsa_fp16_overflow 0
		.amdhsa_workgroup_processor_mode 1
		.amdhsa_memory_ordered 1
		.amdhsa_forward_progress 1
		.amdhsa_inst_pref_size 16
		.amdhsa_round_robin_scheduling 0
		.amdhsa_exception_fp_ieee_invalid_op 0
		.amdhsa_exception_fp_denorm_src 0
		.amdhsa_exception_fp_ieee_div_zero 0
		.amdhsa_exception_fp_ieee_overflow 0
		.amdhsa_exception_fp_ieee_underflow 0
		.amdhsa_exception_fp_ieee_inexact 0
		.amdhsa_exception_int_div_zero 0
	.end_amdhsa_kernel
	.section	.text._ZL33csrmvn_symm_large_adaptive_kernelIliaaiiEvbT_PKS0_N9rocsparse24const_host_device_scalarIT4_EES2_PKT0_PKT1_PKT2_S6_PT3_21rocsparse_index_base_b,"axG",@progbits,_ZL33csrmvn_symm_large_adaptive_kernelIliaaiiEvbT_PKS0_N9rocsparse24const_host_device_scalarIT4_EES2_PKT0_PKT1_PKT2_S6_PT3_21rocsparse_index_base_b,comdat
.Lfunc_end50:
	.size	_ZL33csrmvn_symm_large_adaptive_kernelIliaaiiEvbT_PKS0_N9rocsparse24const_host_device_scalarIT4_EES2_PKT0_PKT1_PKT2_S6_PT3_21rocsparse_index_base_b, .Lfunc_end50-_ZL33csrmvn_symm_large_adaptive_kernelIliaaiiEvbT_PKS0_N9rocsparse24const_host_device_scalarIT4_EES2_PKT0_PKT1_PKT2_S6_PT3_21rocsparse_index_base_b
                                        ; -- End function
	.set _ZL33csrmvn_symm_large_adaptive_kernelIliaaiiEvbT_PKS0_N9rocsparse24const_host_device_scalarIT4_EES2_PKT0_PKT1_PKT2_S6_PT3_21rocsparse_index_base_b.num_vgpr, 13
	.set _ZL33csrmvn_symm_large_adaptive_kernelIliaaiiEvbT_PKS0_N9rocsparse24const_host_device_scalarIT4_EES2_PKT0_PKT1_PKT2_S6_PT3_21rocsparse_index_base_b.num_agpr, 0
	.set _ZL33csrmvn_symm_large_adaptive_kernelIliaaiiEvbT_PKS0_N9rocsparse24const_host_device_scalarIT4_EES2_PKT0_PKT1_PKT2_S6_PT3_21rocsparse_index_base_b.numbered_sgpr, 32
	.set _ZL33csrmvn_symm_large_adaptive_kernelIliaaiiEvbT_PKS0_N9rocsparse24const_host_device_scalarIT4_EES2_PKT0_PKT1_PKT2_S6_PT3_21rocsparse_index_base_b.num_named_barrier, 0
	.set _ZL33csrmvn_symm_large_adaptive_kernelIliaaiiEvbT_PKS0_N9rocsparse24const_host_device_scalarIT4_EES2_PKT0_PKT1_PKT2_S6_PT3_21rocsparse_index_base_b.private_seg_size, 0
	.set _ZL33csrmvn_symm_large_adaptive_kernelIliaaiiEvbT_PKS0_N9rocsparse24const_host_device_scalarIT4_EES2_PKT0_PKT1_PKT2_S6_PT3_21rocsparse_index_base_b.uses_vcc, 1
	.set _ZL33csrmvn_symm_large_adaptive_kernelIliaaiiEvbT_PKS0_N9rocsparse24const_host_device_scalarIT4_EES2_PKT0_PKT1_PKT2_S6_PT3_21rocsparse_index_base_b.uses_flat_scratch, 0
	.set _ZL33csrmvn_symm_large_adaptive_kernelIliaaiiEvbT_PKS0_N9rocsparse24const_host_device_scalarIT4_EES2_PKT0_PKT1_PKT2_S6_PT3_21rocsparse_index_base_b.has_dyn_sized_stack, 0
	.set _ZL33csrmvn_symm_large_adaptive_kernelIliaaiiEvbT_PKS0_N9rocsparse24const_host_device_scalarIT4_EES2_PKT0_PKT1_PKT2_S6_PT3_21rocsparse_index_base_b.has_recursion, 0
	.set _ZL33csrmvn_symm_large_adaptive_kernelIliaaiiEvbT_PKS0_N9rocsparse24const_host_device_scalarIT4_EES2_PKT0_PKT1_PKT2_S6_PT3_21rocsparse_index_base_b.has_indirect_call, 0
	.section	.AMDGPU.csdata,"",@progbits
; Kernel info:
; codeLenInByte = 2024
; TotalNumSgprs: 34
; NumVgprs: 13
; ScratchSize: 0
; MemoryBound: 0
; FloatMode: 240
; IeeeMode: 1
; LDSByteSize: 4096 bytes/workgroup (compile time only)
; SGPRBlocks: 0
; VGPRBlocks: 1
; NumSGPRsForWavesPerEU: 34
; NumVGPRsForWavesPerEU: 13
; Occupancy: 16
; WaveLimiterHint : 1
; COMPUTE_PGM_RSRC2:SCRATCH_EN: 0
; COMPUTE_PGM_RSRC2:USER_SGPR: 2
; COMPUTE_PGM_RSRC2:TRAP_HANDLER: 0
; COMPUTE_PGM_RSRC2:TGID_X_EN: 1
; COMPUTE_PGM_RSRC2:TGID_Y_EN: 0
; COMPUTE_PGM_RSRC2:TGID_Z_EN: 0
; COMPUTE_PGM_RSRC2:TIDIG_COMP_CNT: 0
	.section	.text._ZN9rocsparseL22csrmvn_adaptive_kernelIllaaiiEEvbT_PKS1_PjPKT0_NS_24const_host_device_scalarIT4_EES3_S7_PKT1_PKT2_SA_PT3_21rocsparse_index_base_b,"axG",@progbits,_ZN9rocsparseL22csrmvn_adaptive_kernelIllaaiiEEvbT_PKS1_PjPKT0_NS_24const_host_device_scalarIT4_EES3_S7_PKT1_PKT2_SA_PT3_21rocsparse_index_base_b,comdat
	.globl	_ZN9rocsparseL22csrmvn_adaptive_kernelIllaaiiEEvbT_PKS1_PjPKT0_NS_24const_host_device_scalarIT4_EES3_S7_PKT1_PKT2_SA_PT3_21rocsparse_index_base_b ; -- Begin function _ZN9rocsparseL22csrmvn_adaptive_kernelIllaaiiEEvbT_PKS1_PjPKT0_NS_24const_host_device_scalarIT4_EES3_S7_PKT1_PKT2_SA_PT3_21rocsparse_index_base_b
	.p2align	8
	.type	_ZN9rocsparseL22csrmvn_adaptive_kernelIllaaiiEEvbT_PKS1_PjPKT0_NS_24const_host_device_scalarIT4_EES3_S7_PKT1_PKT2_SA_PT3_21rocsparse_index_base_b,@function
_ZN9rocsparseL22csrmvn_adaptive_kernelIllaaiiEEvbT_PKS1_PjPKT0_NS_24const_host_device_scalarIT4_EES3_S7_PKT1_PKT2_SA_PT3_21rocsparse_index_base_b: ; @_ZN9rocsparseL22csrmvn_adaptive_kernelIllaaiiEEvbT_PKS1_PjPKT0_NS_24const_host_device_scalarIT4_EES3_S7_PKT1_PKT2_SA_PT3_21rocsparse_index_base_b
; %bb.0:
	s_clause 0x1
	s_load_b64 s[34:35], s[0:1], 0x60
	s_load_b64 s[4:5], s[0:1], 0x28
	s_mov_b32 s7, -1
                                        ; implicit-def: $sgpr42
	s_wait_kmcnt 0x0
	s_bitcmp1_b32 s35, 0
	s_cselect_b32 s2, -1, 0
	s_delay_alu instid0(SALU_CYCLE_1) | instskip(NEXT) | instid1(SALU_CYCLE_1)
	s_xor_b32 s6, s2, -1
	s_and_b32 vcc_lo, exec_lo, s6
	s_cbranch_vccnz .LBB51_4
; %bb.1:
	s_load_b64 s[2:3], s[0:1], 0x50
	s_and_not1_b32 vcc_lo, exec_lo, s7
	s_cbranch_vccz .LBB51_5
.LBB51_2:
	s_and_b32 vcc_lo, exec_lo, s6
	s_cbranch_vccz .LBB51_6
.LBB51_3:
	s_wait_kmcnt 0x0
	s_load_b32 s33, s[2:3], 0x0
	s_cbranch_execz .LBB51_7
	s_branch .LBB51_8
.LBB51_4:
	s_load_b32 s42, s[4:5], 0x0
	s_load_b64 s[2:3], s[0:1], 0x50
	s_cbranch_execnz .LBB51_2
.LBB51_5:
	s_wait_kmcnt 0x0
	s_mov_b32 s42, s4
	s_and_b32 vcc_lo, exec_lo, s6
	s_cbranch_vccnz .LBB51_3
.LBB51_6:
	s_wait_kmcnt 0x0
                                        ; implicit-def: $sgpr33
.LBB51_7:
	s_wait_kmcnt 0x0
	s_mov_b32 s33, s2
.LBB51_8:
	s_cmp_lg_u32 s42, 0
	s_cselect_b32 s2, -1, 0
	s_wait_kmcnt 0x0
	s_cmp_lg_u32 s33, 1
	s_cselect_b32 s3, -1, 0
	s_delay_alu instid0(SALU_CYCLE_1) | instskip(NEXT) | instid1(SALU_CYCLE_1)
	s_or_b32 s2, s2, s3
	s_and_not1_b32 vcc_lo, exec_lo, s2
	s_cbranch_vccnz .LBB51_118
; %bb.9:
	s_clause 0x1
	s_load_b64 s[2:3], s[0:1], 0x10
	s_load_b64 s[6:7], s[0:1], 0x20
	s_mov_b32 s36, ttmp9
	s_ashr_i32 s37, ttmp9, 31
	s_delay_alu instid0(SALU_CYCLE_1)
	s_lshl_b64 s[4:5], s[36:37], 3
	s_wait_kmcnt 0x0
	s_add_nc_u64 s[2:3], s[2:3], s[4:5]
	s_add_nc_u64 s[4:5], s[6:7], s[4:5]
	s_load_b128 s[20:23], s[2:3], 0x0
	s_clause 0x1
	s_load_b256 s[12:19], s[0:1], 0x30
	s_load_b64 s[24:25], s[0:1], 0x58
	s_wait_kmcnt 0x0
	s_lshl_b64 s[2:3], s[20:21], 3
	s_delay_alu instid0(SALU_CYCLE_1) | instskip(SKIP_3) | instid1(SALU_CYCLE_1)
	s_add_nc_u64 s[30:31], s[12:13], s[2:3]
	s_load_b64 s[26:27], s[4:5], 0x0
	s_load_b64 s[28:29], s[30:31], 0x0
	s_sub_nc_u64 s[2:3], s[22:23], s[20:21]
	v_cmp_lt_i64_e64 s4, s[2:3], 2
	s_and_b32 vcc_lo, exec_lo, s4
	s_mov_b32 s4, -1
	s_cbranch_vccz .LBB51_74
; %bb.10:
	s_cmp_lg_u64 s[2:3], 1
	v_cmp_gt_u32_e64 s2, 0x80, v0
	s_cselect_b32 s4, -1, 0
	s_wait_kmcnt 0x0
	s_cmp_lg_u64 s[26:27], 0
	v_cmp_gt_u32_e64 s3, 64, v0
	s_cselect_b32 s5, -1, 0
	v_cmp_gt_u32_e64 s6, 8, v0
	s_or_b32 s5, s4, s5
	v_cmp_gt_u32_e64 s4, 32, v0
	s_and_b32 vcc_lo, exec_lo, s5
	v_cmp_gt_u32_e64 s5, 16, v0
	v_cmp_gt_u32_e64 s7, 4, v0
	;; [unrolled: 1-line block ×3, first 2 shown]
	v_cmp_eq_u32_e64 s9, 0, v0
	s_mov_b32 s10, -1
	s_cbranch_vccnz .LBB51_38
; %bb.11:
	v_sub_co_u32 v8, s10, v0, s34
	v_dual_mov_b32 v7, 0 :: v_dual_lshlrev_b32 v10, 2, v0
	v_sub_co_ci_u32_e64 v9, null, 0, 0, s10
	s_cmp_lg_u32 s33, 0
	s_mov_b32 s35, 0
	s_cselect_b32 s11, -1, 0
	s_mov_b64 s[38:39], s[20:21]
	s_branch .LBB51_14
.LBB51_12:                              ;   in Loop: Header=BB51_14 Depth=1
	s_lshl_b64 s[40:41], s[38:39], 2
	s_wait_alu 0xfffe
	s_add_nc_u64 s[40:41], s[24:25], s[40:41]
	s_wait_dscnt 0x0
	global_store_b32 v7, v1, s[40:41]
.LBB51_13:                              ;   in Loop: Header=BB51_14 Depth=1
	s_wait_alu 0xfffe
	s_or_b32 exec_lo, exec_lo, s10
	s_add_nc_u64 s[38:39], s[38:39], 1
	s_wait_alu 0xfffe
	v_cmp_ge_i64_e64 s10, s[38:39], s[22:23]
	s_and_b32 vcc_lo, exec_lo, s10
	s_wait_alu 0xfffe
	s_cbranch_vccnz .LBB51_37
.LBB51_14:                              ; =>This Loop Header: Depth=1
                                        ;     Child Loop BB51_16 Depth 2
	s_lshl_b64 s[40:41], s[38:39], 3
	v_mov_b32_e32 v3, 0
	s_wait_alu 0xfffe
	s_add_nc_u64 s[40:41], s[12:13], s[40:41]
	s_mov_b32 s43, exec_lo
	s_load_b128 s[44:47], s[40:41], 0x0
	s_wait_kmcnt 0x0
	v_add_co_u32 v1, vcc_lo, s44, v8
	s_wait_alu 0xfffd
	v_add_co_ci_u32_e64 v2, null, s45, v9, vcc_lo
	s_sub_nc_u64 s[40:41], s[46:47], s[34:35]
	s_wait_alu 0xfffe
	v_cmpx_gt_i64_e64 s[40:41], v[1:2]
	s_cbranch_execz .LBB51_18
; %bb.15:                               ;   in Loop: Header=BB51_14 Depth=1
	v_lshlrev_b64_e32 v[3:4], 3, v[1:2]
	s_mov_b32 s44, 0
	s_delay_alu instid0(VALU_DEP_1) | instskip(SKIP_1) | instid1(VALU_DEP_2)
	v_add_co_u32 v5, vcc_lo, s14, v3
	s_wait_alu 0xfffd
	v_add_co_ci_u32_e64 v6, null, s15, v4, vcc_lo
	v_mov_b32_e32 v3, 0
.LBB51_16:                              ;   Parent Loop BB51_14 Depth=1
                                        ; =>  This Inner Loop Header: Depth=2
	global_load_b64 v[11:12], v[5:6], off
	v_add_co_u32 v13, vcc_lo, s16, v1
	s_wait_alu 0xfffd
	v_add_co_ci_u32_e64 v14, null, s17, v2, vcc_lo
	v_add_co_u32 v5, s10, 0x800, v5
	s_wait_alu 0xf1ff
	v_add_co_ci_u32_e64 v6, null, 0, v6, s10
	global_load_i8 v4, v[13:14], off
	s_wait_loadcnt 0x1
	v_sub_co_u32 v11, vcc_lo, v11, s34
	s_wait_alu 0xfffd
	v_subrev_co_ci_u32_e64 v12, null, 0, v12, vcc_lo
	s_delay_alu instid0(VALU_DEP_2) | instskip(SKIP_1) | instid1(VALU_DEP_2)
	v_add_co_u32 v11, vcc_lo, s18, v11
	s_wait_alu 0xfffd
	v_add_co_ci_u32_e64 v12, null, s19, v12, vcc_lo
	s_wait_loadcnt 0x0
	v_mul_lo_u32 v4, s42, v4
	v_add_co_u32 v1, vcc_lo, 0x100, v1
	global_load_i8 v11, v[11:12], off
	s_wait_alu 0xfffd
	v_add_co_ci_u32_e64 v2, null, 0, v2, vcc_lo
	s_delay_alu instid0(VALU_DEP_1)
	v_cmp_le_i64_e32 vcc_lo, s[40:41], v[1:2]
	s_wait_alu 0xfffe
	s_or_b32 s44, vcc_lo, s44
	s_wait_loadcnt 0x0
	v_mad_co_u64_u32 v[3:4], null, v4, v11, v[3:4]
	s_wait_alu 0xfffe
	s_and_not1_b32 exec_lo, exec_lo, s44
	s_cbranch_execnz .LBB51_16
; %bb.17:                               ;   in Loop: Header=BB51_14 Depth=1
	s_or_b32 exec_lo, exec_lo, s44
.LBB51_18:                              ;   in Loop: Header=BB51_14 Depth=1
	s_delay_alu instid0(SALU_CYCLE_1)
	s_or_b32 exec_lo, exec_lo, s43
	ds_store_b32 v10, v3
	s_wait_dscnt 0x0
	s_barrier_signal -1
	s_barrier_wait -1
	global_inv scope:SCOPE_SE
	s_and_saveexec_b32 s10, s2
	s_cbranch_execz .LBB51_20
; %bb.19:                               ;   in Loop: Header=BB51_14 Depth=1
	ds_load_2addr_stride64_b32 v[1:2], v10 offset1:2
	s_wait_dscnt 0x0
	v_add_nc_u32_e32 v1, v2, v1
	ds_store_b32 v10, v1
.LBB51_20:                              ;   in Loop: Header=BB51_14 Depth=1
	s_wait_alu 0xfffe
	s_or_b32 exec_lo, exec_lo, s10
	s_wait_loadcnt_dscnt 0x0
	s_barrier_signal -1
	s_barrier_wait -1
	global_inv scope:SCOPE_SE
	s_and_saveexec_b32 s10, s3
	s_cbranch_execz .LBB51_22
; %bb.21:                               ;   in Loop: Header=BB51_14 Depth=1
	ds_load_2addr_stride64_b32 v[1:2], v10 offset1:1
	s_wait_dscnt 0x0
	v_add_nc_u32_e32 v1, v2, v1
	ds_store_b32 v10, v1
.LBB51_22:                              ;   in Loop: Header=BB51_14 Depth=1
	s_wait_alu 0xfffe
	s_or_b32 exec_lo, exec_lo, s10
	s_wait_loadcnt_dscnt 0x0
	s_barrier_signal -1
	s_barrier_wait -1
	global_inv scope:SCOPE_SE
	s_and_saveexec_b32 s10, s4
	s_cbranch_execz .LBB51_24
; %bb.23:                               ;   in Loop: Header=BB51_14 Depth=1
	ds_load_2addr_b32 v[1:2], v10 offset1:32
	s_wait_dscnt 0x0
	v_add_nc_u32_e32 v1, v2, v1
	ds_store_b32 v10, v1
.LBB51_24:                              ;   in Loop: Header=BB51_14 Depth=1
	s_wait_alu 0xfffe
	s_or_b32 exec_lo, exec_lo, s10
	s_wait_loadcnt_dscnt 0x0
	s_barrier_signal -1
	s_barrier_wait -1
	global_inv scope:SCOPE_SE
	s_and_saveexec_b32 s10, s5
	s_cbranch_execz .LBB51_26
; %bb.25:                               ;   in Loop: Header=BB51_14 Depth=1
	ds_load_2addr_b32 v[1:2], v10 offset1:16
	s_wait_dscnt 0x0
	v_add_nc_u32_e32 v1, v2, v1
	ds_store_b32 v10, v1
.LBB51_26:                              ;   in Loop: Header=BB51_14 Depth=1
	;; [unrolled: 14-line block ×5, first 2 shown]
	s_wait_alu 0xfffe
	s_or_b32 exec_lo, exec_lo, s10
	s_wait_loadcnt_dscnt 0x0
	s_barrier_signal -1
	s_barrier_wait -1
	global_inv scope:SCOPE_SE
	s_and_saveexec_b32 s10, s9
	s_cbranch_execz .LBB51_34
; %bb.33:                               ;   in Loop: Header=BB51_14 Depth=1
	ds_load_b64 v[1:2], v7
	s_wait_dscnt 0x0
	v_add_nc_u32_e32 v1, v2, v1
	ds_store_b32 v7, v1
.LBB51_34:                              ;   in Loop: Header=BB51_14 Depth=1
	s_wait_alu 0xfffe
	s_or_b32 exec_lo, exec_lo, s10
	s_wait_loadcnt_dscnt 0x0
	s_barrier_signal -1
	s_barrier_wait -1
	global_inv scope:SCOPE_SE
	s_and_saveexec_b32 s10, s9
	s_cbranch_execz .LBB51_13
; %bb.35:                               ;   in Loop: Header=BB51_14 Depth=1
	ds_load_b32 v1, v7
	s_and_not1_b32 vcc_lo, exec_lo, s11
	s_wait_alu 0xfffe
	s_cbranch_vccnz .LBB51_12
; %bb.36:                               ;   in Loop: Header=BB51_14 Depth=1
	s_lshl_b64 s[40:41], s[38:39], 2
	s_wait_alu 0xfffe
	s_add_nc_u64 s[40:41], s[24:25], s[40:41]
	global_load_b32 v2, v7, s[40:41]
	s_wait_loadcnt 0x0
	v_mul_lo_u32 v2, v2, s33
	s_wait_dscnt 0x0
	s_delay_alu instid0(VALU_DEP_1)
	v_add_nc_u32_e32 v1, v2, v1
	s_branch .LBB51_12
.LBB51_37:
	s_mov_b32 s10, 0
.LBB51_38:
	s_wait_alu 0xfffe
	s_and_b32 vcc_lo, exec_lo, s10
	s_wait_alu 0xfffe
	s_cbranch_vccz .LBB51_73
; %bb.39:
	s_load_b64 s[6:7], s[0:1], 0x18
	v_mov_b32_e32 v1, 0
	s_lshl_b64 s[2:3], s[36:37], 2
	s_cmp_lg_u64 s[26:27], 0
	v_cmp_eq_u32_e32 vcc_lo, 0, v0
	s_cselect_b32 s38, -1, 0
	s_cmp_eq_u64 s[26:27], 0
	s_sub_nc_u64 s[8:9], s[36:37], s[26:27]
	s_wait_kmcnt 0x0
	s_wait_alu 0xfffe
	s_add_nc_u64 s[4:5], s[6:7], s[2:3]
	s_cselect_b32 s2, -1, 0
	global_load_b32 v7, v1, s[4:5]
	s_wait_alu 0xfffe
	s_and_b32 s2, vcc_lo, s2
	s_wait_alu 0xfffe
	s_and_saveexec_b32 s3, s2
	s_cbranch_execz .LBB51_43
; %bb.40:
	v_mov_b32_e32 v1, 0
	s_lshl_b64 s[36:37], s[20:21], 2
	s_mov_b32 s10, exec_lo
	s_add_nc_u64 s[36:37], s[24:25], s[36:37]
	s_wait_alu 0xfffe
	v_mbcnt_lo_u32_b32 v3, s10, 0
	global_load_b32 v2, v1, s[36:37]
	s_add_co_i32 s11, s33, -1
	s_mov_b32 s35, exec_lo
	s_wait_loadcnt 0x0
	s_wait_storecnt 0x0
	global_inv scope:SCOPE_DEV
	v_cmpx_eq_u32_e32 0, v3
	s_cbranch_execz .LBB51_42
; %bb.41:
	s_bcnt1_i32_b32 s2, s10
	s_lshl_b64 s[36:37], s[8:9], 2
	s_wait_alu 0xfffe
	s_and_b32 s2, s2, 1
	s_add_nc_u64 s[36:37], s[6:7], s[36:37]
	s_wait_alu 0xfffe
	v_mov_b32_e32 v3, s2
	global_atomic_xor_b32 v1, v3, s[36:37] scope:SCOPE_DEV
.LBB51_42:
	s_wait_alu 0xfffe
	s_or_b32 exec_lo, exec_lo, s35
	v_mul_lo_u32 v1, v2, s11
.LBB51_43:
	s_wait_alu 0xfffe
	s_or_b32 exec_lo, exec_lo, s3
	s_load_b64 s[2:3], s[30:31], 0x8
	s_mov_b32 s35, 0
	s_mul_u64 s[10:11], s[26:27], 0xc00
	s_wait_alu 0xfffe
	s_sub_nc_u64 s[36:37], s[28:29], s[34:35]
	s_mov_b32 s39, exec_lo
	s_add_nc_u64 s[36:37], s[36:37], s[10:11]
	s_delay_alu instid0(SALU_CYCLE_1)
	v_add_co_u32 v3, s10, s36, v0
	s_wait_alu 0xf1ff
	v_add_co_ci_u32_e64 v4, null, s37, 0, s10
	s_wait_kmcnt 0x0
	s_sub_nc_u64 s[10:11], s[2:3], s[34:35]
	s_wait_alu 0xfffe
	s_delay_alu instid0(VALU_DEP_1)
	v_cmpx_gt_i64_e64 s[10:11], v[3:4]
	s_cbranch_execz .LBB51_47
; %bb.44:
	v_lshlrev_b64_e32 v[5:6], 3, v[3:4]
	s_add_nc_u64 s[36:37], s[36:37], 0xc00
	s_wait_alu 0xfffe
	v_cmp_lt_i64_e64 s3, s[36:37], s[10:11]
	s_delay_alu instid0(VALU_DEP_2)
	v_add_co_u32 v5, s2, s14, v5
	s_wait_alu 0xf1ff
	v_add_co_ci_u32_e64 v6, null, s15, v6, s2
	s_and_b32 s2, s3, exec_lo
	s_cselect_b32 s11, s37, s11
	s_cselect_b32 s10, s36, s10
.LBB51_45:                              ; =>This Inner Loop Header: Depth=1
	global_load_b64 v[8:9], v[5:6], off
	v_add_co_u32 v10, s2, s16, v3
	s_wait_alu 0xf1fe
	v_add_co_ci_u32_e64 v11, null, s17, v4, s2
	v_add_co_u32 v5, s3, 0x800, v5
	s_wait_alu 0xf1ff
	v_add_co_ci_u32_e64 v6, null, 0, v6, s3
	global_load_i8 v2, v[10:11], off
	s_wait_loadcnt 0x1
	v_sub_co_u32 v8, s2, v8, s34
	s_wait_alu 0xf1ff
	v_subrev_co_ci_u32_e64 v9, null, 0, v9, s2
	s_delay_alu instid0(VALU_DEP_2) | instskip(SKIP_1) | instid1(VALU_DEP_2)
	v_add_co_u32 v8, s2, s18, v8
	s_wait_alu 0xf1ff
	v_add_co_ci_u32_e64 v9, null, s19, v9, s2
	s_wait_loadcnt 0x0
	v_mul_lo_u32 v2, s42, v2
	v_add_co_u32 v3, s2, 0x100, v3
	global_load_i8 v8, v[8:9], off
	s_wait_alu 0xf1ff
	v_add_co_ci_u32_e64 v4, null, 0, v4, s2
	s_delay_alu instid0(VALU_DEP_1)
	v_cmp_le_i64_e64 s2, s[10:11], v[3:4]
	s_or_b32 s35, s2, s35
	s_wait_loadcnt 0x0
	v_mad_co_u64_u32 v[1:2], null, v2, v8, v[1:2]
	s_wait_alu 0xfffe
	s_and_not1_b32 exec_lo, exec_lo, s35
	s_cbranch_execnz .LBB51_45
; %bb.46:
	s_or_b32 exec_lo, exec_lo, s35
.LBB51_47:
	s_delay_alu instid0(SALU_CYCLE_1)
	s_or_b32 exec_lo, exec_lo, s39
	v_lshlrev_b32_e32 v2, 2, v0
	s_mov_b32 s3, exec_lo
	ds_store_b32 v2, v1
	s_wait_storecnt 0x0
	s_wait_loadcnt_dscnt 0x0
	s_barrier_signal -1
	s_barrier_wait -1
	global_inv scope:SCOPE_SE
	v_cmpx_gt_u32_e32 0x80, v0
	s_cbranch_execz .LBB51_49
; %bb.48:
	ds_load_2addr_stride64_b32 v[3:4], v2 offset1:2
	s_wait_dscnt 0x0
	v_add_nc_u32_e32 v1, v4, v3
	ds_store_b32 v2, v1
.LBB51_49:
	s_wait_alu 0xfffe
	s_or_b32 exec_lo, exec_lo, s3
	s_delay_alu instid0(SALU_CYCLE_1)
	s_mov_b32 s3, exec_lo
	s_wait_loadcnt_dscnt 0x0
	s_barrier_signal -1
	s_barrier_wait -1
	global_inv scope:SCOPE_SE
	v_cmpx_gt_u32_e32 64, v0
	s_cbranch_execz .LBB51_51
; %bb.50:
	ds_load_2addr_stride64_b32 v[3:4], v2 offset1:1
	s_wait_dscnt 0x0
	v_add_nc_u32_e32 v1, v4, v3
	ds_store_b32 v2, v1
.LBB51_51:
	s_wait_alu 0xfffe
	s_or_b32 exec_lo, exec_lo, s3
	s_delay_alu instid0(SALU_CYCLE_1)
	s_mov_b32 s3, exec_lo
	s_wait_loadcnt_dscnt 0x0
	s_barrier_signal -1
	s_barrier_wait -1
	global_inv scope:SCOPE_SE
	v_cmpx_gt_u32_e32 32, v0
	s_cbranch_execz .LBB51_53
; %bb.52:
	ds_load_2addr_b32 v[3:4], v2 offset1:32
	s_wait_dscnt 0x0
	v_add_nc_u32_e32 v1, v4, v3
	ds_store_b32 v2, v1
.LBB51_53:
	s_wait_alu 0xfffe
	s_or_b32 exec_lo, exec_lo, s3
	s_delay_alu instid0(SALU_CYCLE_1)
	s_mov_b32 s3, exec_lo
	s_wait_loadcnt_dscnt 0x0
	s_barrier_signal -1
	s_barrier_wait -1
	global_inv scope:SCOPE_SE
	v_cmpx_gt_u32_e32 16, v0
	s_cbranch_execz .LBB51_55
; %bb.54:
	ds_load_2addr_b32 v[3:4], v2 offset1:16
	s_wait_dscnt 0x0
	v_add_nc_u32_e32 v1, v4, v3
	ds_store_b32 v2, v1
.LBB51_55:
	;; [unrolled: 16-line block ×5, first 2 shown]
	s_wait_alu 0xfffe
	s_or_b32 exec_lo, exec_lo, s3
	s_wait_loadcnt_dscnt 0x0
	s_barrier_signal -1
	s_barrier_wait -1
	global_inv scope:SCOPE_SE
	s_and_saveexec_b32 s2, vcc_lo
	s_cbranch_execz .LBB51_63
; %bb.62:
	v_mov_b32_e32 v3, 0
	ds_load_b64 v[1:2], v3
	s_wait_dscnt 0x0
	v_add_nc_u32_e32 v1, v2, v1
	ds_store_b32 v3, v1
.LBB51_63:
	s_wait_alu 0xfffe
	s_or_b32 exec_lo, exec_lo, s2
	s_wait_loadcnt_dscnt 0x0
	s_barrier_signal -1
	s_barrier_wait -1
	global_inv scope:SCOPE_SE
	s_and_saveexec_b32 s10, vcc_lo
	s_cbranch_execz .LBB51_72
; %bb.64:
	s_and_not1_b32 vcc_lo, exec_lo, s38
	s_wait_alu 0xfffe
	s_cbranch_vccnz .LBB51_70
; %bb.65:
	v_mov_b32_e32 v1, 0
	s_lshl_b64 s[2:3], s[8:9], 2
	s_wait_alu 0xfffe
	s_add_nc_u64 s[2:3], s[6:7], s[2:3]
	s_branch .LBB51_67
.LBB51_66:                              ;   in Loop: Header=BB51_67 Depth=1
	s_wait_alu 0xfffe
	s_or_b32 exec_lo, exec_lo, s6
	s_wait_loadcnt 0x0
	v_readfirstlane_b32 s6, v2
	s_wait_alu 0xf1ff
	s_delay_alu instid0(VALU_DEP_1)
	v_cmp_eq_u32_e32 vcc_lo, s6, v7
	s_cbranch_vccz .LBB51_69
.LBB51_67:                              ; =>This Inner Loop Header: Depth=1
	v_mbcnt_lo_u32_b32 v2, exec_lo, 0
	s_delay_alu instid0(VALU_DEP_1)
	v_cmp_eq_u32_e32 vcc_lo, 0, v2
                                        ; implicit-def: $vgpr2
	s_and_saveexec_b32 s6, vcc_lo
	s_cbranch_execz .LBB51_66
; %bb.68:                               ;   in Loop: Header=BB51_67 Depth=1
	global_load_b32 v2, v1, s[2:3] scope:SCOPE_DEV
	s_branch .LBB51_66
.LBB51_69:
	v_mov_b32_e32 v1, 0
	global_load_u16 v2, v1, s[4:5]
	s_wait_loadcnt 0x0
	v_xor_b32_e32 v2, 1, v2
	global_store_b16 v1, v2, s[4:5]
.LBB51_70:
	s_mov_b32 s2, exec_lo
	s_wait_alu 0xfffe
	v_mbcnt_lo_u32_b32 v1, s2, 0
	s_delay_alu instid0(VALU_DEP_1)
	v_cmp_eq_u32_e32 vcc_lo, 0, v1
	s_and_b32 s3, exec_lo, vcc_lo
	s_wait_alu 0xfffe
	s_mov_b32 exec_lo, s3
	s_cbranch_execz .LBB51_72
; %bb.71:
	v_mov_b32_e32 v1, 0
	s_bcnt1_i32_b32 s2, s2
	ds_load_b32 v2, v1
	s_wait_dscnt 0x0
	s_wait_alu 0xfffe
	v_mul_lo_u32 v2, v2, s2
	s_lshl_b64 s[2:3], s[20:21], 2
	s_wait_alu 0xfffe
	s_add_nc_u64 s[2:3], s[24:25], s[2:3]
	global_atomic_add_u32 v1, v2, s[2:3] scope:SCOPE_DEV
.LBB51_72:
	s_wait_alu 0xfffe
	s_or_b32 exec_lo, exec_lo, s10
.LBB51_73:
	s_mov_b32 s4, 0
.LBB51_74:
	s_delay_alu instid0(SALU_CYCLE_1)
	s_and_not1_b32 vcc_lo, exec_lo, s4
	s_wait_alu 0xfffe
	s_cbranch_vccnz .LBB51_118
; %bb.75:
	s_load_b64 s[0:1], s[0:1], 0x8
	v_sub_co_u32 v1, s2, v0, s34
	s_wait_alu 0xf1ff
	v_sub_co_ci_u32_e64 v2, null, 0, 0, s2
	s_mov_b32 s35, 0
	s_wait_kmcnt 0x0
	v_add_co_u32 v1, vcc_lo, s28, v1
	s_wait_alu 0xfffd
	v_add_co_ci_u32_e64 v2, null, s29, v2, vcc_lo
	s_delay_alu instid0(VALU_DEP_2) | instskip(SKIP_1) | instid1(VALU_DEP_2)
	v_add_co_u32 v3, vcc_lo, 0x300, v1
	s_wait_alu 0xfffd
	v_add_co_ci_u32_e64 v4, null, 0, v2, vcc_lo
	s_delay_alu instid0(VALU_DEP_1)
	v_cmp_le_i64_e32 vcc_lo, s[0:1], v[3:4]
	s_and_saveexec_b32 s0, vcc_lo
	s_wait_alu 0xfffe
	s_xor_b32 s1, exec_lo, s0
	s_cbranch_execz .LBB51_80
; %bb.76:
	s_lshl_b64 s[2:3], s[22:23], 3
	s_mov_b32 s4, exec_lo
	s_wait_alu 0xfffe
	s_add_nc_u64 s[2:3], s[12:13], s[2:3]
	s_load_b64 s[2:3], s[2:3], 0x0
	s_wait_kmcnt 0x0
	s_sub_nc_u64 s[2:3], s[2:3], s[34:35]
	s_wait_alu 0xfffe
	v_cmpx_gt_i64_e64 s[2:3], v[1:2]
	s_cbranch_execz .LBB51_79
; %bb.77:
	v_lshlrev_b64_e32 v[3:4], 3, v[1:2]
	v_lshlrev_b32_e32 v5, 2, v0
	s_mov_b32 s5, 0
	s_delay_alu instid0(VALU_DEP_2) | instskip(SKIP_1) | instid1(VALU_DEP_3)
	v_add_co_u32 v3, vcc_lo, s14, v3
	s_wait_alu 0xfffd
	v_add_co_ci_u32_e64 v4, null, s15, v4, vcc_lo
.LBB51_78:                              ; =>This Inner Loop Header: Depth=1
	global_load_b64 v[6:7], v[3:4], off
	v_add_co_u32 v8, vcc_lo, s16, v1
	s_wait_alu 0xfffd
	v_add_co_ci_u32_e64 v9, null, s17, v2, vcc_lo
	global_load_i8 v8, v[8:9], off
	s_wait_loadcnt 0x1
	v_sub_co_u32 v6, vcc_lo, v6, s34
	s_wait_alu 0xfffd
	v_subrev_co_ci_u32_e64 v7, null, 0, v7, vcc_lo
	s_delay_alu instid0(VALU_DEP_2) | instskip(SKIP_1) | instid1(VALU_DEP_2)
	v_add_co_u32 v6, vcc_lo, s18, v6
	s_wait_alu 0xfffd
	v_add_co_ci_u32_e64 v7, null, s19, v7, vcc_lo
	v_add_co_u32 v1, vcc_lo, 0x100, v1
	s_wait_alu 0xfffd
	v_add_co_ci_u32_e64 v2, null, 0, v2, vcc_lo
	global_load_i8 v6, v[6:7], off
	s_wait_loadcnt 0x1
	v_mul_lo_u32 v7, s42, v8
	v_add_co_u32 v3, vcc_lo, 0x800, v3
	v_cmp_le_i64_e64 s0, s[2:3], v[1:2]
	s_wait_alu 0xfffd
	v_add_co_ci_u32_e64 v4, null, 0, v4, vcc_lo
	s_or_b32 s5, s0, s5
	s_wait_loadcnt 0x0
	v_mul_lo_u32 v6, v7, v6
	ds_store_b32 v5, v6
	v_add_nc_u32_e32 v5, 0x400, v5
	s_and_not1_b32 exec_lo, exec_lo, s5
	s_cbranch_execnz .LBB51_78
.LBB51_79:
	s_or_b32 exec_lo, exec_lo, s4
                                        ; implicit-def: $vgpr1
.LBB51_80:
	s_wait_alu 0xfffe
	s_or_saveexec_b32 s0, s1
	v_lshlrev_b32_e32 v10, 2, v0
	s_wait_alu 0xfffe
	s_xor_b32 exec_lo, exec_lo, s0
	s_cbranch_execz .LBB51_82
; %bb.81:
	v_lshlrev_b64_e32 v[3:4], 3, v[1:2]
	s_delay_alu instid0(VALU_DEP_1) | instskip(SKIP_1) | instid1(VALU_DEP_2)
	v_add_co_u32 v3, vcc_lo, s14, v3
	s_wait_alu 0xfffd
	v_add_co_ci_u32_e64 v4, null, s15, v4, vcc_lo
	v_add_co_u32 v1, vcc_lo, s16, v1
	s_wait_alu 0xfffd
	v_add_co_ci_u32_e64 v2, null, s17, v2, vcc_lo
	s_clause 0x3
	global_load_b64 v[5:6], v[3:4], off
	global_load_b64 v[7:8], v[3:4], off offset:2048
	global_load_b64 v[11:12], v[3:4], off offset:4096
	;; [unrolled: 1-line block ×3, first 2 shown]
	s_clause 0x3
	global_load_i8 v9, v[1:2], off
	global_load_i8 v13, v[1:2], off offset:256
	global_load_i8 v14, v[1:2], off offset:512
	;; [unrolled: 1-line block ×3, first 2 shown]
	s_wait_loadcnt 0x7
	v_sub_co_u32 v1, vcc_lo, v5, s34
	s_wait_alu 0xfffd
	v_subrev_co_ci_u32_e64 v2, null, 0, v6, vcc_lo
	s_wait_loadcnt 0x6
	v_sub_co_u32 v5, vcc_lo, v7, s34
	s_wait_alu 0xfffd
	v_subrev_co_ci_u32_e64 v6, null, 0, v8, vcc_lo
	;; [unrolled: 4-line block ×4, first 2 shown]
	v_add_co_u32 v1, vcc_lo, s18, v1
	s_wait_alu 0xfffd
	v_add_co_ci_u32_e64 v2, null, s19, v2, vcc_lo
	v_add_co_u32 v3, vcc_lo, s18, v5
	s_wait_alu 0xfffd
	v_add_co_ci_u32_e64 v4, null, s19, v6, vcc_lo
	;; [unrolled: 3-line block ×4, first 2 shown]
	s_clause 0x3
	global_load_i8 v1, v[1:2], off
	global_load_i8 v2, v[3:4], off
	;; [unrolled: 1-line block ×4, first 2 shown]
	s_wait_loadcnt 0x7
	v_mul_lo_u32 v5, s42, v9
	s_wait_loadcnt 0x6
	v_mul_lo_u32 v6, s42, v13
	;; [unrolled: 2-line block ×8, first 2 shown]
	ds_store_2addr_stride64_b32 v10, v1, v2 offset1:4
	ds_store_2addr_stride64_b32 v10, v3, v4 offset0:8 offset1:12
.LBB51_82:
	s_or_b32 exec_lo, exec_lo, s0
	v_cmp_lt_i64_e64 s0, s[26:27], 2
	s_wait_storecnt 0x0
	s_wait_loadcnt_dscnt 0x0
	s_barrier_signal -1
	s_barrier_wait -1
	global_inv scope:SCOPE_SE
	s_and_b32 vcc_lo, exec_lo, s0
	s_mov_b32 s0, -1
	s_wait_alu 0xfffe
	s_cbranch_vccz .LBB51_93
; %bb.83:
	v_add_co_u32 v5, s0, s20, v0
	s_wait_alu 0xf1ff
	v_add_co_ci_u32_e64 v6, null, s21, 0, s0
	s_mov_b32 s1, exec_lo
	v_cmpx_gt_i64_e64 s[22:23], v[5:6]
	s_cbranch_execz .LBB51_92
; %bb.84:
	s_cmp_lg_u32 s33, 0
	s_mov_b32 s3, 0
	s_cselect_b32 s2, -1, 0
	s_lshl_b32 s0, s28, 2
	s_wait_alu 0xfffe
	s_sub_co_i32 s4, 0, s0
	s_branch .LBB51_86
.LBB51_85:                              ;   in Loop: Header=BB51_86 Depth=1
	v_add_co_u32 v5, vcc_lo, 0x100, v5
	s_wait_alu 0xfffd
	v_add_co_ci_u32_e64 v6, null, 0, v6, vcc_lo
	v_add_co_u32 v1, s0, s24, v1
	s_wait_alu 0xf1ff
	v_add_co_ci_u32_e64 v2, null, s25, v2, s0
	s_delay_alu instid0(VALU_DEP_3)
	v_cmp_le_i64_e32 vcc_lo, s[22:23], v[5:6]
	global_store_b32 v[1:2], v7, off
	s_or_b32 s3, vcc_lo, s3
	s_wait_alu 0xfffe
	s_and_not1_b32 exec_lo, exec_lo, s3
	s_cbranch_execz .LBB51_92
.LBB51_86:                              ; =>This Loop Header: Depth=1
                                        ;     Child Loop BB51_88 Depth 2
	v_lshlrev_b64_e32 v[1:2], 3, v[5:6]
	v_mov_b32_e32 v7, 0
	s_mov_b32 s0, exec_lo
	s_delay_alu instid0(VALU_DEP_2) | instskip(SKIP_1) | instid1(VALU_DEP_3)
	v_add_co_u32 v1, vcc_lo, s12, v1
	s_wait_alu 0xfffd
	v_add_co_ci_u32_e64 v2, null, s13, v2, vcc_lo
	global_load_b128 v[1:4], v[1:2], off
	s_wait_loadcnt 0x0
	v_cmpx_lt_i64_e64 v[1:2], v[3:4]
	s_cbranch_execz .LBB51_90
; %bb.87:                               ;   in Loop: Header=BB51_86 Depth=1
	v_sub_co_u32 v3, vcc_lo, v3, s28
	s_wait_alu 0xfffd
	v_subrev_co_ci_u32_e64 v4, null, s29, v4, vcc_lo
	v_sub_co_u32 v8, vcc_lo, v1, s28
	s_wait_alu 0xfffd
	v_subrev_co_ci_u32_e64 v9, null, s29, v2, vcc_lo
	v_lshl_add_u32 v1, v1, 2, s4
	v_mov_b32_e32 v7, 0
	s_mov_b32 s5, 0
.LBB51_88:                              ;   Parent Loop BB51_86 Depth=1
                                        ; =>  This Inner Loop Header: Depth=2
	ds_load_b32 v2, v1
	v_add_co_u32 v8, vcc_lo, v8, 1
	s_wait_alu 0xfffd
	v_add_co_ci_u32_e64 v9, null, 0, v9, vcc_lo
	v_add_nc_u32_e32 v1, 4, v1
	s_delay_alu instid0(VALU_DEP_2)
	v_cmp_ge_i64_e32 vcc_lo, v[8:9], v[3:4]
	s_wait_alu 0xfffe
	s_or_b32 s5, vcc_lo, s5
	s_wait_dscnt 0x0
	v_add_nc_u32_e32 v7, v2, v7
	s_wait_alu 0xfffe
	s_and_not1_b32 exec_lo, exec_lo, s5
	s_cbranch_execnz .LBB51_88
; %bb.89:                               ;   in Loop: Header=BB51_86 Depth=1
	s_or_b32 exec_lo, exec_lo, s5
.LBB51_90:                              ;   in Loop: Header=BB51_86 Depth=1
	s_wait_alu 0xfffe
	s_or_b32 exec_lo, exec_lo, s0
	v_lshlrev_b64_e32 v[1:2], 2, v[5:6]
	s_and_b32 vcc_lo, exec_lo, s2
	s_wait_alu 0xfffe
	s_cbranch_vccz .LBB51_85
; %bb.91:                               ;   in Loop: Header=BB51_86 Depth=1
	s_delay_alu instid0(VALU_DEP_1)
	v_add_co_u32 v3, vcc_lo, s24, v1
	s_wait_alu 0xfffd
	v_add_co_ci_u32_e64 v4, null, s25, v2, vcc_lo
	global_load_b32 v3, v[3:4], off
	s_wait_loadcnt 0x0
	v_mad_co_u64_u32 v[7:8], null, v3, s33, v[7:8]
	s_branch .LBB51_85
.LBB51_92:
	s_wait_alu 0xfffe
	s_or_b32 exec_lo, exec_lo, s1
	s_mov_b32 s0, 0
.LBB51_93:
	s_wait_alu 0xfffe
	s_and_not1_b32 vcc_lo, exec_lo, s0
	s_wait_alu 0xfffe
	s_cbranch_vccnz .LBB51_118
; %bb.94:
	s_clz_i32_u32 s0, s26
	s_mov_b32 s1, exec_lo
	s_wait_alu 0xfffe
	s_min_u32 s0, s0, 32
	s_wait_alu 0xfffe
	s_sub_co_i32 s0, 31, s0
	s_wait_alu 0xfffe
	v_lshrrev_b32_e32 v5, s0, v0
	s_delay_alu instid0(VALU_DEP_1)
	v_add_co_u32 v1, s0, s20, v5
	s_wait_alu 0xf1ff
	v_add_co_ci_u32_e64 v2, null, s21, 0, s0
	s_add_co_i32 s0, s26, -1
	s_wait_alu 0xfffe
	v_dual_mov_b32 v4, 0 :: v_dual_and_b32 v3, s0, v0
	v_cmp_le_i64_e64 s0, s[22:23], v[1:2]
	s_delay_alu instid0(VALU_DEP_2)
	v_mov_b32_e32 v0, v4
	v_cmpx_gt_i64_e64 s[22:23], v[1:2]
	s_cbranch_execz .LBB51_100
; %bb.95:
	v_lshlrev_b32_e32 v0, 3, v5
	global_load_b128 v[11:14], v0, s[30:31]
	v_sub_co_u32 v0, s2, v3, s28
	s_wait_alu 0xf1ff
	v_sub_co_ci_u32_e64 v8, null, 0, s29, s2
	s_mov_b32 s2, exec_lo
	s_wait_loadcnt 0x0
	v_sub_co_u32 v5, vcc_lo, v13, s28
	s_wait_alu 0xfffd
	v_subrev_co_ci_u32_e64 v6, null, s29, v14, vcc_lo
	v_add_co_u32 v7, vcc_lo, v11, v0
	s_wait_alu 0xfffd
	v_add_co_ci_u32_e64 v8, null, v12, v8, vcc_lo
	v_mov_b32_e32 v0, 0
	s_delay_alu instid0(VALU_DEP_2)
	v_cmpx_lt_i64_e64 v[7:8], v[5:6]
	s_cbranch_execz .LBB51_99
; %bb.96:
	v_dual_mov_b32 v0, 0 :: v_dual_lshlrev_b32 v9, 2, v7
	s_lshl_b32 s4, s26, 2
	s_mov_b32 s3, 0
.LBB51_97:                              ; =>This Inner Loop Header: Depth=1
	ds_load_b32 v11, v9
	v_add_co_u32 v7, vcc_lo, v7, s26
	s_wait_alu 0xfffd
	v_add_co_ci_u32_e64 v8, null, s27, v8, vcc_lo
	s_wait_alu 0xfffe
	v_add_nc_u32_e32 v9, s4, v9
	s_delay_alu instid0(VALU_DEP_2)
	v_cmp_ge_i64_e32 vcc_lo, v[7:8], v[5:6]
	s_or_b32 s3, vcc_lo, s3
	s_wait_dscnt 0x0
	v_add_nc_u32_e32 v0, v11, v0
	s_wait_alu 0xfffe
	s_and_not1_b32 exec_lo, exec_lo, s3
	s_cbranch_execnz .LBB51_97
; %bb.98:
	s_or_b32 exec_lo, exec_lo, s3
.LBB51_99:
	s_wait_alu 0xfffe
	s_or_b32 exec_lo, exec_lo, s2
.LBB51_100:
	s_delay_alu instid0(SALU_CYCLE_1)
	s_or_b32 exec_lo, exec_lo, s1
	v_cmp_gt_u64_e64 s1, 0x81, s[26:27]
	s_wait_loadcnt 0x0
	s_wait_storecnt 0x0
	s_barrier_signal -1
	s_barrier_wait -1
	global_inv scope:SCOPE_SE
	ds_store_b32 v10, v0
	s_and_b32 vcc_lo, exec_lo, s1
	s_wait_loadcnt_dscnt 0x0
	s_barrier_signal -1
	s_barrier_wait -1
	global_inv scope:SCOPE_SE
	s_wait_alu 0xfffe
	s_cbranch_vccnz .LBB51_102
; %bb.101:
	ds_load_b32 v5, v10 offset:512
	s_wait_loadcnt_dscnt 0x0
	s_barrier_signal -1
	s_barrier_wait -1
	global_inv scope:SCOPE_SE
	v_add_nc_u32_e32 v0, v5, v0
	ds_store_b32 v10, v0
.LBB51_102:
	v_cmp_gt_u64_e64 s1, 0x41, s[26:27]
	s_wait_loadcnt_dscnt 0x0
	s_barrier_signal -1
	s_barrier_wait -1
	global_inv scope:SCOPE_SE
	s_and_b32 vcc_lo, exec_lo, s1
	s_wait_alu 0xfffe
	s_cbranch_vccnz .LBB51_104
; %bb.103:
	ds_load_b32 v5, v10 offset:256
	s_wait_loadcnt_dscnt 0x0
	s_barrier_signal -1
	s_barrier_wait -1
	global_inv scope:SCOPE_SE
	v_add_nc_u32_e32 v0, v5, v0
	ds_store_b32 v10, v0
.LBB51_104:
	v_cmp_lt_u64_e64 s1, s[26:27], 33
	s_wait_loadcnt_dscnt 0x0
	s_barrier_signal -1
	s_barrier_wait -1
	global_inv scope:SCOPE_SE
	s_and_b32 vcc_lo, exec_lo, s1
	s_wait_alu 0xfffe
	s_cbranch_vccnz .LBB51_106
; %bb.105:
	ds_load_b32 v5, v10 offset:128
	s_wait_loadcnt_dscnt 0x0
	s_barrier_signal -1
	s_barrier_wait -1
	global_inv scope:SCOPE_SE
	v_add_nc_u32_e32 v0, v5, v0
	ds_store_b32 v10, v0
.LBB51_106:
	v_cmp_lt_u64_e64 s1, s[26:27], 17
	;; [unrolled: 17-line block ×4, first 2 shown]
	s_wait_loadcnt_dscnt 0x0
	s_barrier_signal -1
	s_barrier_wait -1
	global_inv scope:SCOPE_SE
	s_and_b32 vcc_lo, exec_lo, s1
	s_wait_alu 0xfffe
	s_cbranch_vccnz .LBB51_112
; %bb.111:
	ds_load_b32 v5, v10 offset:16
	s_wait_loadcnt_dscnt 0x0
	s_barrier_signal -1
	s_barrier_wait -1
	global_inv scope:SCOPE_SE
	v_add_nc_u32_e32 v0, v5, v0
	ds_store_b32 v10, v0
.LBB51_112:
	s_cmp_eq_u64 s[26:27], 2
	s_wait_loadcnt_dscnt 0x0
	s_barrier_signal -1
	s_barrier_wait -1
	global_inv scope:SCOPE_SE
	s_cbranch_scc1 .LBB51_114
; %bb.113:
	ds_load_b32 v5, v10 offset:8
	s_wait_loadcnt_dscnt 0x0
	s_barrier_signal -1
	s_barrier_wait -1
	global_inv scope:SCOPE_SE
	v_add_nc_u32_e32 v0, v5, v0
	ds_store_b32 v10, v0
.LBB51_114:
	s_wait_loadcnt_dscnt 0x0
	s_barrier_signal -1
	s_barrier_wait -1
	global_inv scope:SCOPE_SE
	ds_load_b32 v5, v10 offset:4
	v_cmp_eq_u64_e32 vcc_lo, 0, v[3:4]
	s_xor_b32 s0, s0, -1
	s_wait_loadcnt_dscnt 0x0
	s_barrier_signal -1
	s_barrier_wait -1
	global_inv scope:SCOPE_SE
	s_wait_alu 0xfffe
	s_and_b32 s0, vcc_lo, s0
	v_add_nc_u32_e32 v0, v5, v0
	ds_store_b32 v10, v0
	s_wait_alu 0xfffe
	s_and_saveexec_b32 s1, s0
	s_cbranch_execz .LBB51_118
; %bb.115:
	v_lshlrev_b64_e32 v[2:3], 2, v[1:2]
	s_cmp_eq_u32 s33, 0
	s_cbranch_scc1 .LBB51_117
; %bb.116:
	s_delay_alu instid0(VALU_DEP_1) | instskip(SKIP_1) | instid1(VALU_DEP_2)
	v_add_co_u32 v4, vcc_lo, s24, v2
	s_wait_alu 0xfffd
	v_add_co_ci_u32_e64 v5, null, s25, v3, vcc_lo
	global_load_b32 v1, v[4:5], off
	s_wait_loadcnt 0x0
	v_mad_co_u64_u32 v[0:1], null, v1, s33, v[0:1]
.LBB51_117:
	s_delay_alu instid0(VALU_DEP_1) | instskip(SKIP_1) | instid1(VALU_DEP_2)
	v_add_co_u32 v1, vcc_lo, s24, v2
	s_wait_alu 0xfffd
	v_add_co_ci_u32_e64 v2, null, s25, v3, vcc_lo
	global_store_b32 v[1:2], v0, off
.LBB51_118:
	s_endpgm
	.section	.rodata,"a",@progbits
	.p2align	6, 0x0
	.amdhsa_kernel _ZN9rocsparseL22csrmvn_adaptive_kernelIllaaiiEEvbT_PKS1_PjPKT0_NS_24const_host_device_scalarIT4_EES3_S7_PKT1_PKT2_SA_PT3_21rocsparse_index_base_b
		.amdhsa_group_segment_fixed_size 4096
		.amdhsa_private_segment_fixed_size 0
		.amdhsa_kernarg_size 104
		.amdhsa_user_sgpr_count 2
		.amdhsa_user_sgpr_dispatch_ptr 0
		.amdhsa_user_sgpr_queue_ptr 0
		.amdhsa_user_sgpr_kernarg_segment_ptr 1
		.amdhsa_user_sgpr_dispatch_id 0
		.amdhsa_user_sgpr_private_segment_size 0
		.amdhsa_wavefront_size32 1
		.amdhsa_uses_dynamic_stack 0
		.amdhsa_enable_private_segment 0
		.amdhsa_system_sgpr_workgroup_id_x 1
		.amdhsa_system_sgpr_workgroup_id_y 0
		.amdhsa_system_sgpr_workgroup_id_z 0
		.amdhsa_system_sgpr_workgroup_info 0
		.amdhsa_system_vgpr_workitem_id 0
		.amdhsa_next_free_vgpr 16
		.amdhsa_next_free_sgpr 48
		.amdhsa_reserve_vcc 1
		.amdhsa_float_round_mode_32 0
		.amdhsa_float_round_mode_16_64 0
		.amdhsa_float_denorm_mode_32 3
		.amdhsa_float_denorm_mode_16_64 3
		.amdhsa_fp16_overflow 0
		.amdhsa_workgroup_processor_mode 1
		.amdhsa_memory_ordered 1
		.amdhsa_forward_progress 1
		.amdhsa_inst_pref_size 44
		.amdhsa_round_robin_scheduling 0
		.amdhsa_exception_fp_ieee_invalid_op 0
		.amdhsa_exception_fp_denorm_src 0
		.amdhsa_exception_fp_ieee_div_zero 0
		.amdhsa_exception_fp_ieee_overflow 0
		.amdhsa_exception_fp_ieee_underflow 0
		.amdhsa_exception_fp_ieee_inexact 0
		.amdhsa_exception_int_div_zero 0
	.end_amdhsa_kernel
	.section	.text._ZN9rocsparseL22csrmvn_adaptive_kernelIllaaiiEEvbT_PKS1_PjPKT0_NS_24const_host_device_scalarIT4_EES3_S7_PKT1_PKT2_SA_PT3_21rocsparse_index_base_b,"axG",@progbits,_ZN9rocsparseL22csrmvn_adaptive_kernelIllaaiiEEvbT_PKS1_PjPKT0_NS_24const_host_device_scalarIT4_EES3_S7_PKT1_PKT2_SA_PT3_21rocsparse_index_base_b,comdat
.Lfunc_end51:
	.size	_ZN9rocsparseL22csrmvn_adaptive_kernelIllaaiiEEvbT_PKS1_PjPKT0_NS_24const_host_device_scalarIT4_EES3_S7_PKT1_PKT2_SA_PT3_21rocsparse_index_base_b, .Lfunc_end51-_ZN9rocsparseL22csrmvn_adaptive_kernelIllaaiiEEvbT_PKS1_PjPKT0_NS_24const_host_device_scalarIT4_EES3_S7_PKT1_PKT2_SA_PT3_21rocsparse_index_base_b
                                        ; -- End function
	.set _ZN9rocsparseL22csrmvn_adaptive_kernelIllaaiiEEvbT_PKS1_PjPKT0_NS_24const_host_device_scalarIT4_EES3_S7_PKT1_PKT2_SA_PT3_21rocsparse_index_base_b.num_vgpr, 16
	.set _ZN9rocsparseL22csrmvn_adaptive_kernelIllaaiiEEvbT_PKS1_PjPKT0_NS_24const_host_device_scalarIT4_EES3_S7_PKT1_PKT2_SA_PT3_21rocsparse_index_base_b.num_agpr, 0
	.set _ZN9rocsparseL22csrmvn_adaptive_kernelIllaaiiEEvbT_PKS1_PjPKT0_NS_24const_host_device_scalarIT4_EES3_S7_PKT1_PKT2_SA_PT3_21rocsparse_index_base_b.numbered_sgpr, 48
	.set _ZN9rocsparseL22csrmvn_adaptive_kernelIllaaiiEEvbT_PKS1_PjPKT0_NS_24const_host_device_scalarIT4_EES3_S7_PKT1_PKT2_SA_PT3_21rocsparse_index_base_b.num_named_barrier, 0
	.set _ZN9rocsparseL22csrmvn_adaptive_kernelIllaaiiEEvbT_PKS1_PjPKT0_NS_24const_host_device_scalarIT4_EES3_S7_PKT1_PKT2_SA_PT3_21rocsparse_index_base_b.private_seg_size, 0
	.set _ZN9rocsparseL22csrmvn_adaptive_kernelIllaaiiEEvbT_PKS1_PjPKT0_NS_24const_host_device_scalarIT4_EES3_S7_PKT1_PKT2_SA_PT3_21rocsparse_index_base_b.uses_vcc, 1
	.set _ZN9rocsparseL22csrmvn_adaptive_kernelIllaaiiEEvbT_PKS1_PjPKT0_NS_24const_host_device_scalarIT4_EES3_S7_PKT1_PKT2_SA_PT3_21rocsparse_index_base_b.uses_flat_scratch, 0
	.set _ZN9rocsparseL22csrmvn_adaptive_kernelIllaaiiEEvbT_PKS1_PjPKT0_NS_24const_host_device_scalarIT4_EES3_S7_PKT1_PKT2_SA_PT3_21rocsparse_index_base_b.has_dyn_sized_stack, 0
	.set _ZN9rocsparseL22csrmvn_adaptive_kernelIllaaiiEEvbT_PKS1_PjPKT0_NS_24const_host_device_scalarIT4_EES3_S7_PKT1_PKT2_SA_PT3_21rocsparse_index_base_b.has_recursion, 0
	.set _ZN9rocsparseL22csrmvn_adaptive_kernelIllaaiiEEvbT_PKS1_PjPKT0_NS_24const_host_device_scalarIT4_EES3_S7_PKT1_PKT2_SA_PT3_21rocsparse_index_base_b.has_indirect_call, 0
	.section	.AMDGPU.csdata,"",@progbits
; Kernel info:
; codeLenInByte = 5536
; TotalNumSgprs: 50
; NumVgprs: 16
; ScratchSize: 0
; MemoryBound: 0
; FloatMode: 240
; IeeeMode: 1
; LDSByteSize: 4096 bytes/workgroup (compile time only)
; SGPRBlocks: 0
; VGPRBlocks: 1
; NumSGPRsForWavesPerEU: 50
; NumVGPRsForWavesPerEU: 16
; Occupancy: 16
; WaveLimiterHint : 1
; COMPUTE_PGM_RSRC2:SCRATCH_EN: 0
; COMPUTE_PGM_RSRC2:USER_SGPR: 2
; COMPUTE_PGM_RSRC2:TRAP_HANDLER: 0
; COMPUTE_PGM_RSRC2:TGID_X_EN: 1
; COMPUTE_PGM_RSRC2:TGID_Y_EN: 0
; COMPUTE_PGM_RSRC2:TGID_Z_EN: 0
; COMPUTE_PGM_RSRC2:TIDIG_COMP_CNT: 0
	.section	.text._ZN9rocsparseL22partial_scale_y_kernelIliiEEvT_S1_S1_NS_24const_host_device_scalarIT1_EEPT0_b,"axG",@progbits,_ZN9rocsparseL22partial_scale_y_kernelIliiEEvT_S1_S1_NS_24const_host_device_scalarIT1_EEPT0_b,comdat
	.globl	_ZN9rocsparseL22partial_scale_y_kernelIliiEEvT_S1_S1_NS_24const_host_device_scalarIT1_EEPT0_b ; -- Begin function _ZN9rocsparseL22partial_scale_y_kernelIliiEEvT_S1_S1_NS_24const_host_device_scalarIT1_EEPT0_b
	.p2align	8
	.type	_ZN9rocsparseL22partial_scale_y_kernelIliiEEvT_S1_S1_NS_24const_host_device_scalarIT1_EEPT0_b,@function
_ZN9rocsparseL22partial_scale_y_kernelIliiEEvT_S1_S1_NS_24const_host_device_scalarIT1_EEPT0_b: ; @_ZN9rocsparseL22partial_scale_y_kernelIliiEEvT_S1_S1_NS_24const_host_device_scalarIT1_EEPT0_b
; %bb.0:
	s_clause 0x1
	s_load_b32 s2, s[0:1], 0x28
	s_load_b256 s[4:11], s[0:1], 0x0
	s_mov_b32 s3, 0
	s_wait_kmcnt 0x0
	s_bitcmp0_b32 s2, 0
	s_cbranch_scc0 .LBB52_2
; %bb.1:
	s_load_b32 s2, s[10:11], 0x0
	s_and_not1_b32 vcc_lo, exec_lo, s3
	s_cbranch_vccz .LBB52_3
	s_branch .LBB52_4
.LBB52_2:
                                        ; implicit-def: $sgpr2
.LBB52_3:
	s_wait_kmcnt 0x0
	s_mov_b32 s2, s10
.LBB52_4:
	s_wait_kmcnt 0x0
	s_cmp_eq_u32 s2, 1
	s_cbranch_scc1 .LBB52_14
; %bb.5:
	v_lshl_or_b32 v0, ttmp9, 8, v0
	v_mov_b32_e32 v1, 0
	s_add_nc_u64 s[4:5], s[6:7], s[4:5]
	s_mov_b32 s3, exec_lo
	s_sub_nc_u64 s[4:5], s[4:5], s[8:9]
	s_delay_alu instid0(VALU_DEP_1) | instid1(SALU_CYCLE_1)
	v_cmpx_gt_i64_e64 s[4:5], v[0:1]
	s_cbranch_execz .LBB52_14
; %bb.6:
	s_load_b64 s[0:1], s[0:1], 0x20
	s_cmp_lg_u32 s2, 0
	s_mov_b32 s4, exec_lo
	s_cselect_b32 s3, -1, 0
	v_cmpx_le_i64_e64 s[6:7], v[0:1]
	s_wait_alu 0xfffe
	s_xor_b32 s4, exec_lo, s4
	s_cbranch_execz .LBB52_10
; %bb.7:
	v_sub_co_u32 v0, s5, v0, s6
	s_wait_alu 0xf1ff
	v_sub_co_ci_u32_e64 v1, null, 0, s7, s5
	s_lshl_b64 s[6:7], s[8:9], 2
	s_wait_kmcnt 0x0
	s_wait_alu 0xfffe
	s_add_nc_u64 s[6:7], s[0:1], s[6:7]
	v_lshlrev_b64_e32 v[0:1], 2, v[0:1]
	s_wait_alu 0xfffe
	s_delay_alu instid0(VALU_DEP_1) | instskip(NEXT) | instid1(VALU_DEP_1)
	v_add_co_u32 v2, vcc_lo, s6, v0
	v_add_co_ci_u32_e64 v3, null, s7, v1, vcc_lo
	s_and_b32 vcc_lo, exec_lo, s3
	s_wait_alu 0xfffe
	s_cbranch_vccz .LBB52_15
; %bb.8:
	global_load_b32 v0, v[2:3], off
	s_wait_loadcnt 0x0
	v_mul_lo_u32 v0, v0, s2
	global_store_b32 v[2:3], v0, off
                                        ; implicit-def: $vgpr0_vgpr1
	s_cbranch_execnz .LBB52_10
.LBB52_9:
	v_mov_b32_e32 v0, 0
	global_store_b32 v[2:3], v0, off
                                        ; implicit-def: $vgpr0_vgpr1
.LBB52_10:
	s_wait_alu 0xfffe
	s_and_not1_saveexec_b32 s4, s4
	s_cbranch_execz .LBB52_14
; %bb.11:
	v_lshlrev_b64_e32 v[0:1], 2, v[0:1]
	s_wait_kmcnt 0x0
	s_delay_alu instid0(VALU_DEP_1) | instskip(SKIP_1) | instid1(VALU_DEP_2)
	v_add_co_u32 v0, vcc_lo, s0, v0
	s_wait_alu 0xfffd
	v_add_co_ci_u32_e64 v1, null, s1, v1, vcc_lo
	s_and_b32 vcc_lo, exec_lo, s3
	s_wait_alu 0xfffe
	s_cbranch_vccz .LBB52_16
; %bb.12:
	global_load_b32 v2, v[0:1], off
	s_wait_loadcnt 0x0
	v_mul_lo_u32 v2, v2, s2
	global_store_b32 v[0:1], v2, off
	s_cbranch_execnz .LBB52_14
.LBB52_13:
	v_mov_b32_e32 v2, 0
	global_store_b32 v[0:1], v2, off
.LBB52_14:
	s_endpgm
.LBB52_15:
                                        ; implicit-def: $vgpr0_vgpr1
	s_branch .LBB52_9
.LBB52_16:
	s_branch .LBB52_13
	.section	.rodata,"a",@progbits
	.p2align	6, 0x0
	.amdhsa_kernel _ZN9rocsparseL22partial_scale_y_kernelIliiEEvT_S1_S1_NS_24const_host_device_scalarIT1_EEPT0_b
		.amdhsa_group_segment_fixed_size 0
		.amdhsa_private_segment_fixed_size 0
		.amdhsa_kernarg_size 44
		.amdhsa_user_sgpr_count 2
		.amdhsa_user_sgpr_dispatch_ptr 0
		.amdhsa_user_sgpr_queue_ptr 0
		.amdhsa_user_sgpr_kernarg_segment_ptr 1
		.amdhsa_user_sgpr_dispatch_id 0
		.amdhsa_user_sgpr_private_segment_size 0
		.amdhsa_wavefront_size32 1
		.amdhsa_uses_dynamic_stack 0
		.amdhsa_enable_private_segment 0
		.amdhsa_system_sgpr_workgroup_id_x 1
		.amdhsa_system_sgpr_workgroup_id_y 0
		.amdhsa_system_sgpr_workgroup_id_z 0
		.amdhsa_system_sgpr_workgroup_info 0
		.amdhsa_system_vgpr_workitem_id 0
		.amdhsa_next_free_vgpr 4
		.amdhsa_next_free_sgpr 12
		.amdhsa_reserve_vcc 1
		.amdhsa_float_round_mode_32 0
		.amdhsa_float_round_mode_16_64 0
		.amdhsa_float_denorm_mode_32 3
		.amdhsa_float_denorm_mode_16_64 3
		.amdhsa_fp16_overflow 0
		.amdhsa_workgroup_processor_mode 1
		.amdhsa_memory_ordered 1
		.amdhsa_forward_progress 1
		.amdhsa_inst_pref_size 4
		.amdhsa_round_robin_scheduling 0
		.amdhsa_exception_fp_ieee_invalid_op 0
		.amdhsa_exception_fp_denorm_src 0
		.amdhsa_exception_fp_ieee_div_zero 0
		.amdhsa_exception_fp_ieee_overflow 0
		.amdhsa_exception_fp_ieee_underflow 0
		.amdhsa_exception_fp_ieee_inexact 0
		.amdhsa_exception_int_div_zero 0
	.end_amdhsa_kernel
	.section	.text._ZN9rocsparseL22partial_scale_y_kernelIliiEEvT_S1_S1_NS_24const_host_device_scalarIT1_EEPT0_b,"axG",@progbits,_ZN9rocsparseL22partial_scale_y_kernelIliiEEvT_S1_S1_NS_24const_host_device_scalarIT1_EEPT0_b,comdat
.Lfunc_end52:
	.size	_ZN9rocsparseL22partial_scale_y_kernelIliiEEvT_S1_S1_NS_24const_host_device_scalarIT1_EEPT0_b, .Lfunc_end52-_ZN9rocsparseL22partial_scale_y_kernelIliiEEvT_S1_S1_NS_24const_host_device_scalarIT1_EEPT0_b
                                        ; -- End function
	.set _ZN9rocsparseL22partial_scale_y_kernelIliiEEvT_S1_S1_NS_24const_host_device_scalarIT1_EEPT0_b.num_vgpr, 4
	.set _ZN9rocsparseL22partial_scale_y_kernelIliiEEvT_S1_S1_NS_24const_host_device_scalarIT1_EEPT0_b.num_agpr, 0
	.set _ZN9rocsparseL22partial_scale_y_kernelIliiEEvT_S1_S1_NS_24const_host_device_scalarIT1_EEPT0_b.numbered_sgpr, 12
	.set _ZN9rocsparseL22partial_scale_y_kernelIliiEEvT_S1_S1_NS_24const_host_device_scalarIT1_EEPT0_b.num_named_barrier, 0
	.set _ZN9rocsparseL22partial_scale_y_kernelIliiEEvT_S1_S1_NS_24const_host_device_scalarIT1_EEPT0_b.private_seg_size, 0
	.set _ZN9rocsparseL22partial_scale_y_kernelIliiEEvT_S1_S1_NS_24const_host_device_scalarIT1_EEPT0_b.uses_vcc, 1
	.set _ZN9rocsparseL22partial_scale_y_kernelIliiEEvT_S1_S1_NS_24const_host_device_scalarIT1_EEPT0_b.uses_flat_scratch, 0
	.set _ZN9rocsparseL22partial_scale_y_kernelIliiEEvT_S1_S1_NS_24const_host_device_scalarIT1_EEPT0_b.has_dyn_sized_stack, 0
	.set _ZN9rocsparseL22partial_scale_y_kernelIliiEEvT_S1_S1_NS_24const_host_device_scalarIT1_EEPT0_b.has_recursion, 0
	.set _ZN9rocsparseL22partial_scale_y_kernelIliiEEvT_S1_S1_NS_24const_host_device_scalarIT1_EEPT0_b.has_indirect_call, 0
	.section	.AMDGPU.csdata,"",@progbits
; Kernel info:
; codeLenInByte = 412
; TotalNumSgprs: 14
; NumVgprs: 4
; ScratchSize: 0
; MemoryBound: 0
; FloatMode: 240
; IeeeMode: 1
; LDSByteSize: 0 bytes/workgroup (compile time only)
; SGPRBlocks: 0
; VGPRBlocks: 0
; NumSGPRsForWavesPerEU: 14
; NumVGPRsForWavesPerEU: 4
; Occupancy: 16
; WaveLimiterHint : 0
; COMPUTE_PGM_RSRC2:SCRATCH_EN: 0
; COMPUTE_PGM_RSRC2:USER_SGPR: 2
; COMPUTE_PGM_RSRC2:TRAP_HANDLER: 0
; COMPUTE_PGM_RSRC2:TGID_X_EN: 1
; COMPUTE_PGM_RSRC2:TGID_Y_EN: 0
; COMPUTE_PGM_RSRC2:TGID_Z_EN: 0
; COMPUTE_PGM_RSRC2:TIDIG_COMP_CNT: 0
	.section	.text._ZN9rocsparseL27csrmvn_symm_adaptive_kernelIllaaiiEEvbT_S1_PKS1_NS_24const_host_device_scalarIT4_EES3_PKT0_PKT1_PKT2_S6_PT3_21rocsparse_index_base_b,"axG",@progbits,_ZN9rocsparseL27csrmvn_symm_adaptive_kernelIllaaiiEEvbT_S1_PKS1_NS_24const_host_device_scalarIT4_EES3_PKT0_PKT1_PKT2_S6_PT3_21rocsparse_index_base_b,comdat
	.globl	_ZN9rocsparseL27csrmvn_symm_adaptive_kernelIllaaiiEEvbT_S1_PKS1_NS_24const_host_device_scalarIT4_EES3_PKT0_PKT1_PKT2_S6_PT3_21rocsparse_index_base_b ; -- Begin function _ZN9rocsparseL27csrmvn_symm_adaptive_kernelIllaaiiEEvbT_S1_PKS1_NS_24const_host_device_scalarIT4_EES3_PKT0_PKT1_PKT2_S6_PT3_21rocsparse_index_base_b
	.p2align	8
	.type	_ZN9rocsparseL27csrmvn_symm_adaptive_kernelIllaaiiEEvbT_S1_PKS1_NS_24const_host_device_scalarIT4_EES3_PKT0_PKT1_PKT2_S6_PT3_21rocsparse_index_base_b,@function
_ZN9rocsparseL27csrmvn_symm_adaptive_kernelIllaaiiEEvbT_S1_PKS1_NS_24const_host_device_scalarIT4_EES3_PKT0_PKT1_PKT2_S6_PT3_21rocsparse_index_base_b: ; @_ZN9rocsparseL27csrmvn_symm_adaptive_kernelIllaaiiEEvbT_S1_PKS1_NS_24const_host_device_scalarIT4_EES3_PKT0_PKT1_PKT2_S6_PT3_21rocsparse_index_base_b
; %bb.0:
	s_clause 0x1
	s_load_b64 s[24:25], s[0:1], 0x58
	s_load_b64 s[4:5], s[0:1], 0x20
	s_mov_b32 s7, -1
                                        ; implicit-def: $sgpr33
	s_wait_kmcnt 0x0
	s_bitcmp1_b32 s25, 0
	s_cselect_b32 s2, -1, 0
	s_delay_alu instid0(SALU_CYCLE_1) | instskip(NEXT) | instid1(SALU_CYCLE_1)
	s_xor_b32 s6, s2, -1
	s_and_b32 vcc_lo, exec_lo, s6
	s_cbranch_vccnz .LBB53_4
; %bb.1:
	s_load_b64 s[2:3], s[0:1], 0x48
	s_and_not1_b32 vcc_lo, exec_lo, s7
	s_cbranch_vccz .LBB53_5
.LBB53_2:
	s_and_b32 vcc_lo, exec_lo, s6
	s_cbranch_vccz .LBB53_6
.LBB53_3:
	s_wait_kmcnt 0x0
	s_load_b32 s3, s[2:3], 0x0
	s_cbranch_execz .LBB53_7
	s_branch .LBB53_8
.LBB53_4:
	s_load_b32 s33, s[4:5], 0x0
	s_load_b64 s[2:3], s[0:1], 0x48
	s_cbranch_execnz .LBB53_2
.LBB53_5:
	s_wait_kmcnt 0x0
	s_mov_b32 s33, s4
	s_and_b32 vcc_lo, exec_lo, s6
	s_cbranch_vccnz .LBB53_3
.LBB53_6:
                                        ; implicit-def: $sgpr3
.LBB53_7:
	s_wait_kmcnt 0x0
	s_mov_b32 s3, s2
.LBB53_8:
	s_wait_kmcnt 0x0
	s_cmp_lg_u32 s33, 0
	s_cselect_b32 s2, -1, 0
	s_cmp_lg_u32 s3, 1
	s_cselect_b32 s3, -1, 0
	s_delay_alu instid0(SALU_CYCLE_1) | instskip(NEXT) | instid1(SALU_CYCLE_1)
	s_or_b32 s2, s2, s3
	s_and_not1_b32 vcc_lo, exec_lo, s2
	s_cbranch_vccnz .LBB53_141
; %bb.9:
	s_load_b64 s[4:5], s[0:1], 0x18
	s_mov_b32 s2, ttmp9
	s_ashr_i32 s3, ttmp9, 31
	v_dual_mov_b32 v1, 0 :: v_dual_lshlrev_b32 v14, 2, v0
	s_lshl_b64 s[2:3], s[2:3], 3
	ds_store_2addr_stride64_b32 v14, v1, v1 offset1:4
	ds_store_2addr_stride64_b32 v14, v1, v1 offset0:8 offset1:12
	s_wait_dscnt 0x0
	s_barrier_signal -1
	s_barrier_wait -1
	global_inv scope:SCOPE_SE
	s_wait_kmcnt 0x0
	s_add_nc_u64 s[2:3], s[4:5], s[2:3]
	s_load_b128 s[16:19], s[2:3], 0x0
	s_clause 0x1
	s_load_b256 s[8:15], s[0:1], 0x28
	s_load_b64 s[20:21], s[0:1], 0x50
	s_wait_kmcnt 0x0
	s_sub_nc_u64 s[22:23], s[18:19], s[16:17]
	s_delay_alu instid0(SALU_CYCLE_1)
	v_cmp_gt_i64_e64 s2, s[22:23], 2
	s_and_b32 vcc_lo, exec_lo, s2
	s_mov_b32 s2, -1
	s_cbranch_vccnz .LBB53_40
; %bb.10:
	v_cmp_le_i64_e64 s2, s[18:19], s[16:17]
	v_sub_co_u32 v5, s3, v0, s24
	s_delay_alu instid0(VALU_DEP_1)
	v_sub_co_ci_u32_e64 v6, null, 0, 0, s3
	s_mov_b32 s25, 0
	s_and_b32 vcc_lo, exec_lo, s2
	s_cbranch_vccnz .LBB53_30
; %bb.11:
	v_cmp_gt_u32_e64 s2, 0x100, v0
	v_cmp_gt_u32_e64 s3, 64, v0
	;; [unrolled: 1-line block ×4, first 2 shown]
	v_cmp_eq_u32_e64 s6, 0, v0
	v_mov_b32_e32 v7, 0
	s_mov_b64 s[26:27], s[16:17]
	s_branch .LBB53_13
.LBB53_12:                              ;   in Loop: Header=BB53_13 Depth=1
	s_wait_alu 0xfffe
	s_or_b32 exec_lo, exec_lo, s7
	s_add_nc_u64 s[26:27], s[26:27], 1
	s_wait_alu 0xfffe
	v_cmp_ge_i64_e64 s7, s[26:27], s[18:19]
	s_and_b32 vcc_lo, exec_lo, s7
	s_wait_alu 0xfffe
	s_cbranch_vccnz .LBB53_30
.LBB53_13:                              ; =>This Loop Header: Depth=1
                                        ;     Child Loop BB53_15 Depth 2
	s_lshl_b64 s[28:29], s[26:27], 3
	v_mov_b32_e32 v8, 0
	s_wait_alu 0xfffe
	s_add_nc_u64 s[28:29], s[8:9], s[28:29]
	s_load_b128 s[28:31], s[28:29], 0x0
	s_wait_kmcnt 0x0
	v_add_co_u32 v1, vcc_lo, s28, v5
	s_wait_alu 0xfffd
	v_add_co_ci_u32_e64 v2, null, s29, v6, vcc_lo
	s_sub_nc_u64 s[28:29], s[30:31], s[24:25]
	s_mov_b32 s30, exec_lo
	s_wait_alu 0xfffe
	v_cmpx_gt_i64_e64 s[28:29], v[1:2]
	s_cbranch_execz .LBB53_17
; %bb.14:                               ;   in Loop: Header=BB53_13 Depth=1
	v_lshlrev_b64_e32 v[3:4], 3, v[1:2]
	v_mov_b32_e32 v8, 0
	s_mov_b32 s31, 0
	s_delay_alu instid0(VALU_DEP_2) | instskip(SKIP_1) | instid1(VALU_DEP_3)
	v_add_co_u32 v3, vcc_lo, s10, v3
	s_wait_alu 0xfffd
	v_add_co_ci_u32_e64 v4, null, s11, v4, vcc_lo
.LBB53_15:                              ;   Parent Loop BB53_13 Depth=1
                                        ; =>  This Inner Loop Header: Depth=2
	global_load_b64 v[9:10], v[3:4], off
	v_add_co_u32 v11, vcc_lo, s12, v1
	s_wait_alu 0xfffd
	v_add_co_ci_u32_e64 v12, null, s13, v2, vcc_lo
	s_wait_loadcnt 0x0
	v_sub_co_u32 v9, s7, v9, s24
	s_wait_alu 0xf1ff
	v_subrev_co_ci_u32_e64 v10, null, 0, v10, s7
	v_add_co_u32 v3, s7, 0x800, v3
	s_delay_alu instid0(VALU_DEP_3) | instskip(SKIP_1) | instid1(VALU_DEP_3)
	v_add_co_u32 v9, vcc_lo, s14, v9
	s_wait_alu 0xfffd
	v_add_co_ci_u32_e64 v10, null, s15, v10, vcc_lo
	v_add_co_u32 v1, vcc_lo, 0x100, v1
	global_load_i8 v11, v[11:12], off
	global_load_i8 v9, v[9:10], off
	s_wait_alu 0xfffd
	v_add_co_ci_u32_e64 v2, null, 0, v2, vcc_lo
	s_wait_alu 0xf1ff
	v_add_co_ci_u32_e64 v4, null, 0, v4, s7
	s_delay_alu instid0(VALU_DEP_2)
	v_cmp_le_i64_e32 vcc_lo, s[28:29], v[1:2]
	s_or_b32 s31, vcc_lo, s31
	s_wait_loadcnt 0x0
	v_mad_i32_i24 v8, v9, v11, v8
	s_and_not1_b32 exec_lo, exec_lo, s31
	s_cbranch_execnz .LBB53_15
; %bb.16:                               ;   in Loop: Header=BB53_13 Depth=1
	s_or_b32 exec_lo, exec_lo, s31
.LBB53_17:                              ;   in Loop: Header=BB53_13 Depth=1
	s_delay_alu instid0(SALU_CYCLE_1)
	s_or_b32 exec_lo, exec_lo, s30
	ds_store_b32 v14, v8
	s_wait_loadcnt_dscnt 0x0
	s_barrier_signal -1
	s_barrier_wait -1
	global_inv scope:SCOPE_SE
	s_and_saveexec_b32 s7, s2
	s_cbranch_execz .LBB53_19
; %bb.18:                               ;   in Loop: Header=BB53_13 Depth=1
	ds_load_2addr_stride64_b32 v[1:2], v14 offset1:4
	ds_load_2addr_stride64_b32 v[3:4], v14 offset0:8 offset1:12
	s_wait_dscnt 0x0
	v_add_nc_u32_e32 v2, v3, v2
	s_delay_alu instid0(VALU_DEP_1)
	v_add3_u32 v1, v2, v4, v1
	ds_store_b32 v14, v1
.LBB53_19:                              ;   in Loop: Header=BB53_13 Depth=1
	s_wait_alu 0xfffe
	s_or_b32 exec_lo, exec_lo, s7
	s_wait_loadcnt_dscnt 0x0
	s_barrier_signal -1
	s_barrier_wait -1
	global_inv scope:SCOPE_SE
	s_and_saveexec_b32 s7, s3
	s_cbranch_execz .LBB53_21
; %bb.20:                               ;   in Loop: Header=BB53_13 Depth=1
	ds_load_2addr_stride64_b32 v[1:2], v14 offset1:1
	ds_load_2addr_stride64_b32 v[3:4], v14 offset0:2 offset1:3
	s_wait_dscnt 0x0
	v_add_nc_u32_e32 v2, v3, v2
	s_delay_alu instid0(VALU_DEP_1)
	v_add3_u32 v1, v2, v4, v1
	ds_store_b32 v14, v1
.LBB53_21:                              ;   in Loop: Header=BB53_13 Depth=1
	s_wait_alu 0xfffe
	s_or_b32 exec_lo, exec_lo, s7
	s_wait_loadcnt_dscnt 0x0
	s_barrier_signal -1
	s_barrier_wait -1
	global_inv scope:SCOPE_SE
	s_and_saveexec_b32 s7, s4
	s_cbranch_execz .LBB53_23
; %bb.22:                               ;   in Loop: Header=BB53_13 Depth=1
	ds_load_2addr_b32 v[1:2], v14 offset1:16
	ds_load_2addr_b32 v[3:4], v14 offset0:32 offset1:48
	s_wait_dscnt 0x0
	v_add_nc_u32_e32 v2, v3, v2
	s_delay_alu instid0(VALU_DEP_1)
	v_add3_u32 v1, v2, v4, v1
	ds_store_b32 v14, v1
.LBB53_23:                              ;   in Loop: Header=BB53_13 Depth=1
	s_wait_alu 0xfffe
	s_or_b32 exec_lo, exec_lo, s7
	s_wait_loadcnt_dscnt 0x0
	s_barrier_signal -1
	s_barrier_wait -1
	global_inv scope:SCOPE_SE
	s_and_saveexec_b32 s7, s5
	s_cbranch_execz .LBB53_25
; %bb.24:                               ;   in Loop: Header=BB53_13 Depth=1
	ds_load_2addr_b32 v[1:2], v14 offset1:4
	ds_load_2addr_b32 v[3:4], v14 offset0:8 offset1:12
	s_wait_dscnt 0x0
	v_add_nc_u32_e32 v2, v3, v2
	s_delay_alu instid0(VALU_DEP_1)
	v_add3_u32 v1, v2, v4, v1
	ds_store_b32 v14, v1
.LBB53_25:                              ;   in Loop: Header=BB53_13 Depth=1
	s_wait_alu 0xfffe
	s_or_b32 exec_lo, exec_lo, s7
	s_wait_loadcnt_dscnt 0x0
	s_barrier_signal -1
	s_barrier_wait -1
	global_inv scope:SCOPE_SE
	s_and_saveexec_b32 s7, s6
	s_cbranch_execz .LBB53_27
; %bb.26:                               ;   in Loop: Header=BB53_13 Depth=1
	ds_load_2addr_b32 v[1:2], v7 offset0:1 offset1:2
	ds_load_b32 v3, v7 offset:12
	ds_load_b32 v4, v14
	s_wait_dscnt 0x2
	v_add_nc_u32_e32 v1, v2, v1
	s_wait_dscnt 0x0
	s_delay_alu instid0(VALU_DEP_1)
	v_add3_u32 v1, v1, v3, v4
	ds_store_b32 v14, v1
.LBB53_27:                              ;   in Loop: Header=BB53_13 Depth=1
	s_wait_alu 0xfffe
	s_or_b32 exec_lo, exec_lo, s7
	s_wait_loadcnt_dscnt 0x0
	s_barrier_signal -1
	s_barrier_wait -1
	global_inv scope:SCOPE_SE
	s_and_saveexec_b32 s7, s6
	s_cbranch_execz .LBB53_12
; %bb.28:                               ;   in Loop: Header=BB53_13 Depth=1
	s_mov_b32 s28, exec_lo
	s_wait_alu 0xfffe
	v_mbcnt_lo_u32_b32 v1, s28, 0
	s_delay_alu instid0(VALU_DEP_1)
	v_cmp_eq_u32_e32 vcc_lo, 0, v1
	s_and_b32 s29, exec_lo, vcc_lo
	s_wait_alu 0xfffe
	s_mov_b32 exec_lo, s29
	s_cbranch_execz .LBB53_12
; %bb.29:                               ;   in Loop: Header=BB53_13 Depth=1
	ds_load_b32 v1, v7
	s_bcnt1_i32_b32 s28, s28
	s_wait_dscnt 0x0
	v_mul_lo_u32 v1, v1, s33
	s_wait_alu 0xfffe
	s_delay_alu instid0(VALU_DEP_1)
	v_mul_lo_u32 v1, v1, s28
	s_lshl_b64 s[28:29], s[26:27], 2
	s_wait_alu 0xfffe
	s_add_nc_u64 s[28:29], s[20:21], s[28:29]
	global_atomic_add_u32 v7, v1, s[28:29] scope:SCOPE_DEV
	s_branch .LBB53_12
.LBB53_30:
	s_lshl_b64 s[2:3], s[16:17], 3
	s_lshl_b64 s[4:5], s[18:19], 3
	s_wait_alu 0xfffe
	s_add_nc_u64 s[2:3], s[8:9], s[2:3]
	s_add_nc_u64 s[4:5], s[8:9], s[4:5]
	s_clause 0x1
	s_load_b64 s[2:3], s[2:3], 0x0
	s_load_b64 s[4:5], s[4:5], 0x0
	s_wait_kmcnt 0x0
	v_add_co_u32 v1, vcc_lo, s2, v5
	s_wait_alu 0xfffd
	v_add_co_ci_u32_e64 v2, null, s3, v6, vcc_lo
	s_sub_nc_u64 s[4:5], s[4:5], s[24:25]
	s_mov_b32 s3, exec_lo
	v_cmpx_gt_i64_e64 s[4:5], v[1:2]
	s_cbranch_execz .LBB53_39
; %bb.31:
	s_add_nc_u64 s[6:7], s[18:19], -1
	s_add_nc_u64 s[26:27], s[18:19], -2
	s_wait_alu 0xfffe
	v_cmp_lt_i64_e64 s2, s[16:17], s[6:7]
	s_cmp_lg_u64 s[16:17], s[26:27]
	s_mov_b32 s26, 0
	s_cselect_b32 s25, -1, 0
	s_wait_alu 0xfffe
	s_and_b32 s25, s2, s25
	s_branch .LBB53_33
.LBB53_32:                              ;   in Loop: Header=BB53_33 Depth=1
	s_wait_alu 0xfffe
	s_or_b32 exec_lo, exec_lo, s2
	v_add_co_u32 v1, vcc_lo, 0x100, v1
	s_wait_alu 0xfffd
	v_add_co_ci_u32_e64 v2, null, 0, v2, vcc_lo
	s_delay_alu instid0(VALU_DEP_1)
	v_cmp_le_i64_e32 vcc_lo, s[4:5], v[1:2]
	s_or_b32 s26, vcc_lo, s26
	s_wait_alu 0xfffe
	s_and_not1_b32 exec_lo, exec_lo, s26
	s_cbranch_execz .LBB53_39
.LBB53_33:                              ; =>This Loop Header: Depth=1
                                        ;     Child Loop BB53_35 Depth 2
	v_dual_mov_b32 v3, s16 :: v_dual_mov_b32 v4, s17
	v_dual_mov_b32 v5, s6 :: v_dual_mov_b32 v6, s7
	s_wait_alu 0xfffe
	s_and_not1_b32 vcc_lo, exec_lo, s25
	s_wait_alu 0xfffe
	s_cbranch_vccnz .LBB53_37
; %bb.34:                               ;   in Loop: Header=BB53_33 Depth=1
	v_dual_mov_b32 v3, s16 :: v_dual_mov_b32 v4, s17
	v_dual_mov_b32 v5, s6 :: v_dual_mov_b32 v6, s7
	s_mov_b32 s27, 0
.LBB53_35:                              ;   Parent Loop BB53_33 Depth=1
                                        ; =>  This Inner Loop Header: Depth=2
	s_delay_alu instid0(VALU_DEP_1) | instskip(SKIP_1) | instid1(VALU_DEP_2)
	v_add_co_u32 v7, vcc_lo, v5, v3
	s_wait_alu 0xfffd
	v_add_co_ci_u32_e64 v8, null, v6, v4, vcc_lo
	s_delay_alu instid0(VALU_DEP_1) | instskip(NEXT) | instid1(VALU_DEP_1)
	v_lshrrev_b32_e32 v9, 31, v8
	v_add_co_u32 v7, vcc_lo, v7, v9
	s_wait_alu 0xfffd
	v_add_co_ci_u32_e64 v8, null, 0, v8, vcc_lo
	s_delay_alu instid0(VALU_DEP_1) | instskip(NEXT) | instid1(VALU_DEP_1)
	v_ashrrev_i64 v[7:8], 1, v[7:8]
	v_lshlrev_b64_e32 v[9:10], 3, v[7:8]
	s_delay_alu instid0(VALU_DEP_1) | instskip(SKIP_1) | instid1(VALU_DEP_2)
	v_add_co_u32 v9, vcc_lo, s8, v9
	s_wait_alu 0xfffd
	v_add_co_ci_u32_e64 v10, null, s9, v10, vcc_lo
	global_load_b64 v[9:10], v[9:10], off
	s_wait_loadcnt 0x0
	v_sub_co_u32 v9, vcc_lo, v9, s24
	s_wait_alu 0xfffd
	v_subrev_co_ci_u32_e64 v10, null, 0, v10, vcc_lo
	s_delay_alu instid0(VALU_DEP_1) | instskip(SKIP_3) | instid1(VALU_DEP_2)
	v_cmp_lt_i64_e32 vcc_lo, v[1:2], v[9:10]
	s_wait_alu 0xfffd
	v_dual_cndmask_b32 v6, v6, v8 :: v_dual_cndmask_b32 v5, v5, v7
	v_dual_cndmask_b32 v4, v8, v4 :: v_dual_cndmask_b32 v3, v7, v3
	v_add_co_u32 v7, vcc_lo, v5, -1
	s_wait_alu 0xfffd
	s_delay_alu instid0(VALU_DEP_3) | instskip(NEXT) | instid1(VALU_DEP_3)
	v_add_co_ci_u32_e64 v8, null, -1, v6, vcc_lo
	v_cmp_ge_i64_e32 vcc_lo, v[3:4], v[5:6]
	s_delay_alu instid0(VALU_DEP_2)
	v_cmp_eq_u64_e64 s2, v[3:4], v[7:8]
	s_or_b32 s2, vcc_lo, s2
	s_wait_alu 0xfffe
	s_and_b32 s2, exec_lo, s2
	s_wait_alu 0xfffe
	s_or_b32 s27, s2, s27
	s_wait_alu 0xfffe
	s_and_not1_b32 exec_lo, exec_lo, s27
	s_cbranch_execnz .LBB53_35
; %bb.36:                               ;   in Loop: Header=BB53_33 Depth=1
	s_or_b32 exec_lo, exec_lo, s27
.LBB53_37:                              ;   in Loop: Header=BB53_33 Depth=1
	v_lshlrev_b64_e32 v[7:8], 3, v[5:6]
	v_lshlrev_b64_e32 v[9:10], 3, v[1:2]
	s_mov_b32 s2, exec_lo
	s_delay_alu instid0(VALU_DEP_2) | instskip(SKIP_1) | instid1(VALU_DEP_3)
	v_add_co_u32 v7, vcc_lo, s8, v7
	s_wait_alu 0xfffd
	v_add_co_ci_u32_e64 v8, null, s9, v8, vcc_lo
	s_delay_alu instid0(VALU_DEP_3)
	v_add_co_u32 v9, vcc_lo, s10, v9
	s_wait_alu 0xfffd
	v_add_co_ci_u32_e64 v10, null, s11, v10, vcc_lo
	global_load_b64 v[7:8], v[7:8], off
	global_load_b64 v[9:10], v[9:10], off
	s_wait_loadcnt 0x1
	v_sub_co_u32 v7, vcc_lo, v7, s24
	s_wait_alu 0xfffd
	v_subrev_co_ci_u32_e64 v8, null, 0, v8, vcc_lo
	s_delay_alu instid0(VALU_DEP_1)
	v_cmp_lt_i64_e32 vcc_lo, v[1:2], v[7:8]
	s_wait_alu 0xfffd
	v_dual_cndmask_b32 v6, v6, v4 :: v_dual_cndmask_b32 v5, v5, v3
	s_wait_loadcnt 0x0
	v_sub_co_u32 v3, vcc_lo, v9, s24
	s_wait_alu 0xfffd
	v_subrev_co_ci_u32_e64 v4, null, 0, v10, vcc_lo
	s_delay_alu instid0(VALU_DEP_1)
	v_cmpx_ne_u64_e64 v[3:4], v[5:6]
	s_cbranch_execz .LBB53_32
; %bb.38:                               ;   in Loop: Header=BB53_33 Depth=1
	v_add_co_u32 v7, vcc_lo, s12, v1
	s_wait_alu 0xfffd
	v_add_co_ci_u32_e64 v8, null, s13, v2, vcc_lo
	v_add_co_u32 v5, vcc_lo, s14, v5
	s_wait_alu 0xfffd
	v_add_co_ci_u32_e64 v6, null, s15, v6, vcc_lo
	global_load_i8 v7, v[7:8], off
	v_lshlrev_b64_e32 v[3:4], 2, v[3:4]
	global_load_i8 v5, v[5:6], off
	v_add_co_u32 v3, vcc_lo, s20, v3
	s_wait_alu 0xfffd
	v_add_co_ci_u32_e64 v4, null, s21, v4, vcc_lo
	s_wait_loadcnt 0x1
	v_mul_lo_u32 v6, s33, v7
	s_wait_loadcnt 0x0
	s_delay_alu instid0(VALU_DEP_1)
	v_mul_lo_u32 v5, v6, v5
	global_atomic_add_u32 v[3:4], v5, off scope:SCOPE_DEV
	s_branch .LBB53_32
.LBB53_39:
	s_wait_alu 0xfffe
	s_or_b32 exec_lo, exec_lo, s3
	s_mov_b32 s2, 0
.LBB53_40:
	s_wait_alu 0xfffe
	s_and_b32 vcc_lo, exec_lo, s2
	s_wait_alu 0xfffe
	s_cbranch_vccz .LBB53_141
; %bb.41:
	s_load_b32 s2, s[0:1], 0x6c
	s_mov_b32 s25, 0
	s_mov_b64 s[28:29], 0
	s_wait_alu 0xfffe
	s_mov_b32 s7, s25
	s_wait_kmcnt 0x0
	s_and_b32 s6, s2, 0xffff
	s_wait_alu 0xfffe
	v_cmp_lt_u64_e64 s2, s[6:7], s[22:23]
	s_and_b32 vcc_lo, exec_lo, s2
	s_wait_alu 0xfffe
	s_cbranch_vccnz .LBB53_43
; %bb.42:
	v_cvt_f32_u32_e32 v1, s22
	s_sub_co_i32 s3, 0, s22
	s_delay_alu instid0(VALU_DEP_1) | instskip(NEXT) | instid1(TRANS32_DEP_1)
	v_rcp_iflag_f32_e32 v1, v1
	v_mul_f32_e32 v1, 0x4f7ffffe, v1
	s_delay_alu instid0(VALU_DEP_1) | instskip(NEXT) | instid1(VALU_DEP_1)
	v_cvt_u32_f32_e32 v1, v1
	v_readfirstlane_b32 s2, v1
	s_wait_alu 0xfffe
	s_mul_i32 s3, s3, s2
	s_wait_alu 0xfffe
	s_mul_hi_u32 s3, s2, s3
	s_wait_alu 0xfffe
	s_add_co_i32 s2, s2, s3
	s_wait_alu 0xfffe
	s_mul_hi_u32 s2, s6, s2
	s_wait_alu 0xfffe
	s_mul_i32 s3, s2, s22
	s_add_co_i32 s4, s2, 1
	s_wait_alu 0xfffe
	s_sub_co_i32 s3, s6, s3
	s_wait_alu 0xfffe
	s_sub_co_i32 s5, s3, s22
	s_cmp_ge_u32 s3, s22
	s_cselect_b32 s2, s4, s2
	s_wait_alu 0xfffe
	s_cselect_b32 s3, s5, s3
	s_add_co_i32 s4, s2, 1
	s_wait_alu 0xfffe
	s_cmp_ge_u32 s3, s22
	s_cselect_b32 s28, s4, s2
.LBB53_43:
	s_lshl_b64 s[2:3], s[16:17], 3
	v_sub_co_u32 v1, s7, v0, s24
	s_wait_alu 0xfffe
	s_add_nc_u64 s[26:27], s[8:9], s[2:3]
	s_load_b64 s[4:5], s[26:27], 0x0
	s_load_b128 s[0:3], s[0:1], 0x8
	v_sub_co_ci_u32_e64 v2, null, 0, 0, s7
	s_wait_kmcnt 0x0
	v_add_co_u32 v4, vcc_lo, s4, v1
	s_wait_alu 0xfffd
	s_delay_alu instid0(VALU_DEP_2) | instskip(SKIP_1) | instid1(VALU_DEP_3)
	v_add_co_ci_u32_e64 v5, null, s5, v2, vcc_lo
	v_mov_b32_e32 v1, 0
	v_add_co_u32 v2, vcc_lo, 0x300, v4
	s_wait_alu 0xfffd
	s_delay_alu instid0(VALU_DEP_3) | instskip(NEXT) | instid1(VALU_DEP_1)
	v_add_co_ci_u32_e64 v3, null, 0, v5, vcc_lo
	v_cmp_le_i64_e32 vcc_lo, s[0:1], v[2:3]
	s_and_saveexec_b32 s0, vcc_lo
	s_wait_alu 0xfffe
	s_xor_b32 s1, exec_lo, s0
	s_cbranch_execz .LBB53_48
; %bb.44:
	s_lshl_b64 s[30:31], s[18:19], 3
	s_mov_b32 s7, exec_lo
	s_add_nc_u64 s[30:31], s[8:9], s[30:31]
	s_load_b64 s[30:31], s[30:31], 0x0
	s_wait_kmcnt 0x0
	s_sub_nc_u64 s[30:31], s[30:31], s[4:5]
	s_delay_alu instid0(SALU_CYCLE_1)
	v_cmpx_gt_i64_e64 s[30:31], v[0:1]
	s_cbranch_execz .LBB53_47
; %bb.45:
	v_dual_mov_b32 v8, v14 :: v_dual_mov_b32 v7, v1
	v_mov_b32_e32 v6, v0
	s_sub_nc_u64 s[34:35], s[4:5], s[24:25]
	s_mov_b32 s29, 0
	s_add_nc_u64 s[34:35], s[12:13], s[34:35]
.LBB53_46:                              ; =>This Inner Loop Header: Depth=1
	s_delay_alu instid0(VALU_DEP_1) | instid1(SALU_CYCLE_1)
	v_add_co_u32 v9, s0, s34, v6
	s_wait_alu 0xf1ff
	v_add_co_ci_u32_e64 v10, null, s35, v7, s0
	v_add_co_u32 v6, s0, 0x100, v6
	s_wait_alu 0xf1ff
	v_add_co_ci_u32_e64 v7, null, 0, v7, s0
	global_load_i8 v9, v[9:10], off
	v_cmp_le_i64_e64 s0, s[30:31], v[6:7]
	s_wait_alu 0xfffe
	s_or_b32 s29, s0, s29
	s_wait_loadcnt 0x0
	v_mul_lo_u32 v9, s33, v9
	ds_store_b32 v8, v9
	v_add_nc_u32_e32 v8, 0x400, v8
	s_wait_alu 0xfffe
	s_and_not1_b32 exec_lo, exec_lo, s29
	s_cbranch_execnz .LBB53_46
.LBB53_47:
	s_or_b32 exec_lo, exec_lo, s7
.LBB53_48:
	s_wait_alu 0xfffe
	s_and_not1_saveexec_b32 s1, s1
	s_cbranch_execz .LBB53_50
; %bb.49:
	v_add_co_u32 v6, s0, s12, v4
	s_wait_alu 0xf1ff
	v_add_co_ci_u32_e64 v7, null, s13, v5, s0
	s_clause 0x3
	global_load_i8 v8, v[6:7], off
	global_load_i8 v9, v[6:7], off offset:256
	global_load_i8 v10, v[6:7], off offset:512
	;; [unrolled: 1-line block ×3, first 2 shown]
	s_wait_loadcnt 0x3
	v_mul_lo_u32 v7, s33, v8
	s_wait_loadcnt 0x2
	v_mul_lo_u32 v8, s33, v9
	;; [unrolled: 2-line block ×4, first 2 shown]
	ds_store_2addr_stride64_b32 v14, v7, v8 offset1:4
	ds_store_2addr_stride64_b32 v14, v9, v6 offset0:8 offset1:12
.LBB53_50:
	s_wait_alu 0xfffe
	s_or_b32 exec_lo, exec_lo, s1
	v_lshl_add_u32 v15, v0, 2, 0x1000
	s_mov_b32 s1, exec_lo
	v_cmpx_gt_i64_e64 s[2:3], v[0:1]
	s_cbranch_execz .LBB53_53
; %bb.51:
	v_mov_b32_e32 v7, v1
	v_lshl_add_u32 v8, v0, 2, 0x1000
	v_dual_mov_b32 v9, 0 :: v_dual_mov_b32 v6, v0
	s_mov_b32 s7, 0
.LBB53_52:                              ; =>This Inner Loop Header: Depth=1
	s_delay_alu instid0(VALU_DEP_1)
	v_add_co_u32 v6, s0, 0x100, v6
	s_wait_alu 0xf1ff
	v_add_co_ci_u32_e64 v7, null, 0, v7, s0
	ds_store_b32 v8, v9
	v_add_nc_u32_e32 v8, 0x400, v8
	v_cmp_le_i64_e64 s0, s[2:3], v[6:7]
	s_wait_alu 0xfffe
	s_or_b32 s7, s0, s7
	s_wait_alu 0xfffe
	s_and_not1_b32 exec_lo, exec_lo, s7
	s_cbranch_execnz .LBB53_52
.LBB53_53:
	s_wait_alu 0xfffe
	s_or_b32 exec_lo, exec_lo, s1
	v_cmp_ge_i64_e64 s7, s[18:19], s[2:3]
	s_sub_nc_u64 s[0:1], s[18:19], s[2:3]
	s_wait_storecnt 0x0
	s_wait_loadcnt_dscnt 0x0
	s_barrier_signal -1
	s_barrier_wait -1
	global_inv scope:SCOPE_SE
	s_and_b32 s7, s7, exec_lo
	s_wait_alu 0xfffe
	s_cselect_b32 s13, s1, 0
	s_cselect_b32 s12, s0, 0
	s_and_saveexec_b32 s0, vcc_lo
	s_wait_alu 0xfffe
	s_xor_b32 s7, exec_lo, s0
	s_cbranch_execz .LBB53_70
; %bb.54:
	s_lshl_b64 s[0:1], s[18:19], 3
	s_mov_b32 s29, exec_lo
	s_wait_alu 0xfffe
	s_add_nc_u64 s[0:1], s[8:9], s[0:1]
	s_load_b64 s[0:1], s[0:1], 0x0
	s_wait_kmcnt 0x0
	s_sub_nc_u64 s[30:31], s[0:1], s[4:5]
	s_wait_alu 0xfffe
	v_cmpx_gt_i64_e64 s[30:31], v[0:1]
	s_cbranch_execz .LBB53_69
; %bb.55:
	s_add_nc_u64 s[34:35], s[18:19], -2
	s_sub_nc_u64 s[36:37], s[0:1], s[24:25]
	s_wait_alu 0xfffe
	s_cmp_lg_u64 s[16:17], s[34:35]
	s_add_nc_u64 s[34:35], s[18:19], -1
	s_cselect_b32 s33, -1, 0
	s_mov_b64 s[38:39], 0
	s_mov_b32 s1, 0
	s_branch .LBB53_58
.LBB53_56:                              ;   in Loop: Header=BB53_58 Depth=1
	s_wait_alu 0xfffe
	s_or_b32 exec_lo, exec_lo, s0
.LBB53_57:                              ;   in Loop: Header=BB53_58 Depth=1
	s_delay_alu instid0(SALU_CYCLE_1)
	s_or_b32 exec_lo, exec_lo, s40
	v_add_co_u32 v2, vcc_lo, s14, v2
	s_wait_alu 0xfffd
	v_add_co_ci_u32_e64 v3, null, s15, v3, vcc_lo
	s_add_nc_u64 s[38:39], s[38:39], 0x100
	global_load_i8 v7, v[2:3], off
	s_wait_alu 0xfffe
	v_add_co_u32 v2, s0, s38, v0
	s_wait_alu 0xf1ff
	v_add_co_ci_u32_e64 v3, null, s39, 0, s0
	s_delay_alu instid0(VALU_DEP_1)
	v_cmp_le_i64_e32 vcc_lo, s[30:31], v[2:3]
	v_lshlrev_b32_e32 v2, 2, v10
	s_or_b32 s1, vcc_lo, s1
	s_wait_loadcnt_dscnt 0x0
	v_mul_lo_u32 v6, v6, v7
	ds_store_b32 v2, v6
	s_wait_alu 0xfffe
	s_and_not1_b32 exec_lo, exec_lo, s1
	s_cbranch_execz .LBB53_69
.LBB53_58:                              ; =>This Loop Header: Depth=1
                                        ;     Child Loop BB53_60 Depth 2
	v_add_co_u32 v6, vcc_lo, s38, v4
	s_wait_alu 0xfffd
	v_add_co_ci_u32_e64 v7, null, s39, v5, vcc_lo
	v_dual_mov_b32 v8, s16 :: v_dual_mov_b32 v9, s17
	s_wait_alu 0xfffe
	v_dual_mov_b32 v10, s34 :: v_dual_mov_b32 v11, s35
	s_and_not1_b32 vcc_lo, exec_lo, s33
	s_wait_alu 0xfffe
	s_cbranch_vccnz .LBB53_62
; %bb.59:                               ;   in Loop: Header=BB53_58 Depth=1
	v_dual_mov_b32 v8, s16 :: v_dual_mov_b32 v9, s17
	v_dual_mov_b32 v10, s34 :: v_dual_mov_b32 v11, s35
	s_mov_b32 s40, 0
.LBB53_60:                              ;   Parent Loop BB53_58 Depth=1
                                        ; =>  This Inner Loop Header: Depth=2
	s_delay_alu instid0(VALU_DEP_1) | instskip(SKIP_1) | instid1(VALU_DEP_2)
	v_add_co_u32 v2, vcc_lo, v10, v8
	s_wait_alu 0xfffd
	v_add_co_ci_u32_e64 v3, null, v11, v9, vcc_lo
	s_delay_alu instid0(VALU_DEP_1) | instskip(NEXT) | instid1(VALU_DEP_1)
	v_lshrrev_b32_e32 v12, 31, v3
	v_add_co_u32 v2, vcc_lo, v2, v12
	s_wait_alu 0xfffd
	v_add_co_ci_u32_e64 v3, null, 0, v3, vcc_lo
	s_delay_alu instid0(VALU_DEP_1) | instskip(NEXT) | instid1(VALU_DEP_1)
	v_ashrrev_i64 v[2:3], 1, v[2:3]
	v_lshlrev_b64_e32 v[12:13], 3, v[2:3]
	s_delay_alu instid0(VALU_DEP_1) | instskip(SKIP_1) | instid1(VALU_DEP_2)
	v_add_co_u32 v12, vcc_lo, s8, v12
	s_wait_alu 0xfffd
	v_add_co_ci_u32_e64 v13, null, s9, v13, vcc_lo
	global_load_b64 v[12:13], v[12:13], off
	s_wait_loadcnt 0x0
	v_sub_co_u32 v12, vcc_lo, v12, s24
	s_wait_alu 0xfffd
	v_subrev_co_ci_u32_e64 v13, null, 0, v13, vcc_lo
	s_delay_alu instid0(VALU_DEP_1) | instskip(SKIP_3) | instid1(VALU_DEP_2)
	v_cmp_lt_i64_e32 vcc_lo, v[6:7], v[12:13]
	s_wait_alu 0xfffd
	v_dual_cndmask_b32 v11, v11, v3 :: v_dual_cndmask_b32 v10, v10, v2
	v_dual_cndmask_b32 v9, v3, v9 :: v_dual_cndmask_b32 v8, v2, v8
	v_add_co_u32 v2, vcc_lo, v10, -1
	s_wait_alu 0xfffd
	s_delay_alu instid0(VALU_DEP_3) | instskip(NEXT) | instid1(VALU_DEP_3)
	v_add_co_ci_u32_e64 v3, null, -1, v11, vcc_lo
	v_cmp_ge_i64_e32 vcc_lo, v[8:9], v[10:11]
	s_delay_alu instid0(VALU_DEP_2)
	v_cmp_eq_u64_e64 s0, v[8:9], v[2:3]
	s_or_b32 s0, vcc_lo, s0
	s_wait_alu 0xfffe
	s_and_b32 s0, exec_lo, s0
	s_wait_alu 0xfffe
	s_or_b32 s40, s0, s40
	s_delay_alu instid0(SALU_CYCLE_1)
	s_and_not1_b32 exec_lo, exec_lo, s40
	s_cbranch_execnz .LBB53_60
; %bb.61:                               ;   in Loop: Header=BB53_58 Depth=1
	s_or_b32 exec_lo, exec_lo, s40
.LBB53_62:                              ;   in Loop: Header=BB53_58 Depth=1
	s_delay_alu instid0(VALU_DEP_1) | instskip(SKIP_1) | instid1(VALU_DEP_2)
	v_lshlrev_b64_e32 v[2:3], 3, v[10:11]
	v_lshlrev_b64_e32 v[12:13], 3, v[6:7]
	v_add_co_u32 v2, vcc_lo, s8, v2
	s_wait_alu 0xfffd
	s_delay_alu instid0(VALU_DEP_3) | instskip(NEXT) | instid1(VALU_DEP_3)
	v_add_co_ci_u32_e64 v3, null, s9, v3, vcc_lo
	v_add_co_u32 v12, vcc_lo, s10, v12
	s_wait_alu 0xfffd
	v_add_co_ci_u32_e64 v13, null, s11, v13, vcc_lo
	global_load_b64 v[2:3], v[2:3], off
	global_load_b64 v[12:13], v[12:13], off
	s_wait_loadcnt 0x1
	v_sub_co_u32 v2, vcc_lo, v2, s24
	s_wait_alu 0xfffd
	v_subrev_co_ci_u32_e64 v3, null, 0, v3, vcc_lo
	s_delay_alu instid0(VALU_DEP_1)
	v_cmp_lt_i64_e32 vcc_lo, v[6:7], v[2:3]
	s_wait_loadcnt 0x0
	v_sub_co_u32 v2, s0, v12, s24
	s_wait_alu 0xf1ff
	v_subrev_co_ci_u32_e64 v3, null, 0, v13, s0
	v_cmp_le_i64_e64 s0, s[36:37], v[6:7]
	s_wait_alu 0xfffd
	v_dual_cndmask_b32 v9, v11, v9 :: v_dual_cndmask_b32 v8, v10, v8
	v_add_co_u32 v10, null, s38, v0
                                        ; implicit-def: $vgpr6
	s_delay_alu instid0(VALU_DEP_2) | instskip(NEXT) | instid1(VALU_DEP_2)
	v_cmp_eq_u64_e32 vcc_lo, v[2:3], v[8:9]
	v_lshlrev_b32_e32 v7, 2, v10
	s_or_b32 s0, vcc_lo, s0
	s_wait_alu 0xfffe
	s_and_saveexec_b32 s40, s0
	s_delay_alu instid0(SALU_CYCLE_1)
	s_xor_b32 s0, exec_lo, s40
; %bb.63:                               ;   in Loop: Header=BB53_58 Depth=1
	ds_load_b32 v6, v7
                                        ; implicit-def: $vgpr7
                                        ; implicit-def: $vgpr8_vgpr9
; %bb.64:                               ;   in Loop: Header=BB53_58 Depth=1
	s_wait_alu 0xfffe
	s_and_not1_saveexec_b32 s40, s0
	s_cbranch_execz .LBB53_57
; %bb.65:                               ;   in Loop: Header=BB53_58 Depth=1
	v_cmp_gt_i64_e32 vcc_lo, s[12:13], v[2:3]
	v_cmp_le_i64_e64 s0, s[18:19], v[2:3]
                                        ; implicit-def: $vgpr6
	s_or_b32 s0, vcc_lo, s0
	s_wait_alu 0xfffe
	s_and_saveexec_b32 s41, s0
	s_delay_alu instid0(SALU_CYCLE_1)
	s_xor_b32 s0, exec_lo, s41
	s_cbranch_execz .LBB53_67
; %bb.66:                               ;   in Loop: Header=BB53_58 Depth=1
	v_add_co_u32 v8, vcc_lo, s14, v8
	s_wait_alu 0xfffd
	v_add_co_ci_u32_e64 v9, null, s15, v9, vcc_lo
	s_wait_dscnt 0x0
	ds_load_b32 v6, v7
	global_load_i8 v9, v[8:9], off
	v_lshlrev_b64_e32 v[7:8], 2, v[2:3]
	s_delay_alu instid0(VALU_DEP_1) | instskip(SKIP_1) | instid1(VALU_DEP_2)
	v_add_co_u32 v7, vcc_lo, s20, v7
	s_wait_alu 0xfffd
	v_add_co_ci_u32_e64 v8, null, s21, v8, vcc_lo
	s_wait_loadcnt_dscnt 0x0
	v_mul_lo_u32 v9, v6, v9
	global_atomic_add_u32 v[7:8], v9, off scope:SCOPE_DEV
                                        ; implicit-def: $vgpr7
                                        ; implicit-def: $vgpr8_vgpr9
.LBB53_67:                              ;   in Loop: Header=BB53_58 Depth=1
	s_wait_alu 0xfffe
	s_and_not1_saveexec_b32 s0, s0
	s_cbranch_execz .LBB53_56
; %bb.68:                               ;   in Loop: Header=BB53_58 Depth=1
	v_add_co_u32 v8, vcc_lo, s14, v8
	s_wait_alu 0xfffd
	v_add_co_ci_u32_e64 v9, null, s15, v9, vcc_lo
	s_wait_dscnt 0x0
	ds_load_b32 v6, v7
	v_subrev_nc_u32_e32 v7, s12, v2
	global_load_i8 v8, v[8:9], off
	v_lshl_add_u32 v7, v7, 2, 0x1000
	s_wait_loadcnt_dscnt 0x0
	v_mul_lo_u32 v8, v6, v8
	ds_add_u32 v7, v8
	s_branch .LBB53_56
.LBB53_69:
	s_or_b32 exec_lo, exec_lo, s29
                                        ; implicit-def: $vgpr2_vgpr3
                                        ; implicit-def: $vgpr4
.LBB53_70:
	s_wait_alu 0xfffe
	s_and_not1_saveexec_b32 s1, s7
	s_cbranch_execz .LBB53_112
; %bb.71:
	s_add_nc_u64 s[30:31], s[18:19], -1
	s_add_nc_u64 s[34:35], s[18:19], -2
	v_dual_mov_b32 v8, s16 :: v_dual_mov_b32 v9, s17
	s_wait_alu 0xfffe
	v_dual_mov_b32 v10, s30 :: v_dual_mov_b32 v11, s31
	s_cmp_lg_u64 s[16:17], s[34:35]
	s_cselect_b32 s7, -1, 0
	s_cmp_eq_u64 s[16:17], s[34:35]
	s_cbranch_scc1 .LBB53_75
; %bb.72:
	v_dual_mov_b32 v8, s16 :: v_dual_mov_b32 v9, s17
	v_dual_mov_b32 v10, s30 :: v_dual_mov_b32 v11, s31
	s_mov_b32 s29, 0
.LBB53_73:                              ; =>This Inner Loop Header: Depth=1
	s_delay_alu instid0(VALU_DEP_1) | instskip(SKIP_1) | instid1(VALU_DEP_2)
	v_add_co_u32 v6, vcc_lo, v10, v8
	s_wait_alu 0xfffd
	v_add_co_ci_u32_e64 v7, null, v11, v9, vcc_lo
	s_delay_alu instid0(VALU_DEP_1) | instskip(NEXT) | instid1(VALU_DEP_1)
	v_lshrrev_b32_e32 v12, 31, v7
	v_add_co_u32 v6, vcc_lo, v6, v12
	s_wait_alu 0xfffd
	v_add_co_ci_u32_e64 v7, null, 0, v7, vcc_lo
	s_delay_alu instid0(VALU_DEP_1) | instskip(NEXT) | instid1(VALU_DEP_1)
	v_ashrrev_i64 v[6:7], 1, v[6:7]
	v_lshlrev_b64_e32 v[12:13], 3, v[6:7]
	s_delay_alu instid0(VALU_DEP_1) | instskip(SKIP_1) | instid1(VALU_DEP_2)
	v_add_co_u32 v12, vcc_lo, s8, v12
	s_wait_alu 0xfffd
	v_add_co_ci_u32_e64 v13, null, s9, v13, vcc_lo
	global_load_b64 v[12:13], v[12:13], off
	s_wait_loadcnt 0x0
	v_sub_co_u32 v12, vcc_lo, v12, s24
	s_wait_alu 0xfffd
	v_subrev_co_ci_u32_e64 v13, null, 0, v13, vcc_lo
	s_delay_alu instid0(VALU_DEP_1) | instskip(SKIP_3) | instid1(VALU_DEP_2)
	v_cmp_lt_i64_e32 vcc_lo, v[4:5], v[12:13]
	s_wait_alu 0xfffd
	v_dual_cndmask_b32 v11, v11, v7 :: v_dual_cndmask_b32 v10, v10, v6
	v_dual_cndmask_b32 v9, v7, v9 :: v_dual_cndmask_b32 v8, v6, v8
	v_add_co_u32 v6, vcc_lo, v10, -1
	s_wait_alu 0xfffd
	s_delay_alu instid0(VALU_DEP_3) | instskip(NEXT) | instid1(VALU_DEP_3)
	v_add_co_ci_u32_e64 v7, null, -1, v11, vcc_lo
	v_cmp_ge_i64_e32 vcc_lo, v[8:9], v[10:11]
	s_delay_alu instid0(VALU_DEP_2)
	v_cmp_eq_u64_e64 s0, v[8:9], v[6:7]
	s_or_b32 s0, vcc_lo, s0
	s_wait_alu 0xfffe
	s_and_b32 s0, exec_lo, s0
	s_wait_alu 0xfffe
	s_or_b32 s29, s0, s29
	s_wait_alu 0xfffe
	s_and_not1_b32 exec_lo, exec_lo, s29
	s_cbranch_execnz .LBB53_73
; %bb.74:
	s_or_b32 exec_lo, exec_lo, s29
.LBB53_75:
	v_lshlrev_b64_e32 v[6:7], 3, v[10:11]
	s_mov_b32 s29, exec_lo
	s_delay_alu instid0(VALU_DEP_1) | instskip(SKIP_1) | instid1(VALU_DEP_2)
	v_add_co_u32 v6, vcc_lo, s8, v6
	s_wait_alu 0xfffd
	v_add_co_ci_u32_e64 v7, null, s9, v7, vcc_lo
	global_load_b64 v[12:13], v[6:7], off
	v_lshlrev_b64_e32 v[6:7], 3, v[4:5]
	s_delay_alu instid0(VALU_DEP_1) | instskip(SKIP_1) | instid1(VALU_DEP_2)
	v_add_co_u32 v6, vcc_lo, s10, v6
	s_wait_alu 0xfffd
	v_add_co_ci_u32_e64 v7, null, s11, v7, vcc_lo
	s_lshl_b64 s[10:11], s[18:19], 3
	s_wait_alu 0xfffe
	s_add_nc_u64 s[10:11], s[8:9], s[10:11]
	global_load_b64 v[16:17], v[6:7], off
	s_wait_loadcnt 0x1
	v_sub_co_u32 v12, vcc_lo, v12, s24
	s_wait_alu 0xfffd
	v_subrev_co_ci_u32_e64 v13, null, 0, v13, vcc_lo
	s_delay_alu instid0(VALU_DEP_1)
	v_cmp_lt_i64_e32 vcc_lo, v[4:5], v[12:13]
	s_wait_alu 0xfffd
	v_dual_cndmask_b32 v11, v11, v9 :: v_dual_cndmask_b32 v10, v10, v8
	s_wait_loadcnt 0x0
	v_sub_co_u32 v8, vcc_lo, v16, s24
	s_wait_alu 0xfffd
	v_subrev_co_ci_u32_e64 v9, null, 0, v17, vcc_lo
	s_delay_alu instid0(VALU_DEP_1)
	v_cmpx_ne_u64_e64 v[8:9], v[10:11]
	s_cbranch_execz .LBB53_81
; %bb.76:
	s_load_b64 s[34:35], s[10:11], 0x0
	s_wait_kmcnt 0x0
	s_sub_nc_u64 s[34:35], s[34:35], s[24:25]
	s_wait_alu 0xfffe
	v_cmp_gt_i64_e32 vcc_lo, s[34:35], v[4:5]
	s_and_b32 exec_lo, exec_lo, vcc_lo
	s_cbranch_execz .LBB53_81
; %bb.77:
	v_cmp_gt_i64_e32 vcc_lo, s[12:13], v[8:9]
	v_cmp_le_i64_e64 s0, s[18:19], v[8:9]
	s_or_b32 s0, vcc_lo, s0
	s_wait_alu 0xfffe
	s_and_saveexec_b32 s33, s0
	s_wait_alu 0xfffe
	s_xor_b32 s0, exec_lo, s33
	s_cbranch_execz .LBB53_79
; %bb.78:
	v_add_co_u32 v10, vcc_lo, s14, v10
	s_wait_alu 0xfffd
	v_add_co_ci_u32_e64 v11, null, s15, v11, vcc_lo
	ds_load_b32 v13, v14
	global_load_i8 v12, v[10:11], off
	v_lshlrev_b64_e32 v[10:11], 2, v[8:9]
	s_delay_alu instid0(VALU_DEP_1) | instskip(SKIP_1) | instid1(VALU_DEP_2)
	v_add_co_u32 v10, vcc_lo, s20, v10
	s_wait_alu 0xfffd
	v_add_co_ci_u32_e64 v11, null, s21, v11, vcc_lo
	s_wait_loadcnt_dscnt 0x0
	v_mul_lo_u32 v12, v13, v12
	global_atomic_add_u32 v[10:11], v12, off scope:SCOPE_DEV
                                        ; implicit-def: $vgpr10_vgpr11
.LBB53_79:
	s_wait_alu 0xfffe
	s_and_not1_saveexec_b32 s0, s0
	s_cbranch_execz .LBB53_81
; %bb.80:
	v_add_co_u32 v10, vcc_lo, s14, v10
	s_wait_alu 0xfffd
	v_add_co_ci_u32_e64 v11, null, s15, v11, vcc_lo
	v_subrev_nc_u32_e32 v12, s12, v8
	global_load_i8 v10, v[10:11], off
	ds_load_b32 v11, v14
	s_wait_loadcnt_dscnt 0x0
	v_mul_lo_u32 v10, v11, v10
	v_lshl_add_u32 v11, v12, 2, 0x1000
	ds_add_u32 v11, v10
.LBB53_81:
	s_or_b32 exec_lo, exec_lo, s29
	v_add_co_u32 v8, vcc_lo, s14, v8
	s_wait_alu 0xfffd
	v_add_co_ci_u32_e64 v9, null, s15, v9, vcc_lo
	v_cndmask_b32_e64 v16, 0, 1, s7
	v_dual_mov_b32 v10, s16 :: v_dual_mov_b32 v11, s17
	global_load_i8 v8, v[8:9], off
	ds_load_b32 v9, v14
	v_dual_mov_b32 v12, s30 :: v_dual_mov_b32 v13, s31
	s_wait_loadcnt_dscnt 0x0
	v_mul_lo_u32 v17, v9, v8
	v_add_co_u32 v8, vcc_lo, 0x100, v4
	s_wait_alu 0xfffd
	v_add_co_ci_u32_e64 v9, null, 0, v5, vcc_lo
	s_and_not1_b32 vcc_lo, exec_lo, s7
	ds_store_b32 v14, v17
	s_wait_alu 0xfffe
	s_cbranch_vccnz .LBB53_85
; %bb.82:
	v_dual_mov_b32 v10, s16 :: v_dual_mov_b32 v11, s17
	v_dual_mov_b32 v12, s30 :: v_dual_mov_b32 v13, s31
	s_mov_b32 s7, 0
.LBB53_83:                              ; =>This Inner Loop Header: Depth=1
	s_delay_alu instid0(VALU_DEP_1) | instskip(SKIP_1) | instid1(VALU_DEP_2)
	v_add_co_u32 v17, vcc_lo, v12, v10
	s_wait_alu 0xfffd
	v_add_co_ci_u32_e64 v18, null, v13, v11, vcc_lo
	s_delay_alu instid0(VALU_DEP_1) | instskip(NEXT) | instid1(VALU_DEP_1)
	v_lshrrev_b32_e32 v19, 31, v18
	v_add_co_u32 v17, vcc_lo, v17, v19
	s_wait_alu 0xfffd
	v_add_co_ci_u32_e64 v18, null, 0, v18, vcc_lo
	s_delay_alu instid0(VALU_DEP_1) | instskip(NEXT) | instid1(VALU_DEP_1)
	v_ashrrev_i64 v[17:18], 1, v[17:18]
	v_lshlrev_b64_e32 v[19:20], 3, v[17:18]
	s_delay_alu instid0(VALU_DEP_1) | instskip(SKIP_1) | instid1(VALU_DEP_2)
	v_add_co_u32 v19, vcc_lo, s8, v19
	s_wait_alu 0xfffd
	v_add_co_ci_u32_e64 v20, null, s9, v20, vcc_lo
	global_load_b64 v[19:20], v[19:20], off
	s_wait_loadcnt 0x0
	v_sub_co_u32 v19, vcc_lo, v19, s24
	s_wait_alu 0xfffd
	v_subrev_co_ci_u32_e64 v20, null, 0, v20, vcc_lo
	s_delay_alu instid0(VALU_DEP_1) | instskip(SKIP_3) | instid1(VALU_DEP_2)
	v_cmp_lt_i64_e32 vcc_lo, v[8:9], v[19:20]
	s_wait_alu 0xfffd
	v_dual_cndmask_b32 v13, v13, v18 :: v_dual_cndmask_b32 v12, v12, v17
	v_dual_cndmask_b32 v11, v18, v11 :: v_dual_cndmask_b32 v10, v17, v10
	v_add_co_u32 v17, vcc_lo, v12, -1
	s_wait_alu 0xfffd
	s_delay_alu instid0(VALU_DEP_3) | instskip(NEXT) | instid1(VALU_DEP_3)
	v_add_co_ci_u32_e64 v18, null, -1, v13, vcc_lo
	v_cmp_ge_i64_e32 vcc_lo, v[10:11], v[12:13]
	s_delay_alu instid0(VALU_DEP_2)
	v_cmp_eq_u64_e64 s0, v[10:11], v[17:18]
	s_or_b32 s0, vcc_lo, s0
	s_wait_alu 0xfffe
	s_and_b32 s0, exec_lo, s0
	s_wait_alu 0xfffe
	s_or_b32 s7, s0, s7
	s_wait_alu 0xfffe
	s_and_not1_b32 exec_lo, exec_lo, s7
	s_cbranch_execnz .LBB53_83
; %bb.84:
	s_or_b32 exec_lo, exec_lo, s7
.LBB53_85:
	v_lshlrev_b64_e32 v[17:18], 3, v[12:13]
	s_mov_b32 s7, exec_lo
	s_delay_alu instid0(VALU_DEP_1) | instskip(SKIP_1) | instid1(VALU_DEP_2)
	v_add_co_u32 v17, vcc_lo, s8, v17
	s_wait_alu 0xfffd
	v_add_co_ci_u32_e64 v18, null, s9, v18, vcc_lo
	global_load_b64 v[17:18], v[17:18], off
	global_load_b64 v[19:20], v[6:7], off offset:2048
	s_wait_loadcnt 0x1
	v_sub_co_u32 v17, vcc_lo, v17, s24
	s_wait_alu 0xfffd
	v_subrev_co_ci_u32_e64 v18, null, 0, v18, vcc_lo
	s_delay_alu instid0(VALU_DEP_1)
	v_cmp_lt_i64_e32 vcc_lo, v[8:9], v[17:18]
	s_wait_alu 0xfffd
	v_dual_cndmask_b32 v13, v13, v11 :: v_dual_cndmask_b32 v12, v12, v10
	s_wait_loadcnt 0x0
	v_sub_co_u32 v10, vcc_lo, v19, s24
	s_wait_alu 0xfffd
	v_subrev_co_ci_u32_e64 v11, null, 0, v20, vcc_lo
	s_delay_alu instid0(VALU_DEP_1)
	v_cmpx_ne_u64_e64 v[10:11], v[12:13]
	s_cbranch_execz .LBB53_91
; %bb.86:
	s_load_b64 s[34:35], s[10:11], 0x0
	s_wait_kmcnt 0x0
	s_sub_nc_u64 s[34:35], s[34:35], s[24:25]
	s_wait_alu 0xfffe
	v_cmp_gt_i64_e32 vcc_lo, s[34:35], v[8:9]
	s_and_b32 exec_lo, exec_lo, vcc_lo
	s_cbranch_execz .LBB53_91
; %bb.87:
	v_cmp_gt_i64_e32 vcc_lo, s[12:13], v[10:11]
	v_cmp_le_i64_e64 s0, s[18:19], v[10:11]
	s_or_b32 s0, vcc_lo, s0
	s_wait_alu 0xfffe
	s_and_saveexec_b32 s29, s0
	s_wait_alu 0xfffe
	s_xor_b32 s0, exec_lo, s29
	s_cbranch_execz .LBB53_89
; %bb.88:
	v_add_co_u32 v8, vcc_lo, s14, v12
	s_wait_alu 0xfffd
	v_add_co_ci_u32_e64 v9, null, s15, v13, vcc_lo
	ds_load_b32 v13, v14 offset:1024
	global_load_i8 v12, v[8:9], off
	v_lshlrev_b64_e32 v[8:9], 2, v[10:11]
	s_delay_alu instid0(VALU_DEP_1) | instskip(SKIP_1) | instid1(VALU_DEP_2)
	v_add_co_u32 v8, vcc_lo, s20, v8
	s_wait_alu 0xfffd
	v_add_co_ci_u32_e64 v9, null, s21, v9, vcc_lo
	s_wait_loadcnt_dscnt 0x0
	v_mul_lo_u32 v12, v13, v12
	global_atomic_add_u32 v[8:9], v12, off scope:SCOPE_DEV
                                        ; implicit-def: $vgpr12_vgpr13
.LBB53_89:
	s_wait_alu 0xfffe
	s_and_not1_saveexec_b32 s0, s0
	s_cbranch_execz .LBB53_91
; %bb.90:
	v_add_co_u32 v8, vcc_lo, s14, v12
	s_wait_alu 0xfffd
	v_add_co_ci_u32_e64 v9, null, s15, v13, vcc_lo
	v_subrev_nc_u32_e32 v12, s12, v10
	global_load_i8 v8, v[8:9], off
	ds_load_b32 v9, v14 offset:1024
	s_wait_loadcnt_dscnt 0x0
	v_mul_lo_u32 v8, v9, v8
	v_lshl_add_u32 v9, v12, 2, 0x1000
	ds_add_u32 v9, v8
.LBB53_91:
	s_wait_alu 0xfffe
	s_or_b32 exec_lo, exec_lo, s7
	v_add_co_u32 v8, vcc_lo, s14, v10
	s_wait_alu 0xfffd
	v_add_co_ci_u32_e64 v9, null, s15, v11, vcc_lo
	v_cmp_ne_u32_e32 vcc_lo, 1, v16
	v_add_co_u32 v4, s0, 0x200, v4
	global_load_i8 v8, v[8:9], off
	ds_load_b32 v9, v14 offset:1024
	s_wait_alu 0xf1ff
	v_add_co_ci_u32_e64 v5, null, 0, v5, s0
	v_dual_mov_b32 v10, s30 :: v_dual_mov_b32 v11, s31
	s_and_b32 vcc_lo, exec_lo, vcc_lo
	s_wait_loadcnt_dscnt 0x0
	v_mul_lo_u32 v12, v9, v8
	v_dual_mov_b32 v8, s16 :: v_dual_mov_b32 v9, s17
	ds_store_b32 v14, v12 offset:1024
	s_wait_alu 0xfffe
	s_cbranch_vccnz .LBB53_95
; %bb.92:
	v_dual_mov_b32 v8, s16 :: v_dual_mov_b32 v9, s17
	v_dual_mov_b32 v10, s30 :: v_dual_mov_b32 v11, s31
	s_mov_b32 s7, 0
.LBB53_93:                              ; =>This Inner Loop Header: Depth=1
	s_delay_alu instid0(VALU_DEP_1) | instskip(SKIP_1) | instid1(VALU_DEP_2)
	v_add_co_u32 v12, vcc_lo, v10, v8
	s_wait_alu 0xfffd
	v_add_co_ci_u32_e64 v13, null, v11, v9, vcc_lo
	s_delay_alu instid0(VALU_DEP_1) | instskip(NEXT) | instid1(VALU_DEP_1)
	v_lshrrev_b32_e32 v17, 31, v13
	v_add_co_u32 v12, vcc_lo, v12, v17
	s_wait_alu 0xfffd
	v_add_co_ci_u32_e64 v13, null, 0, v13, vcc_lo
	s_delay_alu instid0(VALU_DEP_1) | instskip(NEXT) | instid1(VALU_DEP_1)
	v_ashrrev_i64 v[12:13], 1, v[12:13]
	v_lshlrev_b64_e32 v[17:18], 3, v[12:13]
	s_delay_alu instid0(VALU_DEP_1) | instskip(SKIP_1) | instid1(VALU_DEP_2)
	v_add_co_u32 v17, vcc_lo, s8, v17
	s_wait_alu 0xfffd
	v_add_co_ci_u32_e64 v18, null, s9, v18, vcc_lo
	global_load_b64 v[17:18], v[17:18], off
	s_wait_loadcnt 0x0
	v_sub_co_u32 v17, vcc_lo, v17, s24
	s_wait_alu 0xfffd
	v_subrev_co_ci_u32_e64 v18, null, 0, v18, vcc_lo
	s_delay_alu instid0(VALU_DEP_1) | instskip(SKIP_3) | instid1(VALU_DEP_2)
	v_cmp_lt_i64_e32 vcc_lo, v[4:5], v[17:18]
	s_wait_alu 0xfffd
	v_dual_cndmask_b32 v11, v11, v13 :: v_dual_cndmask_b32 v10, v10, v12
	v_dual_cndmask_b32 v9, v13, v9 :: v_dual_cndmask_b32 v8, v12, v8
	v_add_co_u32 v12, vcc_lo, v10, -1
	s_wait_alu 0xfffd
	s_delay_alu instid0(VALU_DEP_3) | instskip(NEXT) | instid1(VALU_DEP_3)
	v_add_co_ci_u32_e64 v13, null, -1, v11, vcc_lo
	v_cmp_ge_i64_e32 vcc_lo, v[8:9], v[10:11]
	s_delay_alu instid0(VALU_DEP_2)
	v_cmp_eq_u64_e64 s0, v[8:9], v[12:13]
	s_or_b32 s0, vcc_lo, s0
	s_wait_alu 0xfffe
	s_and_b32 s0, exec_lo, s0
	s_wait_alu 0xfffe
	s_or_b32 s7, s0, s7
	s_wait_alu 0xfffe
	s_and_not1_b32 exec_lo, exec_lo, s7
	s_cbranch_execnz .LBB53_93
; %bb.94:
	s_or_b32 exec_lo, exec_lo, s7
.LBB53_95:
	v_lshlrev_b64_e32 v[12:13], 3, v[10:11]
	s_mov_b32 s7, exec_lo
	s_delay_alu instid0(VALU_DEP_1) | instskip(SKIP_1) | instid1(VALU_DEP_2)
	v_add_co_u32 v12, vcc_lo, s8, v12
	s_wait_alu 0xfffd
	v_add_co_ci_u32_e64 v13, null, s9, v13, vcc_lo
	global_load_b64 v[12:13], v[12:13], off
	global_load_b64 v[17:18], v[6:7], off offset:4096
	s_wait_loadcnt 0x1
	v_sub_co_u32 v12, vcc_lo, v12, s24
	s_wait_alu 0xfffd
	v_subrev_co_ci_u32_e64 v13, null, 0, v13, vcc_lo
	s_delay_alu instid0(VALU_DEP_1)
	v_cmp_lt_i64_e32 vcc_lo, v[4:5], v[12:13]
	s_wait_alu 0xfffd
	v_dual_cndmask_b32 v11, v11, v9 :: v_dual_cndmask_b32 v10, v10, v8
	s_wait_loadcnt 0x0
	v_sub_co_u32 v8, vcc_lo, v17, s24
	s_wait_alu 0xfffd
	v_subrev_co_ci_u32_e64 v9, null, 0, v18, vcc_lo
	s_delay_alu instid0(VALU_DEP_1)
	v_cmpx_ne_u64_e64 v[8:9], v[10:11]
	s_cbranch_execz .LBB53_101
; %bb.96:
	s_load_b64 s[34:35], s[10:11], 0x0
	s_wait_kmcnt 0x0
	s_sub_nc_u64 s[34:35], s[34:35], s[24:25]
	s_wait_alu 0xfffe
	v_cmp_gt_i64_e32 vcc_lo, s[34:35], v[4:5]
	s_and_b32 exec_lo, exec_lo, vcc_lo
	s_cbranch_execz .LBB53_101
; %bb.97:
	v_cmp_gt_i64_e32 vcc_lo, s[12:13], v[8:9]
	v_cmp_le_i64_e64 s0, s[18:19], v[8:9]
	s_or_b32 s0, vcc_lo, s0
	s_wait_alu 0xfffe
	s_and_saveexec_b32 s29, s0
	s_wait_alu 0xfffe
	s_xor_b32 s0, exec_lo, s29
	s_cbranch_execz .LBB53_99
; %bb.98:
	v_add_co_u32 v4, vcc_lo, s14, v10
	s_wait_alu 0xfffd
	v_add_co_ci_u32_e64 v5, null, s15, v11, vcc_lo
	ds_load_b32 v11, v14 offset:2048
	global_load_i8 v10, v[4:5], off
	v_lshlrev_b64_e32 v[4:5], 2, v[8:9]
	s_delay_alu instid0(VALU_DEP_1) | instskip(SKIP_1) | instid1(VALU_DEP_2)
	v_add_co_u32 v4, vcc_lo, s20, v4
	s_wait_alu 0xfffd
	v_add_co_ci_u32_e64 v5, null, s21, v5, vcc_lo
	s_wait_loadcnt_dscnt 0x0
	v_mul_lo_u32 v10, v11, v10
	global_atomic_add_u32 v[4:5], v10, off scope:SCOPE_DEV
                                        ; implicit-def: $vgpr10_vgpr11
.LBB53_99:
	s_wait_alu 0xfffe
	s_and_not1_saveexec_b32 s0, s0
	s_cbranch_execz .LBB53_101
; %bb.100:
	v_add_co_u32 v4, vcc_lo, s14, v10
	s_wait_alu 0xfffd
	v_add_co_ci_u32_e64 v5, null, s15, v11, vcc_lo
	v_subrev_nc_u32_e32 v10, s12, v8
	global_load_i8 v4, v[4:5], off
	ds_load_b32 v5, v14 offset:2048
	s_wait_loadcnt_dscnt 0x0
	v_mul_lo_u32 v4, v5, v4
	v_lshl_add_u32 v5, v10, 2, 0x1000
	ds_add_u32 v5, v4
.LBB53_101:
	s_wait_alu 0xfffe
	s_or_b32 exec_lo, exec_lo, s7
	v_add_co_u32 v4, vcc_lo, s14, v8
	s_wait_alu 0xfffd
	v_add_co_ci_u32_e64 v5, null, s15, v9, vcc_lo
	v_cmp_ne_u32_e32 vcc_lo, 1, v16
	v_dual_mov_b32 v8, s30 :: v_dual_mov_b32 v9, s31
	global_load_i8 v4, v[4:5], off
	ds_load_b32 v5, v14 offset:2048
	s_and_b32 vcc_lo, exec_lo, vcc_lo
	s_wait_loadcnt_dscnt 0x0
	v_mul_lo_u32 v10, v5, v4
	v_dual_mov_b32 v4, s16 :: v_dual_mov_b32 v5, s17
	ds_store_b32 v14, v10 offset:2048
	s_wait_alu 0xfffe
	s_cbranch_vccnz .LBB53_105
; %bb.102:
	v_dual_mov_b32 v4, s16 :: v_dual_mov_b32 v5, s17
	v_dual_mov_b32 v8, s30 :: v_dual_mov_b32 v9, s31
	s_mov_b32 s7, 0
.LBB53_103:                             ; =>This Inner Loop Header: Depth=1
	s_delay_alu instid0(VALU_DEP_1) | instskip(SKIP_1) | instid1(VALU_DEP_2)
	v_add_co_u32 v10, vcc_lo, v8, v4
	s_wait_alu 0xfffd
	v_add_co_ci_u32_e64 v11, null, v9, v5, vcc_lo
	s_delay_alu instid0(VALU_DEP_1) | instskip(NEXT) | instid1(VALU_DEP_1)
	v_lshrrev_b32_e32 v12, 31, v11
	v_add_co_u32 v10, vcc_lo, v10, v12
	s_wait_alu 0xfffd
	v_add_co_ci_u32_e64 v11, null, 0, v11, vcc_lo
	s_delay_alu instid0(VALU_DEP_1) | instskip(NEXT) | instid1(VALU_DEP_1)
	v_ashrrev_i64 v[10:11], 1, v[10:11]
	v_lshlrev_b64_e32 v[12:13], 3, v[10:11]
	s_delay_alu instid0(VALU_DEP_1) | instskip(SKIP_1) | instid1(VALU_DEP_2)
	v_add_co_u32 v12, vcc_lo, s8, v12
	s_wait_alu 0xfffd
	v_add_co_ci_u32_e64 v13, null, s9, v13, vcc_lo
	global_load_b64 v[12:13], v[12:13], off
	s_wait_loadcnt 0x0
	v_sub_co_u32 v12, vcc_lo, v12, s24
	s_wait_alu 0xfffd
	v_subrev_co_ci_u32_e64 v13, null, 0, v13, vcc_lo
	s_delay_alu instid0(VALU_DEP_1) | instskip(SKIP_3) | instid1(VALU_DEP_2)
	v_cmp_lt_i64_e32 vcc_lo, v[2:3], v[12:13]
	s_wait_alu 0xfffd
	v_dual_cndmask_b32 v9, v9, v11 :: v_dual_cndmask_b32 v8, v8, v10
	v_dual_cndmask_b32 v5, v11, v5 :: v_dual_cndmask_b32 v4, v10, v4
	v_add_co_u32 v10, vcc_lo, v8, -1
	s_wait_alu 0xfffd
	s_delay_alu instid0(VALU_DEP_3) | instskip(NEXT) | instid1(VALU_DEP_3)
	v_add_co_ci_u32_e64 v11, null, -1, v9, vcc_lo
	v_cmp_ge_i64_e32 vcc_lo, v[4:5], v[8:9]
	s_delay_alu instid0(VALU_DEP_2)
	v_cmp_eq_u64_e64 s0, v[4:5], v[10:11]
	s_or_b32 s0, vcc_lo, s0
	s_wait_alu 0xfffe
	s_and_b32 s0, exec_lo, s0
	s_wait_alu 0xfffe
	s_or_b32 s7, s0, s7
	s_wait_alu 0xfffe
	s_and_not1_b32 exec_lo, exec_lo, s7
	s_cbranch_execnz .LBB53_103
; %bb.104:
	s_or_b32 exec_lo, exec_lo, s7
.LBB53_105:
	v_lshlrev_b64_e32 v[10:11], 3, v[8:9]
	s_mov_b32 s7, exec_lo
	s_delay_alu instid0(VALU_DEP_1) | instskip(SKIP_1) | instid1(VALU_DEP_2)
	v_add_co_u32 v10, vcc_lo, s8, v10
	s_wait_alu 0xfffd
	v_add_co_ci_u32_e64 v11, null, s9, v11, vcc_lo
	global_load_b64 v[10:11], v[10:11], off
	global_load_b64 v[12:13], v[6:7], off offset:6144
	s_wait_loadcnt 0x1
	v_sub_co_u32 v6, vcc_lo, v10, s24
	s_wait_alu 0xfffd
	v_subrev_co_ci_u32_e64 v7, null, 0, v11, vcc_lo
	s_delay_alu instid0(VALU_DEP_1)
	v_cmp_lt_i64_e32 vcc_lo, v[2:3], v[6:7]
	s_wait_alu 0xfffd
	v_dual_cndmask_b32 v7, v9, v5 :: v_dual_cndmask_b32 v6, v8, v4
	s_wait_loadcnt 0x0
	v_sub_co_u32 v4, vcc_lo, v12, s24
	s_wait_alu 0xfffd
	v_subrev_co_ci_u32_e64 v5, null, 0, v13, vcc_lo
	s_delay_alu instid0(VALU_DEP_1)
	v_cmpx_ne_u64_e64 v[4:5], v[6:7]
	s_cbranch_execz .LBB53_111
; %bb.106:
	s_load_b64 s[10:11], s[10:11], 0x0
	s_wait_kmcnt 0x0
	s_sub_nc_u64 s[10:11], s[10:11], s[24:25]
	s_wait_alu 0xfffe
	v_cmp_gt_i64_e32 vcc_lo, s[10:11], v[2:3]
	s_and_b32 exec_lo, exec_lo, vcc_lo
	s_cbranch_execz .LBB53_111
; %bb.107:
	v_cmp_gt_i64_e32 vcc_lo, s[12:13], v[4:5]
	v_cmp_le_i64_e64 s0, s[18:19], v[4:5]
	s_or_b32 s0, vcc_lo, s0
	s_wait_alu 0xfffe
	s_and_saveexec_b32 s10, s0
	s_wait_alu 0xfffe
	s_xor_b32 s0, exec_lo, s10
	s_cbranch_execz .LBB53_109
; %bb.108:
	v_add_co_u32 v2, vcc_lo, s14, v6
	s_wait_alu 0xfffd
	v_add_co_ci_u32_e64 v3, null, s15, v7, vcc_lo
	ds_load_b32 v7, v14 offset:3072
	global_load_i8 v6, v[2:3], off
	v_lshlrev_b64_e32 v[2:3], 2, v[4:5]
	s_delay_alu instid0(VALU_DEP_1) | instskip(SKIP_1) | instid1(VALU_DEP_2)
	v_add_co_u32 v2, vcc_lo, s20, v2
	s_wait_alu 0xfffd
	v_add_co_ci_u32_e64 v3, null, s21, v3, vcc_lo
	s_wait_loadcnt_dscnt 0x0
	v_mul_lo_u32 v6, v7, v6
	global_atomic_add_u32 v[2:3], v6, off scope:SCOPE_DEV
                                        ; implicit-def: $vgpr6_vgpr7
.LBB53_109:
	s_wait_alu 0xfffe
	s_and_not1_saveexec_b32 s0, s0
	s_cbranch_execz .LBB53_111
; %bb.110:
	v_add_co_u32 v2, vcc_lo, s14, v6
	s_wait_alu 0xfffd
	v_add_co_ci_u32_e64 v3, null, s15, v7, vcc_lo
	v_subrev_nc_u32_e32 v6, s12, v4
	global_load_i8 v2, v[2:3], off
	ds_load_b32 v3, v14 offset:3072
	s_wait_loadcnt_dscnt 0x0
	v_mul_lo_u32 v2, v3, v2
	v_lshl_add_u32 v3, v6, 2, 0x1000
	ds_add_u32 v3, v2
.LBB53_111:
	s_wait_alu 0xfffe
	s_or_b32 exec_lo, exec_lo, s7
	v_add_co_u32 v2, vcc_lo, s14, v4
	s_wait_alu 0xfffd
	v_add_co_ci_u32_e64 v3, null, s15, v5, vcc_lo
	global_load_i8 v2, v[2:3], off
	ds_load_b32 v3, v14 offset:3072
	s_wait_loadcnt_dscnt 0x0
	v_mul_lo_u32 v2, v3, v2
	ds_store_b32 v14, v2 offset:3072
.LBB53_112:
	s_wait_alu 0xfffe
	s_or_b32 exec_lo, exec_lo, s1
	v_cmp_lt_i64_e64 s0, s[18:19], s[2:3]
	s_mov_b32 s1, exec_lo
	s_wait_storecnt 0x0
	s_wait_loadcnt_dscnt 0x0
	s_barrier_signal -1
	s_barrier_wait -1
	global_inv scope:SCOPE_SE
	s_and_b32 s0, s0, exec_lo
	s_cselect_b32 s13, s19, s3
	s_cselect_b32 s12, s18, s2
	s_wait_alu 0xfffe
	s_sub_nc_u64 s[10:11], s[12:13], s[22:23]
	s_wait_alu 0xfffe
	v_cmpx_gt_i64_e64 s[10:11], v[0:1]
	s_cbranch_execz .LBB53_115
; %bb.113:
	v_cmp_gt_i64_e64 s0, s[18:19], s[2:3]
	v_dual_mov_b32 v5, v1 :: v_dual_lshlrev_b32 v2, 2, v0
	v_mov_b32_e32 v4, v0
	s_and_b32 s0, s0, exec_lo
	s_cselect_b32 s15, s19, s3
	s_cselect_b32 s14, s18, s2
	s_lshl_b64 s[2:3], s[2:3], 2
	s_wait_alu 0xfffe
	s_lshl_b64 s[14:15], s[14:15], 2
	s_wait_alu 0xfffe
	v_add_co_u32 v2, s0, s14, v2
	s_wait_alu 0xf1ff
	v_add_co_ci_u32_e64 v3, null, s15, 0, s0
	s_delay_alu instid0(VALU_DEP_2) | instskip(SKIP_1) | instid1(VALU_DEP_2)
	v_sub_co_u32 v2, vcc_lo, v2, s2
	s_wait_alu 0xfffd
	v_subrev_co_ci_u32_e64 v3, null, s3, v3, vcc_lo
	s_mov_b32 s2, 0
	v_add_co_u32 v2, vcc_lo, s20, v2
	s_wait_alu 0xfffd
	v_add_co_ci_u32_e64 v3, null, s21, v3, vcc_lo
.LBB53_114:                             ; =>This Inner Loop Header: Depth=1
	ds_load_b32 v6, v15
	v_add_co_u32 v4, vcc_lo, 0x100, v4
	s_wait_alu 0xfffd
	v_add_co_ci_u32_e64 v5, null, 0, v5, vcc_lo
	v_add_nc_u32_e32 v15, 0x400, v15
	s_delay_alu instid0(VALU_DEP_2)
	v_cmp_le_i64_e32 vcc_lo, s[10:11], v[4:5]
	s_wait_alu 0xfffe
	s_or_b32 s2, vcc_lo, s2
	s_wait_dscnt 0x0
	global_atomic_add_u32 v[2:3], v6, off scope:SCOPE_DEV
	v_add_co_u32 v2, s0, 0x400, v2
	s_wait_alu 0xf1ff
	v_add_co_ci_u32_e64 v3, null, 0, v3, s0
	s_wait_alu 0xfffe
	s_and_not1_b32 exec_lo, exec_lo, s2
	s_cbranch_execnz .LBB53_114
.LBB53_115:
	s_or_b32 exec_lo, exec_lo, s1
	s_add_co_i32 s0, s28, -1
	v_add_co_u32 v6, s2, s16, v0
	s_wait_alu 0xfffe
	s_ashr_i32 s1, s0, 1
	v_add_co_ci_u32_e64 v7, null, s17, 0, s2
	s_wait_alu 0xfffe
	s_or_b32 s0, s1, s0
	s_wait_loadcnt 0x0
	s_wait_storecnt 0x0
	s_wait_alu 0xfffe
	s_ashr_i32 s1, s0, 2
	s_barrier_signal -1
	s_wait_alu 0xfffe
	s_or_b32 s0, s1, s0
	s_barrier_wait -1
	s_wait_alu 0xfffe
	s_ashr_i32 s1, s0, 4
	global_inv scope:SCOPE_SE
	s_wait_alu 0xfffe
	s_or_b32 s0, s1, s0
	s_wait_alu 0xfffe
	s_ashr_i32 s1, s0, 8
	s_wait_alu 0xfffe
	s_or_b32 s0, s1, s0
	s_wait_alu 0xfffe
	s_ashr_i32 s1, s0, 16
	s_wait_alu 0xfffe
	s_or_b32 s1, s1, s0
	s_mov_b32 s0, -1
	s_wait_alu 0xfffe
	s_add_co_i32 s1, s1, 1
	s_wait_alu 0xfffe
	s_ashr_i32 s2, s1, 1
	s_wait_alu 0xfffe
	s_cmp_gt_i32 s2, 1
	s_cbranch_scc1 .LBB53_124
; %bb.116:
	s_mov_b32 s0, exec_lo
	v_cmpx_gt_i64_e64 s[18:19], v[6:7]
	s_cbranch_execz .LBB53_123
; %bb.117:
	s_sub_co_i32 s1, s12, s18
	v_dual_mov_b32 v9, v7 :: v_dual_mov_b32 v8, v6
	s_lshl_b32 s7, s4, 2
	s_wait_alu 0xfffe
	s_lshl_b32 s1, s1, 2
	s_mov_b32 s3, 0
	s_wait_alu 0xfffe
	s_addk_co_i32 s1, 0x1000
	s_sub_co_i32 s7, 0, s7
	s_branch .LBB53_119
.LBB53_118:                             ;   in Loop: Header=BB53_119 Depth=1
	s_wait_alu 0xfffe
	s_or_b32 exec_lo, exec_lo, s11
	v_lshl_add_u32 v2, v8, 2, s1
	ds_load_b32 v4, v2
	v_lshlrev_b64_e32 v[2:3], 2, v[8:9]
	s_delay_alu instid0(VALU_DEP_1) | instskip(SKIP_1) | instid1(VALU_DEP_2)
	v_add_co_u32 v2, vcc_lo, s20, v2
	s_wait_alu 0xfffd
	v_add_co_ci_u32_e64 v3, null, s21, v3, vcc_lo
	v_add_co_u32 v8, vcc_lo, v8, s6
	s_wait_alu 0xfffd
	v_add_co_ci_u32_e64 v9, null, 0, v9, vcc_lo
	s_delay_alu instid0(VALU_DEP_1)
	v_cmp_le_i64_e32 vcc_lo, s[18:19], v[8:9]
	s_wait_dscnt 0x0
	v_add_nc_u32_e32 v4, v4, v12
	s_or_b32 s3, vcc_lo, s3
	global_atomic_add_u32 v[2:3], v4, off scope:SCOPE_DEV
	s_wait_alu 0xfffe
	s_and_not1_b32 exec_lo, exec_lo, s3
	s_cbranch_execz .LBB53_123
.LBB53_119:                             ; =>This Loop Header: Depth=1
                                        ;     Child Loop BB53_121 Depth 2
	v_lshlrev_b64_e32 v[2:3], 3, v[8:9]
	v_mov_b32_e32 v12, 0
	s_mov_b32 s11, exec_lo
	s_delay_alu instid0(VALU_DEP_2) | instskip(SKIP_1) | instid1(VALU_DEP_3)
	v_add_co_u32 v2, vcc_lo, s8, v2
	s_wait_alu 0xfffd
	v_add_co_ci_u32_e64 v3, null, s9, v3, vcc_lo
	global_load_b128 v[2:5], v[2:3], off
	s_wait_loadcnt 0x0
	v_cmpx_lt_i64_e64 v[2:3], v[4:5]
	s_cbranch_execz .LBB53_118
; %bb.120:                              ;   in Loop: Header=BB53_119 Depth=1
	v_sub_co_u32 v4, vcc_lo, v4, s4
	s_wait_alu 0xfffd
	v_subrev_co_ci_u32_e64 v5, null, s5, v5, vcc_lo
	v_sub_co_u32 v10, vcc_lo, v2, s4
	s_wait_alu 0xfffd
	v_subrev_co_ci_u32_e64 v11, null, s5, v3, vcc_lo
	s_wait_alu 0xfffe
	v_lshl_add_u32 v2, v2, 2, s7
	v_mov_b32_e32 v12, 0
	s_mov_b32 s12, 0
.LBB53_121:                             ;   Parent Loop BB53_119 Depth=1
                                        ; =>  This Inner Loop Header: Depth=2
	ds_load_b32 v3, v2
	v_add_co_u32 v10, vcc_lo, v10, 1
	s_wait_alu 0xfffd
	v_add_co_ci_u32_e64 v11, null, 0, v11, vcc_lo
	v_add_nc_u32_e32 v2, 4, v2
	s_delay_alu instid0(VALU_DEP_2)
	v_cmp_ge_i64_e32 vcc_lo, v[10:11], v[4:5]
	s_wait_alu 0xfffe
	s_or_b32 s12, vcc_lo, s12
	s_wait_dscnt 0x0
	v_add_nc_u32_e32 v12, v3, v12
	s_wait_alu 0xfffe
	s_and_not1_b32 exec_lo, exec_lo, s12
	s_cbranch_execnz .LBB53_121
; %bb.122:                              ;   in Loop: Header=BB53_119 Depth=1
	s_or_b32 exec_lo, exec_lo, s12
	s_branch .LBB53_118
.LBB53_123:
	s_wait_alu 0xfffe
	s_or_b32 exec_lo, exec_lo, s0
	s_mov_b32 s0, 0
.LBB53_124:
	s_wait_alu 0xfffe
	s_and_not1_b32 vcc_lo, exec_lo, s0
	s_wait_alu 0xfffe
	s_cbranch_vccnz .LBB53_141
; %bb.125:
	s_cvt_f32_u32 s0, s2
	s_sub_co_i32 s1, 0, s2
	s_wait_alu 0xfffe
	s_delay_alu instid0(SALU_CYCLE_1) | instskip(NEXT) | instid1(TRANS32_DEP_1)
	v_rcp_iflag_f32_e32 v2, s0
	v_readfirstlane_b32 s0, v2
	s_mul_f32 s0, s0, 0x4f7ffffe
	s_wait_alu 0xfffe
	s_delay_alu instid0(SALU_CYCLE_2) | instskip(SKIP_1) | instid1(SALU_CYCLE_2)
	s_cvt_u32_f32 s0, s0
	s_wait_alu 0xfffe
	s_mul_i32 s3, s1, s0
	s_wait_alu 0xfffe
	s_mul_hi_u32 s3, s0, s3
	s_wait_alu 0xfffe
	s_add_co_i32 s0, s0, s3
	s_mov_b32 s3, 0
	s_wait_alu 0xfffe
	v_mul_hi_u32 v2, v0, s0
	s_mov_b32 s0, exec_lo
	s_delay_alu instid0(VALU_DEP_1) | instskip(NEXT) | instid1(VALU_DEP_1)
	v_mul_lo_u32 v3, v2, s2
	v_sub_nc_u32_e32 v3, v0, v3
	s_delay_alu instid0(VALU_DEP_1) | instskip(SKIP_2) | instid1(VALU_DEP_2)
	v_subrev_nc_u32_e32 v5, s2, v3
	v_cmp_le_u32_e32 vcc_lo, s2, v3
	s_wait_alu 0xfffd
	v_dual_cndmask_b32 v3, v3, v5 :: v_dual_add_nc_u32 v4, 1, v2
	s_delay_alu instid0(VALU_DEP_1) | instskip(NEXT) | instid1(VALU_DEP_2)
	v_dual_cndmask_b32 v2, v2, v4 :: v_dual_mov_b32 v5, 0
	v_cmp_le_u32_e32 vcc_lo, s2, v3
	s_delay_alu instid0(VALU_DEP_2) | instskip(SKIP_1) | instid1(VALU_DEP_1)
	v_add_nc_u32_e32 v4, 1, v2
	s_wait_alu 0xfffd
	v_cndmask_b32_e32 v4, v2, v4, vcc_lo
	s_delay_alu instid0(VALU_DEP_1) | instskip(NEXT) | instid1(VALU_DEP_1)
	v_lshlrev_b64_e32 v[2:3], 3, v[4:5]
	v_add_co_u32 v2, vcc_lo, s26, v2
	s_wait_alu 0xfffd
	s_delay_alu instid0(VALU_DEP_2)
	v_add_co_ci_u32_e64 v3, null, s27, v3, vcc_lo
	global_load_b128 v[8:11], v[2:3], off
	s_wait_loadcnt 0x0
	v_sub_co_u32 v2, vcc_lo, v8, s4
	s_wait_alu 0xfffd
	v_subrev_co_ci_u32_e64 v3, null, s5, v9, vcc_lo
	v_sub_co_u32 v12, vcc_lo, v10, s4
	s_wait_alu 0xfffd
	v_subrev_co_ci_u32_e64 v13, null, s5, v11, vcc_lo
	v_mov_b32_e32 v8, v5
	s_delay_alu instid0(VALU_DEP_3) | instskip(SKIP_1) | instid1(VALU_DEP_3)
	v_sub_co_u32 v15, vcc_lo, v12, v2
	s_wait_alu 0xfffd
	v_sub_co_ci_u32_e64 v9, null, v13, v3, vcc_lo
                                        ; implicit-def: $vgpr10_vgpr11
	s_delay_alu instid0(VALU_DEP_1)
	v_cmpx_ne_u64_e32 0, v[8:9]
	s_wait_alu 0xfffe
	s_xor_b32 s6, exec_lo, s0
	s_cbranch_execz .LBB53_127
; %bb.126:
	s_add_nc_u64 s[4:5], s[2:3], 0
	s_mov_b32 s15, s3
	s_wait_alu 0xfffe
	s_xor_b64 s[4:5], s[4:5], 0
	s_mov_b32 s19, s3
	s_wait_alu 0xfffe
	s_cvt_f32_u32 s0, s4
	s_cvt_f32_u32 s7, s5
	s_sub_nc_u64 s[12:13], 0, s[4:5]
	v_ashrrev_i32_e32 v17, 31, v9
	s_wait_alu 0xfffe
	s_fmamk_f32 s0, s7, 0x4f800000, s0
	s_delay_alu instid0(VALU_DEP_1) | instskip(SKIP_1) | instid1(SALU_CYCLE_1)
	v_add_co_u32 v8, vcc_lo, v15, v17
	s_wait_alu 0xfffe
	v_s_rcp_f32 s0, s0
	s_wait_alu 0xfffd
	v_add_co_ci_u32_e64 v9, null, v9, v17, vcc_lo
	v_xor_b32_e32 v18, v8, v17
	s_delay_alu instid0(VALU_DEP_2) | instskip(NEXT) | instid1(TRANS32_DEP_1)
	v_xor_b32_e32 v19, v9, v17
	s_mul_f32 s0, s0, 0x5f7ffffc
	s_wait_alu 0xfffe
	s_delay_alu instid0(SALU_CYCLE_2) | instskip(SKIP_1) | instid1(SALU_CYCLE_2)
	s_mul_f32 s7, s0, 0x2f800000
	s_wait_alu 0xfffe
	s_trunc_f32 s7, s7
	s_wait_alu 0xfffe
	s_delay_alu instid0(SALU_CYCLE_2) | instskip(SKIP_2) | instid1(SALU_CYCLE_1)
	s_fmamk_f32 s0, s7, 0xcf800000, s0
	s_cvt_u32_f32 s9, s7
	s_wait_alu 0xfffe
	s_cvt_u32_f32 s8, s0
	s_wait_alu 0xfffe
	s_delay_alu instid0(SALU_CYCLE_2)
	s_mul_u64 s[16:17], s[12:13], s[8:9]
	s_wait_alu 0xfffe
	s_mul_hi_u32 s25, s8, s17
	s_mul_i32 s24, s8, s17
	s_mul_hi_u32 s14, s8, s16
	s_mul_i32 s7, s9, s16
	s_wait_alu 0xfffe
	s_add_nc_u64 s[14:15], s[14:15], s[24:25]
	s_mul_hi_u32 s0, s9, s16
	s_mul_hi_u32 s11, s9, s17
	s_wait_alu 0xfffe
	s_add_co_u32 s7, s14, s7
	s_add_co_ci_u32 s18, s15, s0
	s_mul_i32 s16, s9, s17
	s_add_co_ci_u32 s17, s11, 0
	s_wait_alu 0xfffe
	s_add_nc_u64 s[14:15], s[18:19], s[16:17]
	s_mov_b32 s17, s3
	s_wait_alu 0xfffe
	s_add_co_u32 s8, s8, s14
	s_cselect_b32 s0, -1, 0
	s_wait_alu 0xfffe
	s_cmp_lg_u32 s0, 0
	s_add_co_ci_u32 s9, s9, s15
	s_mov_b32 s15, s3
	s_wait_alu 0xfffe
	s_mul_u64 s[12:13], s[12:13], s[8:9]
	s_wait_alu 0xfffe
	s_mul_hi_u32 s19, s8, s13
	s_mul_i32 s18, s8, s13
	s_mul_hi_u32 s16, s8, s12
	s_mul_i32 s3, s9, s12
	s_wait_alu 0xfffe
	s_add_nc_u64 s[16:17], s[16:17], s[18:19]
	s_mul_hi_u32 s0, s9, s12
	s_mul_hi_u32 s7, s9, s13
	s_wait_alu 0xfffe
	s_add_co_u32 s3, s16, s3
	s_add_co_ci_u32 s14, s17, s0
	s_mul_i32 s12, s9, s13
	s_add_co_ci_u32 s13, s7, 0
	s_wait_alu 0xfffe
	s_add_nc_u64 s[12:13], s[14:15], s[12:13]
	s_wait_alu 0xfffe
	s_add_co_u32 s0, s8, s12
	s_cselect_b32 s3, -1, 0
	s_wait_alu 0xfffe
	v_mul_hi_u32 v20, v18, s0
	s_cmp_lg_u32 s3, 0
	v_mad_co_u64_u32 v[10:11], null, v19, s0, 0
	s_add_co_ci_u32 s3, s9, s13
	s_wait_alu 0xfffe
	v_mad_co_u64_u32 v[8:9], null, v18, s3, 0
	v_mad_co_u64_u32 v[15:16], null, v19, s3, 0
	s_delay_alu instid0(VALU_DEP_2) | instskip(SKIP_1) | instid1(VALU_DEP_3)
	v_add_co_u32 v8, vcc_lo, v20, v8
	s_wait_alu 0xfffd
	v_add_co_ci_u32_e64 v9, null, 0, v9, vcc_lo
	s_delay_alu instid0(VALU_DEP_2) | instskip(SKIP_1) | instid1(VALU_DEP_2)
	v_add_co_u32 v8, vcc_lo, v8, v10
	s_wait_alu 0xfffd
	v_add_co_ci_u32_e32 v8, vcc_lo, v9, v11, vcc_lo
	s_wait_alu 0xfffd
	v_add_co_ci_u32_e32 v9, vcc_lo, 0, v16, vcc_lo
	s_delay_alu instid0(VALU_DEP_2) | instskip(SKIP_1) | instid1(VALU_DEP_2)
	v_add_co_u32 v10, vcc_lo, v8, v15
	s_wait_alu 0xfffd
	v_add_co_ci_u32_e64 v11, null, 0, v9, vcc_lo
	s_delay_alu instid0(VALU_DEP_2) | instskip(SKIP_1) | instid1(VALU_DEP_3)
	v_mul_lo_u32 v15, s5, v10
	v_mad_co_u64_u32 v[8:9], null, s4, v10, 0
	v_mul_lo_u32 v16, s4, v11
	s_delay_alu instid0(VALU_DEP_2) | instskip(NEXT) | instid1(VALU_DEP_2)
	v_sub_co_u32 v8, vcc_lo, v18, v8
	v_add3_u32 v9, v9, v16, v15
	v_add_co_u32 v16, s0, v10, 2
	s_wait_alu 0xf1ff
	v_add_co_ci_u32_e64 v18, null, 0, v11, s0
	s_delay_alu instid0(VALU_DEP_3) | instskip(SKIP_3) | instid1(VALU_DEP_3)
	v_sub_nc_u32_e32 v15, v19, v9
	v_sub_co_u32 v20, s0, v8, s4
	s_wait_alu 0xfffd
	v_sub_co_ci_u32_e64 v9, null, v19, v9, vcc_lo
	v_subrev_co_ci_u32_e64 v15, null, s5, v15, vcc_lo
	s_delay_alu instid0(VALU_DEP_3) | instskip(SKIP_1) | instid1(VALU_DEP_2)
	v_cmp_le_u32_e32 vcc_lo, s4, v20
	s_wait_alu 0xf1ff
	v_subrev_co_ci_u32_e64 v15, null, 0, v15, s0
	s_wait_alu 0xfffd
	v_cndmask_b32_e64 v19, 0, -1, vcc_lo
	v_cmp_eq_u32_e64 s0, s5, v9
	s_delay_alu instid0(VALU_DEP_3)
	v_cmp_le_u32_e32 vcc_lo, s5, v15
	s_wait_alu 0xfffd
	v_cndmask_b32_e64 v20, 0, -1, vcc_lo
	v_cmp_le_u32_e32 vcc_lo, s4, v8
	s_wait_alu 0xfffd
	v_cndmask_b32_e64 v8, 0, -1, vcc_lo
	;; [unrolled: 3-line block ×3, first 2 shown]
	v_cmp_eq_u32_e32 vcc_lo, s5, v15
	s_wait_alu 0xf1ff
	s_delay_alu instid0(VALU_DEP_2)
	v_cndmask_b32_e64 v8, v21, v8, s0
	s_wait_alu 0xfffd
	v_cndmask_b32_e32 v15, v20, v19, vcc_lo
	v_add_co_u32 v19, vcc_lo, v10, 1
	s_wait_alu 0xfffd
	v_add_co_ci_u32_e64 v20, null, 0, v11, vcc_lo
	s_delay_alu instid0(VALU_DEP_3) | instskip(SKIP_1) | instid1(VALU_DEP_2)
	v_cmp_ne_u32_e32 vcc_lo, 0, v15
	s_wait_alu 0xfffd
	v_cndmask_b32_e32 v9, v20, v18, vcc_lo
	v_cndmask_b32_e32 v15, v19, v16, vcc_lo
	v_cmp_ne_u32_e32 vcc_lo, 0, v8
	s_wait_alu 0xfffd
	s_delay_alu instid0(VALU_DEP_2) | instskip(NEXT) | instid1(VALU_DEP_1)
	v_dual_cndmask_b32 v8, v11, v9 :: v_dual_cndmask_b32 v9, v10, v15
                                        ; implicit-def: $vgpr15
	v_xor_b32_e32 v8, v8, v17
	s_delay_alu instid0(VALU_DEP_2) | instskip(NEXT) | instid1(VALU_DEP_1)
	v_xor_b32_e32 v9, v9, v17
	v_sub_co_u32 v10, vcc_lo, v9, v17
	s_wait_alu 0xfffd
	s_delay_alu instid0(VALU_DEP_3)
	v_sub_co_ci_u32_e64 v11, null, v8, v17, vcc_lo
.LBB53_127:
	s_wait_alu 0xfffe
	s_and_not1_saveexec_b32 s0, s6
	s_cbranch_execz .LBB53_129
; %bb.128:
	v_cvt_f32_u32_e32 v8, s2
	s_delay_alu instid0(VALU_DEP_1) | instskip(NEXT) | instid1(TRANS32_DEP_1)
	v_rcp_iflag_f32_e32 v8, v8
	v_mul_f32_e32 v8, 0x4f7ffffe, v8
	s_delay_alu instid0(VALU_DEP_1) | instskip(NEXT) | instid1(VALU_DEP_1)
	v_cvt_u32_f32_e32 v8, v8
	v_mul_lo_u32 v9, s1, v8
	s_delay_alu instid0(VALU_DEP_1) | instskip(NEXT) | instid1(VALU_DEP_1)
	v_mul_hi_u32 v9, v8, v9
	v_add_nc_u32_e32 v8, v8, v9
	s_delay_alu instid0(VALU_DEP_1) | instskip(NEXT) | instid1(VALU_DEP_1)
	v_mul_hi_u32 v8, v15, v8
	v_mul_lo_u32 v9, v8, s2
	v_add_nc_u32_e32 v10, 1, v8
	s_delay_alu instid0(VALU_DEP_2) | instskip(NEXT) | instid1(VALU_DEP_1)
	v_sub_nc_u32_e32 v9, v15, v9
	v_subrev_nc_u32_e32 v11, s2, v9
	v_cmp_le_u32_e32 vcc_lo, s2, v9
	s_wait_alu 0xfffd
	s_delay_alu instid0(VALU_DEP_2) | instskip(SKIP_1) | instid1(VALU_DEP_2)
	v_dual_cndmask_b32 v9, v9, v11 :: v_dual_cndmask_b32 v8, v8, v10
	v_mov_b32_e32 v11, 0
	v_cmp_le_u32_e32 vcc_lo, s2, v9
	s_delay_alu instid0(VALU_DEP_3) | instskip(SKIP_1) | instid1(VALU_DEP_1)
	v_add_nc_u32_e32 v10, 1, v8
	s_wait_alu 0xfffd
	v_cndmask_b32_e32 v10, v8, v10, vcc_lo
.LBB53_129:
	s_wait_alu 0xfffe
	s_or_b32 exec_lo, exec_lo, s0
	v_mov_b32_e32 v15, 0
	s_mov_b32 s0, exec_lo
	v_cmpx_gt_i64_e64 s[22:23], v[4:5]
	s_cbranch_execz .LBB53_137
; %bb.130:
	s_add_co_i32 s1, s2, -1
	s_wait_alu 0xfffe
	v_dual_mov_b32 v15, 0 :: v_dual_and_b32 v4, s1, v0
	s_mov_b32 s1, exec_lo
	s_delay_alu instid0(VALU_DEP_1)
	v_lshlrev_b32_e32 v16, 2, v4
	v_cmpx_lt_i64_e32 0, v[10:11]
	s_cbranch_execz .LBB53_134
; %bb.131:
	v_dual_mov_b32 v15, 0 :: v_dual_mov_b32 v8, v10
	s_delay_alu instid0(VALU_DEP_3)
	v_lshl_add_u32 v5, v2, 2, v16
	v_mov_b32_e32 v9, v11
	s_lshl_b32 s4, s2, 2
	s_mov_b32 s3, 0
.LBB53_132:                             ; =>This Inner Loop Header: Depth=1
	ds_load_b32 v17, v5
	v_add_co_u32 v8, vcc_lo, v8, -1
	s_wait_alu 0xfffd
	v_add_co_ci_u32_e64 v9, null, -1, v9, vcc_lo
	s_wait_alu 0xfffe
	v_add_nc_u32_e32 v5, s4, v5
	s_delay_alu instid0(VALU_DEP_2)
	v_cmp_eq_u64_e32 vcc_lo, 0, v[8:9]
	s_or_b32 s3, vcc_lo, s3
	s_wait_dscnt 0x0
	v_add_nc_u32_e32 v15, v17, v15
	s_wait_alu 0xfffe
	s_and_not1_b32 exec_lo, exec_lo, s3
	s_cbranch_execnz .LBB53_132
; %bb.133:
	s_or_b32 exec_lo, exec_lo, s3
.LBB53_134:
	s_wait_alu 0xfffe
	s_or_b32 exec_lo, exec_lo, s1
	v_mad_co_u64_u32 v[2:3], null, v10, s2, v[2:3]
	v_mov_b32_e32 v5, 0
	s_mov_b32 s1, exec_lo
	s_delay_alu instid0(VALU_DEP_2) | instskip(NEXT) | instid1(VALU_DEP_3)
	v_mad_co_u64_u32 v[8:9], null, v11, s2, v[3:4]
	v_sub_co_u32 v9, vcc_lo, v12, v2
	s_wait_alu 0xfffd
	s_delay_alu instid0(VALU_DEP_2) | instskip(NEXT) | instid1(VALU_DEP_1)
	v_sub_co_ci_u32_e64 v10, null, v13, v8, vcc_lo
	v_cmpx_gt_i64_e64 v[9:10], v[4:5]
	s_cbranch_execz .LBB53_136
; %bb.135:
	v_lshl_add_u32 v2, v2, 2, v16
	ds_load_b32 v2, v2
	s_wait_dscnt 0x0
	v_add_nc_u32_e32 v15, v2, v15
.LBB53_136:
	s_wait_alu 0xfffe
	s_or_b32 exec_lo, exec_lo, s1
.LBB53_137:
	s_wait_alu 0xfffe
	s_or_b32 exec_lo, exec_lo, s0
	s_wait_storecnt 0x0
	s_barrier_signal -1
	s_barrier_wait -1
	global_inv scope:SCOPE_SE
	ds_store_b32 v14, v15
	s_wait_loadcnt_dscnt 0x0
	s_barrier_signal -1
	s_barrier_wait -1
	global_inv scope:SCOPE_SE
	s_mov_b32 s0, exec_lo
	v_cmpx_gt_i64_e64 s[22:23], v[0:1]
	s_cbranch_execz .LBB53_141
; %bb.138:
	v_mul_lo_u32 v1, s2, v0
	s_delay_alu instid0(VALU_DEP_1)
	v_dual_mov_b32 v1, 0 :: v_dual_lshlrev_b32 v2, 2, v1
.LBB53_139:                             ; =>This Inner Loop Header: Depth=1
	ds_load_b32 v3, v2
	v_add_nc_u32_e32 v2, 4, v2
	s_add_co_i32 s2, s2, -1
	s_wait_alu 0xfffe
	s_cmp_eq_u32 s2, 0
	s_wait_dscnt 0x0
	v_add_nc_u32_e32 v1, v3, v1
	s_cbranch_scc0 .LBB53_139
; %bb.140:
	v_lshlrev_b32_e32 v0, 2, v0
	s_lshl_b32 s0, s10, 2
	v_lshlrev_b64_e32 v[2:3], 2, v[6:7]
	s_wait_alu 0xfffe
	s_delay_alu instid0(VALU_DEP_2)
	v_add3_u32 v0, 0x1000, s0, v0
	ds_load_b32 v0, v0
	s_wait_dscnt 0x0
	v_add_nc_u32_e32 v4, v0, v1
	v_add_co_u32 v0, vcc_lo, s20, v2
	s_wait_alu 0xfffd
	v_add_co_ci_u32_e64 v1, null, s21, v3, vcc_lo
	global_atomic_add_u32 v[0:1], v4, off scope:SCOPE_DEV
.LBB53_141:
	s_endpgm
	.section	.rodata,"a",@progbits
	.p2align	6, 0x0
	.amdhsa_kernel _ZN9rocsparseL27csrmvn_symm_adaptive_kernelIllaaiiEEvbT_S1_PKS1_NS_24const_host_device_scalarIT4_EES3_PKT0_PKT1_PKT2_S6_PT3_21rocsparse_index_base_b
		.amdhsa_group_segment_fixed_size 4096
		.amdhsa_private_segment_fixed_size 0
		.amdhsa_kernarg_size 352
		.amdhsa_user_sgpr_count 2
		.amdhsa_user_sgpr_dispatch_ptr 0
		.amdhsa_user_sgpr_queue_ptr 0
		.amdhsa_user_sgpr_kernarg_segment_ptr 1
		.amdhsa_user_sgpr_dispatch_id 0
		.amdhsa_user_sgpr_private_segment_size 0
		.amdhsa_wavefront_size32 1
		.amdhsa_uses_dynamic_stack 0
		.amdhsa_enable_private_segment 0
		.amdhsa_system_sgpr_workgroup_id_x 1
		.amdhsa_system_sgpr_workgroup_id_y 0
		.amdhsa_system_sgpr_workgroup_id_z 0
		.amdhsa_system_sgpr_workgroup_info 0
		.amdhsa_system_vgpr_workitem_id 0
		.amdhsa_next_free_vgpr 22
		.amdhsa_next_free_sgpr 42
		.amdhsa_reserve_vcc 1
		.amdhsa_float_round_mode_32 0
		.amdhsa_float_round_mode_16_64 0
		.amdhsa_float_denorm_mode_32 3
		.amdhsa_float_denorm_mode_16_64 3
		.amdhsa_fp16_overflow 0
		.amdhsa_workgroup_processor_mode 1
		.amdhsa_memory_ordered 1
		.amdhsa_forward_progress 1
		.amdhsa_inst_pref_size 76
		.amdhsa_round_robin_scheduling 0
		.amdhsa_exception_fp_ieee_invalid_op 0
		.amdhsa_exception_fp_denorm_src 0
		.amdhsa_exception_fp_ieee_div_zero 0
		.amdhsa_exception_fp_ieee_overflow 0
		.amdhsa_exception_fp_ieee_underflow 0
		.amdhsa_exception_fp_ieee_inexact 0
		.amdhsa_exception_int_div_zero 0
	.end_amdhsa_kernel
	.section	.text._ZN9rocsparseL27csrmvn_symm_adaptive_kernelIllaaiiEEvbT_S1_PKS1_NS_24const_host_device_scalarIT4_EES3_PKT0_PKT1_PKT2_S6_PT3_21rocsparse_index_base_b,"axG",@progbits,_ZN9rocsparseL27csrmvn_symm_adaptive_kernelIllaaiiEEvbT_S1_PKS1_NS_24const_host_device_scalarIT4_EES3_PKT0_PKT1_PKT2_S6_PT3_21rocsparse_index_base_b,comdat
.Lfunc_end53:
	.size	_ZN9rocsparseL27csrmvn_symm_adaptive_kernelIllaaiiEEvbT_S1_PKS1_NS_24const_host_device_scalarIT4_EES3_PKT0_PKT1_PKT2_S6_PT3_21rocsparse_index_base_b, .Lfunc_end53-_ZN9rocsparseL27csrmvn_symm_adaptive_kernelIllaaiiEEvbT_S1_PKS1_NS_24const_host_device_scalarIT4_EES3_PKT0_PKT1_PKT2_S6_PT3_21rocsparse_index_base_b
                                        ; -- End function
	.set _ZN9rocsparseL27csrmvn_symm_adaptive_kernelIllaaiiEEvbT_S1_PKS1_NS_24const_host_device_scalarIT4_EES3_PKT0_PKT1_PKT2_S6_PT3_21rocsparse_index_base_b.num_vgpr, 22
	.set _ZN9rocsparseL27csrmvn_symm_adaptive_kernelIllaaiiEEvbT_S1_PKS1_NS_24const_host_device_scalarIT4_EES3_PKT0_PKT1_PKT2_S6_PT3_21rocsparse_index_base_b.num_agpr, 0
	.set _ZN9rocsparseL27csrmvn_symm_adaptive_kernelIllaaiiEEvbT_S1_PKS1_NS_24const_host_device_scalarIT4_EES3_PKT0_PKT1_PKT2_S6_PT3_21rocsparse_index_base_b.numbered_sgpr, 42
	.set _ZN9rocsparseL27csrmvn_symm_adaptive_kernelIllaaiiEEvbT_S1_PKS1_NS_24const_host_device_scalarIT4_EES3_PKT0_PKT1_PKT2_S6_PT3_21rocsparse_index_base_b.num_named_barrier, 0
	.set _ZN9rocsparseL27csrmvn_symm_adaptive_kernelIllaaiiEEvbT_S1_PKS1_NS_24const_host_device_scalarIT4_EES3_PKT0_PKT1_PKT2_S6_PT3_21rocsparse_index_base_b.private_seg_size, 0
	.set _ZN9rocsparseL27csrmvn_symm_adaptive_kernelIllaaiiEEvbT_S1_PKS1_NS_24const_host_device_scalarIT4_EES3_PKT0_PKT1_PKT2_S6_PT3_21rocsparse_index_base_b.uses_vcc, 1
	.set _ZN9rocsparseL27csrmvn_symm_adaptive_kernelIllaaiiEEvbT_S1_PKS1_NS_24const_host_device_scalarIT4_EES3_PKT0_PKT1_PKT2_S6_PT3_21rocsparse_index_base_b.uses_flat_scratch, 0
	.set _ZN9rocsparseL27csrmvn_symm_adaptive_kernelIllaaiiEEvbT_S1_PKS1_NS_24const_host_device_scalarIT4_EES3_PKT0_PKT1_PKT2_S6_PT3_21rocsparse_index_base_b.has_dyn_sized_stack, 0
	.set _ZN9rocsparseL27csrmvn_symm_adaptive_kernelIllaaiiEEvbT_S1_PKS1_NS_24const_host_device_scalarIT4_EES3_PKT0_PKT1_PKT2_S6_PT3_21rocsparse_index_base_b.has_recursion, 0
	.set _ZN9rocsparseL27csrmvn_symm_adaptive_kernelIllaaiiEEvbT_S1_PKS1_NS_24const_host_device_scalarIT4_EES3_PKT0_PKT1_PKT2_S6_PT3_21rocsparse_index_base_b.has_indirect_call, 0
	.section	.AMDGPU.csdata,"",@progbits
; Kernel info:
; codeLenInByte = 9628
; TotalNumSgprs: 44
; NumVgprs: 22
; ScratchSize: 0
; MemoryBound: 0
; FloatMode: 240
; IeeeMode: 1
; LDSByteSize: 4096 bytes/workgroup (compile time only)
; SGPRBlocks: 0
; VGPRBlocks: 2
; NumSGPRsForWavesPerEU: 44
; NumVGPRsForWavesPerEU: 22
; Occupancy: 16
; WaveLimiterHint : 1
; COMPUTE_PGM_RSRC2:SCRATCH_EN: 0
; COMPUTE_PGM_RSRC2:USER_SGPR: 2
; COMPUTE_PGM_RSRC2:TRAP_HANDLER: 0
; COMPUTE_PGM_RSRC2:TGID_X_EN: 1
; COMPUTE_PGM_RSRC2:TGID_Y_EN: 0
; COMPUTE_PGM_RSRC2:TGID_Z_EN: 0
; COMPUTE_PGM_RSRC2:TIDIG_COMP_CNT: 0
	.section	.text._ZL33csrmvn_symm_large_adaptive_kernelIllaaiiEvbT_PKS0_N9rocsparse24const_host_device_scalarIT4_EES2_PKT0_PKT1_PKT2_S6_PT3_21rocsparse_index_base_b,"axG",@progbits,_ZL33csrmvn_symm_large_adaptive_kernelIllaaiiEvbT_PKS0_N9rocsparse24const_host_device_scalarIT4_EES2_PKT0_PKT1_PKT2_S6_PT3_21rocsparse_index_base_b,comdat
	.globl	_ZL33csrmvn_symm_large_adaptive_kernelIllaaiiEvbT_PKS0_N9rocsparse24const_host_device_scalarIT4_EES2_PKT0_PKT1_PKT2_S6_PT3_21rocsparse_index_base_b ; -- Begin function _ZL33csrmvn_symm_large_adaptive_kernelIllaaiiEvbT_PKS0_N9rocsparse24const_host_device_scalarIT4_EES2_PKT0_PKT1_PKT2_S6_PT3_21rocsparse_index_base_b
	.p2align	8
	.type	_ZL33csrmvn_symm_large_adaptive_kernelIllaaiiEvbT_PKS0_N9rocsparse24const_host_device_scalarIT4_EES2_PKT0_PKT1_PKT2_S6_PT3_21rocsparse_index_base_b,@function
_ZL33csrmvn_symm_large_adaptive_kernelIllaaiiEvbT_PKS0_N9rocsparse24const_host_device_scalarIT4_EES2_PKT0_PKT1_PKT2_S6_PT3_21rocsparse_index_base_b: ; @_ZL33csrmvn_symm_large_adaptive_kernelIllaaiiEvbT_PKS0_N9rocsparse24const_host_device_scalarIT4_EES2_PKT0_PKT1_PKT2_S6_PT3_21rocsparse_index_base_b
; %bb.0:
	s_clause 0x1
	s_load_b64 s[6:7], s[0:1], 0x50
	s_load_b64 s[4:5], s[0:1], 0x18
	s_mov_b32 s8, -1
                                        ; implicit-def: $sgpr26
	s_wait_kmcnt 0x0
	s_bitcmp1_b32 s7, 0
	s_cselect_b32 s2, -1, 0
	s_delay_alu instid0(SALU_CYCLE_1) | instskip(NEXT) | instid1(SALU_CYCLE_1)
	s_xor_b32 s7, s2, -1
	s_and_b32 vcc_lo, exec_lo, s7
	s_cbranch_vccnz .LBB54_4
; %bb.1:
	s_load_b64 s[2:3], s[0:1], 0x40
	s_and_not1_b32 vcc_lo, exec_lo, s8
	s_cbranch_vccz .LBB54_5
.LBB54_2:
	s_and_b32 vcc_lo, exec_lo, s7
	s_cbranch_vccz .LBB54_6
.LBB54_3:
	s_wait_kmcnt 0x0
	s_load_b32 s3, s[2:3], 0x0
	s_cbranch_execz .LBB54_7
	s_branch .LBB54_8
.LBB54_4:
	s_load_b32 s26, s[4:5], 0x0
	s_load_b64 s[2:3], s[0:1], 0x40
	s_cbranch_execnz .LBB54_2
.LBB54_5:
	s_wait_kmcnt 0x0
	s_mov_b32 s26, s4
	s_and_b32 vcc_lo, exec_lo, s7
	s_cbranch_vccnz .LBB54_3
.LBB54_6:
                                        ; implicit-def: $sgpr3
.LBB54_7:
	s_wait_kmcnt 0x0
	s_mov_b32 s3, s2
.LBB54_8:
	s_wait_kmcnt 0x0
	s_cmp_lg_u32 s26, 0
	s_mov_b32 s7, 0
	s_cselect_b32 s2, -1, 0
	s_cmp_lg_u32 s3, 1
	s_cselect_b32 s3, -1, 0
	s_delay_alu instid0(SALU_CYCLE_1) | instskip(NEXT) | instid1(SALU_CYCLE_1)
	s_or_b32 s2, s2, s3
	s_and_not1_b32 vcc_lo, exec_lo, s2
	s_cbranch_vccnz .LBB54_38
; %bb.9:
	s_load_b64 s[4:5], s[0:1], 0x10
	s_mov_b32 s2, ttmp9
	s_ashr_i32 s3, ttmp9, 31
	v_dual_mov_b32 v5, 0 :: v_dual_lshlrev_b32 v4, 2, v0
	s_lshl_b64 s[2:3], s[2:3], 3
	ds_store_2addr_stride64_b32 v4, v5, v5 offset1:4
	ds_store_2addr_stride64_b32 v4, v5, v5 offset0:8 offset1:12
	s_wait_dscnt 0x0
	s_barrier_signal -1
	s_barrier_wait -1
	global_inv scope:SCOPE_SE
	s_wait_kmcnt 0x0
	s_add_nc_u64 s[2:3], s[4:5], s[2:3]
	s_load_b128 s[16:19], s[2:3], 0x0
	s_clause 0x1
	s_load_b256 s[8:15], s[0:1], 0x20
	s_load_b64 s[20:21], s[0:1], 0x48
	v_sub_co_u32 v6, s1, v0, s6
	s_delay_alu instid0(VALU_DEP_1)
	v_sub_co_ci_u32_e64 v7, null, 0, 0, s1
	s_wait_kmcnt 0x0
	v_cmp_ge_i64_e64 s0, s[16:17], s[18:19]
	s_and_b32 vcc_lo, exec_lo, s0
	s_cbranch_vccnz .LBB54_29
; %bb.10:
	v_cmp_gt_u32_e64 s0, 0x100, v0
	v_cmp_gt_u32_e64 s1, 64, v0
	;; [unrolled: 1-line block ×4, first 2 shown]
	v_cmp_eq_u32_e64 s4, 0, v0
	s_mov_b64 s[22:23], s[16:17]
	s_branch .LBB54_12
.LBB54_11:                              ;   in Loop: Header=BB54_12 Depth=1
	s_wait_alu 0xfffe
	s_or_b32 exec_lo, exec_lo, s5
	s_add_nc_u64 s[22:23], s[22:23], 1
	s_wait_alu 0xfffe
	v_cmp_ge_i64_e64 s5, s[22:23], s[18:19]
	s_and_b32 vcc_lo, exec_lo, s5
	s_wait_alu 0xfffe
	s_cbranch_vccnz .LBB54_29
.LBB54_12:                              ; =>This Loop Header: Depth=1
                                        ;     Child Loop BB54_14 Depth 2
	s_lshl_b64 s[24:25], s[22:23], 3
	v_mov_b32_e32 v8, 0
	s_wait_alu 0xfffe
	s_add_nc_u64 s[24:25], s[8:9], s[24:25]
	s_mov_b32 s27, exec_lo
	s_load_b128 s[28:31], s[24:25], 0x0
	s_wait_kmcnt 0x0
	v_add_co_u32 v0, vcc_lo, s28, v6
	s_wait_alu 0xfffd
	v_add_co_ci_u32_e64 v1, null, s29, v7, vcc_lo
	s_sub_nc_u64 s[24:25], s[30:31], s[6:7]
	s_wait_alu 0xfffe
	v_cmpx_gt_i64_e64 s[24:25], v[0:1]
	s_cbranch_execz .LBB54_16
; %bb.13:                               ;   in Loop: Header=BB54_12 Depth=1
	v_lshlrev_b64_e32 v[2:3], 3, v[0:1]
	v_mov_b32_e32 v8, 0
	s_mov_b32 s28, 0
	s_delay_alu instid0(VALU_DEP_2) | instskip(SKIP_1) | instid1(VALU_DEP_3)
	v_add_co_u32 v2, vcc_lo, s10, v2
	s_wait_alu 0xfffd
	v_add_co_ci_u32_e64 v3, null, s11, v3, vcc_lo
.LBB54_14:                              ;   Parent Loop BB54_12 Depth=1
                                        ; =>  This Inner Loop Header: Depth=2
	global_load_b64 v[9:10], v[2:3], off
	v_add_co_u32 v11, vcc_lo, s12, v0
	s_wait_alu 0xfffd
	v_add_co_ci_u32_e64 v12, null, s13, v1, vcc_lo
	s_wait_loadcnt 0x0
	v_sub_co_u32 v9, s5, v9, s6
	s_wait_alu 0xf1ff
	v_subrev_co_ci_u32_e64 v10, null, 0, v10, s5
	v_add_co_u32 v2, s5, 0x800, v2
	s_delay_alu instid0(VALU_DEP_3) | instskip(SKIP_1) | instid1(VALU_DEP_3)
	v_add_co_u32 v9, vcc_lo, s14, v9
	s_wait_alu 0xfffd
	v_add_co_ci_u32_e64 v10, null, s15, v10, vcc_lo
	v_add_co_u32 v0, vcc_lo, 0x100, v0
	global_load_i8 v11, v[11:12], off
	global_load_i8 v9, v[9:10], off
	s_wait_alu 0xfffd
	v_add_co_ci_u32_e64 v1, null, 0, v1, vcc_lo
	s_wait_alu 0xf1ff
	v_add_co_ci_u32_e64 v3, null, 0, v3, s5
	s_delay_alu instid0(VALU_DEP_2)
	v_cmp_le_i64_e32 vcc_lo, s[24:25], v[0:1]
	s_wait_alu 0xfffe
	s_or_b32 s28, vcc_lo, s28
	s_wait_loadcnt 0x0
	v_mad_i32_i24 v8, v9, v11, v8
	s_wait_alu 0xfffe
	s_and_not1_b32 exec_lo, exec_lo, s28
	s_cbranch_execnz .LBB54_14
; %bb.15:                               ;   in Loop: Header=BB54_12 Depth=1
	s_or_b32 exec_lo, exec_lo, s28
.LBB54_16:                              ;   in Loop: Header=BB54_12 Depth=1
	s_delay_alu instid0(SALU_CYCLE_1)
	s_or_b32 exec_lo, exec_lo, s27
	ds_store_b32 v4, v8
	s_wait_loadcnt_dscnt 0x0
	s_barrier_signal -1
	s_barrier_wait -1
	global_inv scope:SCOPE_SE
	s_and_saveexec_b32 s5, s0
	s_cbranch_execz .LBB54_18
; %bb.17:                               ;   in Loop: Header=BB54_12 Depth=1
	ds_load_2addr_stride64_b32 v[0:1], v4 offset1:4
	ds_load_2addr_stride64_b32 v[2:3], v4 offset0:8 offset1:12
	s_wait_dscnt 0x0
	v_add_nc_u32_e32 v1, v2, v1
	s_delay_alu instid0(VALU_DEP_1)
	v_add3_u32 v0, v1, v3, v0
	ds_store_b32 v4, v0
.LBB54_18:                              ;   in Loop: Header=BB54_12 Depth=1
	s_wait_alu 0xfffe
	s_or_b32 exec_lo, exec_lo, s5
	s_wait_loadcnt_dscnt 0x0
	s_barrier_signal -1
	s_barrier_wait -1
	global_inv scope:SCOPE_SE
	s_and_saveexec_b32 s5, s1
	s_cbranch_execz .LBB54_20
; %bb.19:                               ;   in Loop: Header=BB54_12 Depth=1
	ds_load_2addr_stride64_b32 v[0:1], v4 offset1:1
	ds_load_2addr_stride64_b32 v[2:3], v4 offset0:2 offset1:3
	s_wait_dscnt 0x0
	v_add_nc_u32_e32 v1, v2, v1
	s_delay_alu instid0(VALU_DEP_1)
	v_add3_u32 v0, v1, v3, v0
	ds_store_b32 v4, v0
.LBB54_20:                              ;   in Loop: Header=BB54_12 Depth=1
	s_wait_alu 0xfffe
	s_or_b32 exec_lo, exec_lo, s5
	s_wait_loadcnt_dscnt 0x0
	s_barrier_signal -1
	s_barrier_wait -1
	global_inv scope:SCOPE_SE
	s_and_saveexec_b32 s5, s2
	s_cbranch_execz .LBB54_22
; %bb.21:                               ;   in Loop: Header=BB54_12 Depth=1
	ds_load_2addr_b32 v[0:1], v4 offset1:16
	ds_load_2addr_b32 v[2:3], v4 offset0:32 offset1:48
	s_wait_dscnt 0x0
	v_add_nc_u32_e32 v1, v2, v1
	s_delay_alu instid0(VALU_DEP_1)
	v_add3_u32 v0, v1, v3, v0
	ds_store_b32 v4, v0
.LBB54_22:                              ;   in Loop: Header=BB54_12 Depth=1
	s_wait_alu 0xfffe
	s_or_b32 exec_lo, exec_lo, s5
	s_wait_loadcnt_dscnt 0x0
	s_barrier_signal -1
	s_barrier_wait -1
	global_inv scope:SCOPE_SE
	s_and_saveexec_b32 s5, s3
	s_cbranch_execz .LBB54_24
; %bb.23:                               ;   in Loop: Header=BB54_12 Depth=1
	ds_load_2addr_b32 v[0:1], v4 offset1:4
	ds_load_2addr_b32 v[2:3], v4 offset0:8 offset1:12
	s_wait_dscnt 0x0
	v_add_nc_u32_e32 v1, v2, v1
	s_delay_alu instid0(VALU_DEP_1)
	v_add3_u32 v0, v1, v3, v0
	ds_store_b32 v4, v0
.LBB54_24:                              ;   in Loop: Header=BB54_12 Depth=1
	s_wait_alu 0xfffe
	s_or_b32 exec_lo, exec_lo, s5
	s_wait_loadcnt_dscnt 0x0
	s_barrier_signal -1
	s_barrier_wait -1
	global_inv scope:SCOPE_SE
	s_and_saveexec_b32 s5, s4
	s_cbranch_execz .LBB54_26
; %bb.25:                               ;   in Loop: Header=BB54_12 Depth=1
	ds_load_2addr_b32 v[0:1], v5 offset0:1 offset1:2
	ds_load_b32 v2, v5 offset:12
	ds_load_b32 v3, v4
	s_wait_dscnt 0x2
	v_add_nc_u32_e32 v0, v1, v0
	s_wait_dscnt 0x0
	s_delay_alu instid0(VALU_DEP_1)
	v_add3_u32 v0, v0, v2, v3
	ds_store_b32 v4, v0
.LBB54_26:                              ;   in Loop: Header=BB54_12 Depth=1
	s_wait_alu 0xfffe
	s_or_b32 exec_lo, exec_lo, s5
	s_wait_loadcnt_dscnt 0x0
	s_barrier_signal -1
	s_barrier_wait -1
	global_inv scope:SCOPE_SE
	s_and_saveexec_b32 s5, s4
	s_cbranch_execz .LBB54_11
; %bb.27:                               ;   in Loop: Header=BB54_12 Depth=1
	s_mov_b32 s24, exec_lo
	s_wait_alu 0xfffe
	v_mbcnt_lo_u32_b32 v0, s24, 0
	s_delay_alu instid0(VALU_DEP_1)
	v_cmp_eq_u32_e32 vcc_lo, 0, v0
	s_and_b32 s25, exec_lo, vcc_lo
	s_wait_alu 0xfffe
	s_mov_b32 exec_lo, s25
	s_cbranch_execz .LBB54_11
; %bb.28:                               ;   in Loop: Header=BB54_12 Depth=1
	ds_load_b32 v0, v5
	s_bcnt1_i32_b32 s24, s24
	s_wait_dscnt 0x0
	v_mul_lo_u32 v0, v0, s26
	s_wait_alu 0xfffe
	s_delay_alu instid0(VALU_DEP_1)
	v_mul_lo_u32 v0, v0, s24
	s_lshl_b64 s[24:25], s[22:23], 2
	s_wait_alu 0xfffe
	s_add_nc_u64 s[24:25], s[20:21], s[24:25]
	global_atomic_add_u32 v5, v0, s[24:25] scope:SCOPE_DEV
	s_branch .LBB54_11
.LBB54_29:
	s_lshl_b64 s[0:1], s[16:17], 3
	s_lshl_b64 s[2:3], s[18:19], 3
	s_wait_alu 0xfffe
	s_add_nc_u64 s[0:1], s[8:9], s[0:1]
	s_add_nc_u64 s[2:3], s[8:9], s[2:3]
	s_clause 0x1
	s_load_b64 s[0:1], s[0:1], 0x0
	s_load_b64 s[2:3], s[2:3], 0x0
	s_wait_kmcnt 0x0
	v_add_co_u32 v0, vcc_lo, s0, v6
	s_wait_alu 0xfffd
	v_add_co_ci_u32_e64 v1, null, s1, v7, vcc_lo
	s_sub_nc_u64 s[2:3], s[2:3], s[6:7]
	s_mov_b32 s0, exec_lo
	v_cmpx_gt_i64_e64 s[2:3], v[0:1]
	s_cbranch_execz .LBB54_38
; %bb.30:
	s_add_nc_u64 s[4:5], s[18:19], -1
	s_add_nc_u64 s[0:1], s[18:19], -2
	s_wait_alu 0xfffe
	v_cmp_lt_i64_e64 s7, s[16:17], s[4:5]
	s_cmp_lg_u64 s[16:17], s[0:1]
	s_cselect_b32 s0, -1, 0
	s_wait_alu 0xfffe
	s_and_b32 s1, s7, s0
	s_mov_b32 s7, 0
	s_branch .LBB54_32
.LBB54_31:                              ;   in Loop: Header=BB54_32 Depth=1
	s_wait_alu 0xfffe
	s_or_b32 exec_lo, exec_lo, s0
	v_add_co_u32 v0, vcc_lo, 0x100, v0
	s_wait_alu 0xfffd
	v_add_co_ci_u32_e64 v1, null, 0, v1, vcc_lo
	s_delay_alu instid0(VALU_DEP_1)
	v_cmp_le_i64_e32 vcc_lo, s[2:3], v[0:1]
	s_or_b32 s7, vcc_lo, s7
	s_wait_alu 0xfffe
	s_and_not1_b32 exec_lo, exec_lo, s7
	s_cbranch_execz .LBB54_38
.LBB54_32:                              ; =>This Loop Header: Depth=1
                                        ;     Child Loop BB54_34 Depth 2
	v_dual_mov_b32 v2, s16 :: v_dual_mov_b32 v3, s17
	v_dual_mov_b32 v4, s4 :: v_dual_mov_b32 v5, s5
	s_wait_alu 0xfffe
	s_and_not1_b32 vcc_lo, exec_lo, s1
	s_wait_alu 0xfffe
	s_cbranch_vccnz .LBB54_36
; %bb.33:                               ;   in Loop: Header=BB54_32 Depth=1
	v_dual_mov_b32 v2, s16 :: v_dual_mov_b32 v3, s17
	v_dual_mov_b32 v4, s4 :: v_dual_mov_b32 v5, s5
	s_mov_b32 s18, 0
.LBB54_34:                              ;   Parent Loop BB54_32 Depth=1
                                        ; =>  This Inner Loop Header: Depth=2
	s_delay_alu instid0(VALU_DEP_1) | instskip(SKIP_1) | instid1(VALU_DEP_2)
	v_add_co_u32 v6, vcc_lo, v4, v2
	s_wait_alu 0xfffd
	v_add_co_ci_u32_e64 v7, null, v5, v3, vcc_lo
	s_delay_alu instid0(VALU_DEP_1) | instskip(NEXT) | instid1(VALU_DEP_1)
	v_lshrrev_b32_e32 v8, 31, v7
	v_add_co_u32 v6, vcc_lo, v6, v8
	s_wait_alu 0xfffd
	v_add_co_ci_u32_e64 v7, null, 0, v7, vcc_lo
	s_delay_alu instid0(VALU_DEP_1) | instskip(NEXT) | instid1(VALU_DEP_1)
	v_ashrrev_i64 v[6:7], 1, v[6:7]
	v_lshlrev_b64_e32 v[8:9], 3, v[6:7]
	s_delay_alu instid0(VALU_DEP_1) | instskip(SKIP_1) | instid1(VALU_DEP_2)
	v_add_co_u32 v8, vcc_lo, s8, v8
	s_wait_alu 0xfffd
	v_add_co_ci_u32_e64 v9, null, s9, v9, vcc_lo
	global_load_b64 v[8:9], v[8:9], off
	s_wait_loadcnt 0x0
	v_sub_co_u32 v8, vcc_lo, v8, s6
	s_wait_alu 0xfffd
	v_subrev_co_ci_u32_e64 v9, null, 0, v9, vcc_lo
	s_delay_alu instid0(VALU_DEP_1) | instskip(SKIP_3) | instid1(VALU_DEP_2)
	v_cmp_lt_i64_e32 vcc_lo, v[0:1], v[8:9]
	s_wait_alu 0xfffd
	v_dual_cndmask_b32 v5, v5, v7 :: v_dual_cndmask_b32 v4, v4, v6
	v_dual_cndmask_b32 v3, v7, v3 :: v_dual_cndmask_b32 v2, v6, v2
	v_add_co_u32 v6, vcc_lo, v4, -1
	s_wait_alu 0xfffd
	s_delay_alu instid0(VALU_DEP_3) | instskip(NEXT) | instid1(VALU_DEP_3)
	v_add_co_ci_u32_e64 v7, null, -1, v5, vcc_lo
	v_cmp_ge_i64_e32 vcc_lo, v[2:3], v[4:5]
	s_delay_alu instid0(VALU_DEP_2)
	v_cmp_eq_u64_e64 s0, v[2:3], v[6:7]
	s_or_b32 s0, vcc_lo, s0
	s_wait_alu 0xfffe
	s_and_b32 s0, exec_lo, s0
	s_wait_alu 0xfffe
	s_or_b32 s18, s0, s18
	s_wait_alu 0xfffe
	s_and_not1_b32 exec_lo, exec_lo, s18
	s_cbranch_execnz .LBB54_34
; %bb.35:                               ;   in Loop: Header=BB54_32 Depth=1
	s_or_b32 exec_lo, exec_lo, s18
.LBB54_36:                              ;   in Loop: Header=BB54_32 Depth=1
	v_lshlrev_b64_e32 v[6:7], 3, v[4:5]
	v_lshlrev_b64_e32 v[8:9], 3, v[0:1]
	s_mov_b32 s0, exec_lo
	s_delay_alu instid0(VALU_DEP_2) | instskip(SKIP_1) | instid1(VALU_DEP_3)
	v_add_co_u32 v6, vcc_lo, s8, v6
	s_wait_alu 0xfffd
	v_add_co_ci_u32_e64 v7, null, s9, v7, vcc_lo
	s_delay_alu instid0(VALU_DEP_3)
	v_add_co_u32 v8, vcc_lo, s10, v8
	s_wait_alu 0xfffd
	v_add_co_ci_u32_e64 v9, null, s11, v9, vcc_lo
	global_load_b64 v[6:7], v[6:7], off
	global_load_b64 v[8:9], v[8:9], off
	s_wait_loadcnt 0x1
	v_sub_co_u32 v6, vcc_lo, v6, s6
	s_wait_alu 0xfffd
	v_subrev_co_ci_u32_e64 v7, null, 0, v7, vcc_lo
	s_delay_alu instid0(VALU_DEP_1)
	v_cmp_lt_i64_e32 vcc_lo, v[0:1], v[6:7]
	s_wait_alu 0xfffd
	v_dual_cndmask_b32 v5, v5, v3 :: v_dual_cndmask_b32 v4, v4, v2
	s_wait_loadcnt 0x0
	v_sub_co_u32 v2, vcc_lo, v8, s6
	s_wait_alu 0xfffd
	v_subrev_co_ci_u32_e64 v3, null, 0, v9, vcc_lo
	s_delay_alu instid0(VALU_DEP_1)
	v_cmpx_ne_u64_e64 v[2:3], v[4:5]
	s_cbranch_execz .LBB54_31
; %bb.37:                               ;   in Loop: Header=BB54_32 Depth=1
	v_add_co_u32 v6, vcc_lo, s12, v0
	s_wait_alu 0xfffd
	v_add_co_ci_u32_e64 v7, null, s13, v1, vcc_lo
	v_add_co_u32 v4, vcc_lo, s14, v4
	s_wait_alu 0xfffd
	v_add_co_ci_u32_e64 v5, null, s15, v5, vcc_lo
	global_load_i8 v6, v[6:7], off
	v_lshlrev_b64_e32 v[2:3], 2, v[2:3]
	global_load_i8 v4, v[4:5], off
	v_add_co_u32 v2, vcc_lo, s20, v2
	s_wait_alu 0xfffd
	v_add_co_ci_u32_e64 v3, null, s21, v3, vcc_lo
	s_wait_loadcnt 0x1
	v_mul_lo_u32 v5, s26, v6
	s_wait_loadcnt 0x0
	s_delay_alu instid0(VALU_DEP_1)
	v_mul_lo_u32 v4, v5, v4
	global_atomic_add_u32 v[2:3], v4, off scope:SCOPE_DEV
	s_branch .LBB54_31
.LBB54_38:
	s_endpgm
	.section	.rodata,"a",@progbits
	.p2align	6, 0x0
	.amdhsa_kernel _ZL33csrmvn_symm_large_adaptive_kernelIllaaiiEvbT_PKS0_N9rocsparse24const_host_device_scalarIT4_EES2_PKT0_PKT1_PKT2_S6_PT3_21rocsparse_index_base_b
		.amdhsa_group_segment_fixed_size 4096
		.amdhsa_private_segment_fixed_size 0
		.amdhsa_kernarg_size 88
		.amdhsa_user_sgpr_count 2
		.amdhsa_user_sgpr_dispatch_ptr 0
		.amdhsa_user_sgpr_queue_ptr 0
		.amdhsa_user_sgpr_kernarg_segment_ptr 1
		.amdhsa_user_sgpr_dispatch_id 0
		.amdhsa_user_sgpr_private_segment_size 0
		.amdhsa_wavefront_size32 1
		.amdhsa_uses_dynamic_stack 0
		.amdhsa_enable_private_segment 0
		.amdhsa_system_sgpr_workgroup_id_x 1
		.amdhsa_system_sgpr_workgroup_id_y 0
		.amdhsa_system_sgpr_workgroup_id_z 0
		.amdhsa_system_sgpr_workgroup_info 0
		.amdhsa_system_vgpr_workitem_id 0
		.amdhsa_next_free_vgpr 13
		.amdhsa_next_free_sgpr 32
		.amdhsa_reserve_vcc 1
		.amdhsa_float_round_mode_32 0
		.amdhsa_float_round_mode_16_64 0
		.amdhsa_float_denorm_mode_32 3
		.amdhsa_float_denorm_mode_16_64 3
		.amdhsa_fp16_overflow 0
		.amdhsa_workgroup_processor_mode 1
		.amdhsa_memory_ordered 1
		.amdhsa_forward_progress 1
		.amdhsa_inst_pref_size 17
		.amdhsa_round_robin_scheduling 0
		.amdhsa_exception_fp_ieee_invalid_op 0
		.amdhsa_exception_fp_denorm_src 0
		.amdhsa_exception_fp_ieee_div_zero 0
		.amdhsa_exception_fp_ieee_overflow 0
		.amdhsa_exception_fp_ieee_underflow 0
		.amdhsa_exception_fp_ieee_inexact 0
		.amdhsa_exception_int_div_zero 0
	.end_amdhsa_kernel
	.section	.text._ZL33csrmvn_symm_large_adaptive_kernelIllaaiiEvbT_PKS0_N9rocsparse24const_host_device_scalarIT4_EES2_PKT0_PKT1_PKT2_S6_PT3_21rocsparse_index_base_b,"axG",@progbits,_ZL33csrmvn_symm_large_adaptive_kernelIllaaiiEvbT_PKS0_N9rocsparse24const_host_device_scalarIT4_EES2_PKT0_PKT1_PKT2_S6_PT3_21rocsparse_index_base_b,comdat
.Lfunc_end54:
	.size	_ZL33csrmvn_symm_large_adaptive_kernelIllaaiiEvbT_PKS0_N9rocsparse24const_host_device_scalarIT4_EES2_PKT0_PKT1_PKT2_S6_PT3_21rocsparse_index_base_b, .Lfunc_end54-_ZL33csrmvn_symm_large_adaptive_kernelIllaaiiEvbT_PKS0_N9rocsparse24const_host_device_scalarIT4_EES2_PKT0_PKT1_PKT2_S6_PT3_21rocsparse_index_base_b
                                        ; -- End function
	.set _ZL33csrmvn_symm_large_adaptive_kernelIllaaiiEvbT_PKS0_N9rocsparse24const_host_device_scalarIT4_EES2_PKT0_PKT1_PKT2_S6_PT3_21rocsparse_index_base_b.num_vgpr, 13
	.set _ZL33csrmvn_symm_large_adaptive_kernelIllaaiiEvbT_PKS0_N9rocsparse24const_host_device_scalarIT4_EES2_PKT0_PKT1_PKT2_S6_PT3_21rocsparse_index_base_b.num_agpr, 0
	.set _ZL33csrmvn_symm_large_adaptive_kernelIllaaiiEvbT_PKS0_N9rocsparse24const_host_device_scalarIT4_EES2_PKT0_PKT1_PKT2_S6_PT3_21rocsparse_index_base_b.numbered_sgpr, 32
	.set _ZL33csrmvn_symm_large_adaptive_kernelIllaaiiEvbT_PKS0_N9rocsparse24const_host_device_scalarIT4_EES2_PKT0_PKT1_PKT2_S6_PT3_21rocsparse_index_base_b.num_named_barrier, 0
	.set _ZL33csrmvn_symm_large_adaptive_kernelIllaaiiEvbT_PKS0_N9rocsparse24const_host_device_scalarIT4_EES2_PKT0_PKT1_PKT2_S6_PT3_21rocsparse_index_base_b.private_seg_size, 0
	.set _ZL33csrmvn_symm_large_adaptive_kernelIllaaiiEvbT_PKS0_N9rocsparse24const_host_device_scalarIT4_EES2_PKT0_PKT1_PKT2_S6_PT3_21rocsparse_index_base_b.uses_vcc, 1
	.set _ZL33csrmvn_symm_large_adaptive_kernelIllaaiiEvbT_PKS0_N9rocsparse24const_host_device_scalarIT4_EES2_PKT0_PKT1_PKT2_S6_PT3_21rocsparse_index_base_b.uses_flat_scratch, 0
	.set _ZL33csrmvn_symm_large_adaptive_kernelIllaaiiEvbT_PKS0_N9rocsparse24const_host_device_scalarIT4_EES2_PKT0_PKT1_PKT2_S6_PT3_21rocsparse_index_base_b.has_dyn_sized_stack, 0
	.set _ZL33csrmvn_symm_large_adaptive_kernelIllaaiiEvbT_PKS0_N9rocsparse24const_host_device_scalarIT4_EES2_PKT0_PKT1_PKT2_S6_PT3_21rocsparse_index_base_b.has_recursion, 0
	.set _ZL33csrmvn_symm_large_adaptive_kernelIllaaiiEvbT_PKS0_N9rocsparse24const_host_device_scalarIT4_EES2_PKT0_PKT1_PKT2_S6_PT3_21rocsparse_index_base_b.has_indirect_call, 0
	.section	.AMDGPU.csdata,"",@progbits
; Kernel info:
; codeLenInByte = 2076
; TotalNumSgprs: 34
; NumVgprs: 13
; ScratchSize: 0
; MemoryBound: 0
; FloatMode: 240
; IeeeMode: 1
; LDSByteSize: 4096 bytes/workgroup (compile time only)
; SGPRBlocks: 0
; VGPRBlocks: 1
; NumSGPRsForWavesPerEU: 34
; NumVGPRsForWavesPerEU: 13
; Occupancy: 16
; WaveLimiterHint : 1
; COMPUTE_PGM_RSRC2:SCRATCH_EN: 0
; COMPUTE_PGM_RSRC2:USER_SGPR: 2
; COMPUTE_PGM_RSRC2:TRAP_HANDLER: 0
; COMPUTE_PGM_RSRC2:TGID_X_EN: 1
; COMPUTE_PGM_RSRC2:TGID_Y_EN: 0
; COMPUTE_PGM_RSRC2:TGID_Z_EN: 0
; COMPUTE_PGM_RSRC2:TIDIG_COMP_CNT: 0
	.section	.text._ZN9rocsparseL22csrmvn_adaptive_kernelIiiaaffEEvbT_PKS1_PjPKT0_NS_24const_host_device_scalarIT4_EES3_S7_PKT1_PKT2_SA_PT3_21rocsparse_index_base_b,"axG",@progbits,_ZN9rocsparseL22csrmvn_adaptive_kernelIiiaaffEEvbT_PKS1_PjPKT0_NS_24const_host_device_scalarIT4_EES3_S7_PKT1_PKT2_SA_PT3_21rocsparse_index_base_b,comdat
	.globl	_ZN9rocsparseL22csrmvn_adaptive_kernelIiiaaffEEvbT_PKS1_PjPKT0_NS_24const_host_device_scalarIT4_EES3_S7_PKT1_PKT2_SA_PT3_21rocsparse_index_base_b ; -- Begin function _ZN9rocsparseL22csrmvn_adaptive_kernelIiiaaffEEvbT_PKS1_PjPKT0_NS_24const_host_device_scalarIT4_EES3_S7_PKT1_PKT2_SA_PT3_21rocsparse_index_base_b
	.p2align	8
	.type	_ZN9rocsparseL22csrmvn_adaptive_kernelIiiaaffEEvbT_PKS1_PjPKT0_NS_24const_host_device_scalarIT4_EES3_S7_PKT1_PKT2_SA_PT3_21rocsparse_index_base_b,@function
_ZN9rocsparseL22csrmvn_adaptive_kernelIiiaaffEEvbT_PKS1_PjPKT0_NS_24const_host_device_scalarIT4_EES3_S7_PKT1_PKT2_SA_PT3_21rocsparse_index_base_b: ; @_ZN9rocsparseL22csrmvn_adaptive_kernelIiiaaffEEvbT_PKS1_PjPKT0_NS_24const_host_device_scalarIT4_EES3_S7_PKT1_PKT2_SA_PT3_21rocsparse_index_base_b
; %bb.0:
	s_clause 0x2
	s_load_b64 s[30:31], s[0:1], 0x58
	s_load_b64 s[28:29], s[0:1], 0x20
	;; [unrolled: 1-line block ×3, first 2 shown]
	s_wait_kmcnt 0x0
	s_bitcmp1_b32 s31, 0
	s_cselect_b32 s2, -1, 0
	s_delay_alu instid0(SALU_CYCLE_1)
	s_and_b32 vcc_lo, exec_lo, s2
	s_xor_b32 s2, s2, -1
	s_cbranch_vccnz .LBB55_2
; %bb.1:
	s_load_b32 s28, s[28:29], 0x0
.LBB55_2:
	s_and_not1_b32 vcc_lo, exec_lo, s2
	s_cbranch_vccnz .LBB55_4
; %bb.3:
	s_load_b32 s20, s[20:21], 0x0
.LBB55_4:
	s_wait_kmcnt 0x0
	s_cmp_neq_f32 s28, 0
	s_cselect_b32 s2, -1, 0
	s_cmp_neq_f32 s20, 1.0
	s_cselect_b32 s3, -1, 0
	s_delay_alu instid0(SALU_CYCLE_1) | instskip(NEXT) | instid1(SALU_CYCLE_1)
	s_or_b32 s2, s2, s3
	s_and_not1_b32 vcc_lo, exec_lo, s2
	s_cbranch_vccnz .LBB55_114
; %bb.5:
	s_clause 0x2
	s_load_b64 s[2:3], s[0:1], 0x8
	s_load_b64 s[4:5], s[0:1], 0x18
	;; [unrolled: 1-line block ×3, first 2 shown]
	s_mov_b32 s36, ttmp9
	s_ashr_i32 s37, ttmp9, 31
	s_delay_alu instid0(SALU_CYCLE_1)
	s_lshl_b64 s[38:39], s[36:37], 2
	s_wait_kmcnt 0x0
	s_add_nc_u64 s[2:3], s[2:3], s[38:39]
	s_load_b64 s[24:25], s[2:3], 0x0
	s_load_b256 s[12:19], s[0:1], 0x28
	s_wait_kmcnt 0x0
	s_ashr_i32 s3, s24, 31
	s_mov_b32 s2, s24
	s_delay_alu instid0(SALU_CYCLE_1)
	s_lshl_b64 s[34:35], s[2:3], 2
	s_add_nc_u64 s[2:3], s[4:5], s[38:39]
	s_add_nc_u64 s[26:27], s[12:13], s[34:35]
	s_load_b32 s21, s[2:3], 0x0
	s_load_b32 s29, s[26:27], 0x0
	s_sub_co_i32 s3, s25, s24
	s_mov_b32 s2, -1
	s_cmp_lt_i32 s3, 2
	s_cbranch_scc0 .LBB55_70
; %bb.6:
	s_cmp_lg_u32 s3, 1
	v_cmp_gt_u32_e64 s2, 0x80, v0
	s_cselect_b32 s4, -1, 0
	s_wait_kmcnt 0x0
	s_cmp_lg_u32 s21, 0
	v_cmp_gt_u32_e64 s3, 64, v0
	s_cselect_b32 s5, -1, 0
	v_cmp_gt_u32_e64 s6, 8, v0
	s_or_b32 s5, s4, s5
	v_cmp_gt_u32_e64 s4, 32, v0
	s_and_b32 vcc_lo, exec_lo, s5
	v_cmp_gt_u32_e64 s5, 16, v0
	v_cmp_gt_u32_e64 s7, 4, v0
	;; [unrolled: 1-line block ×3, first 2 shown]
	v_cmp_eq_u32_e64 s9, 0, v0
	s_mov_b32 s10, -1
	s_cbranch_vccnz .LBB55_34
; %bb.7:
	s_cmp_neq_f32 s20, 0
	v_subrev_nc_u32_e32 v7, s30, v0
	v_dual_mov_b32 v9, 0 :: v_dual_lshlrev_b32 v8, 2, v0
	s_cselect_b32 s31, -1, 0
	s_mov_b32 s40, s24
	s_branch .LBB55_10
.LBB55_8:                               ;   in Loop: Header=BB55_10 Depth=1
	s_wait_dscnt 0x0
	global_store_b32 v9, v1, s[10:11]
.LBB55_9:                               ;   in Loop: Header=BB55_10 Depth=1
	s_wait_alu 0xfffe
	s_or_b32 exec_lo, exec_lo, s33
	s_add_co_i32 s40, s40, 1
	s_delay_alu instid0(SALU_CYCLE_1)
	s_cmp_ge_i32 s40, s25
	s_cbranch_scc1 .LBB55_33
.LBB55_10:                              ; =>This Loop Header: Depth=1
                                        ;     Child Loop BB55_12 Depth 2
	s_ashr_i32 s41, s40, 31
	v_mov_b32_e32 v2, 0
	s_lshl_b64 s[42:43], s[40:41], 2
	s_delay_alu instid0(SALU_CYCLE_1)
	s_add_nc_u64 s[10:11], s[12:13], s[42:43]
	s_load_b64 s[10:11], s[10:11], 0x0
	s_wait_kmcnt 0x0
	v_add_nc_u32_e32 v1, s10, v7
	s_sub_co_i32 s33, s11, s30
	s_mov_b32 s11, exec_lo
	s_wait_alu 0xfffe
	s_delay_alu instid0(VALU_DEP_1)
	v_cmpx_gt_i32_e64 s33, v1
	s_cbranch_execz .LBB55_14
; %bb.11:                               ;   in Loop: Header=BB55_10 Depth=1
	v_ashrrev_i32_e32 v2, 31, v1
	v_add_co_u32 v3, vcc_lo, s16, v1
	s_mov_b32 s37, 0
	v_lshlrev_b64_e32 v[5:6], 2, v[1:2]
	s_wait_alu 0xfffd
	v_add_co_ci_u32_e64 v4, null, s17, v2, vcc_lo
	v_mov_b32_e32 v2, 0
	s_delay_alu instid0(VALU_DEP_3)
	v_add_co_u32 v5, vcc_lo, s14, v5
	s_wait_alu 0xfffd
	v_add_co_ci_u32_e64 v6, null, s15, v6, vcc_lo
.LBB55_12:                              ;   Parent Loop BB55_10 Depth=1
                                        ; =>  This Inner Loop Header: Depth=2
	global_load_b32 v10, v[5:6], off
	global_load_i8 v12, v[3:4], off
	s_wait_loadcnt 0x1
	v_subrev_nc_u32_e32 v10, s30, v10
	s_delay_alu instid0(VALU_DEP_1) | instskip(SKIP_2) | instid1(VALU_DEP_2)
	v_ashrrev_i32_e32 v11, 31, v10
	v_add_co_u32 v10, vcc_lo, s18, v10
	s_wait_alu 0xfffd
	v_add_co_ci_u32_e64 v11, null, s19, v11, vcc_lo
	v_add_co_u32 v3, vcc_lo, 0x100, v3
	s_wait_alu 0xfffd
	v_add_co_ci_u32_e64 v4, null, 0, v4, vcc_lo
	global_load_i8 v10, v[10:11], off
	s_wait_loadcnt 0x1
	v_cvt_f32_i32_e32 v11, v12
	v_add_co_u32 v5, vcc_lo, 0x400, v5
	s_wait_alu 0xfffd
	v_add_co_ci_u32_e64 v6, null, 0, v6, vcc_lo
	s_delay_alu instid0(VALU_DEP_3) | instskip(SKIP_2) | instid1(VALU_DEP_1)
	v_mul_f32_e32 v11, s28, v11
	s_wait_loadcnt 0x0
	v_cvt_f32_i32_e32 v10, v10
	v_dual_fmac_f32 v2, v11, v10 :: v_dual_add_nc_u32 v1, 0x100, v1
	s_delay_alu instid0(VALU_DEP_1) | instskip(SKIP_1) | instid1(SALU_CYCLE_1)
	v_cmp_le_i32_e64 s10, s33, v1
	s_or_b32 s37, s10, s37
	s_and_not1_b32 exec_lo, exec_lo, s37
	s_cbranch_execnz .LBB55_12
; %bb.13:                               ;   in Loop: Header=BB55_10 Depth=1
	s_or_b32 exec_lo, exec_lo, s37
.LBB55_14:                              ;   in Loop: Header=BB55_10 Depth=1
	s_wait_alu 0xfffe
	s_or_b32 exec_lo, exec_lo, s11
	ds_store_b32 v8, v2
	s_wait_dscnt 0x0
	s_barrier_signal -1
	s_barrier_wait -1
	global_inv scope:SCOPE_SE
	s_and_saveexec_b32 s10, s2
	s_cbranch_execz .LBB55_16
; %bb.15:                               ;   in Loop: Header=BB55_10 Depth=1
	ds_load_2addr_stride64_b32 v[1:2], v8 offset1:2
	s_wait_dscnt 0x0
	v_add_f32_e32 v1, v1, v2
	ds_store_b32 v8, v1
.LBB55_16:                              ;   in Loop: Header=BB55_10 Depth=1
	s_wait_alu 0xfffe
	s_or_b32 exec_lo, exec_lo, s10
	s_wait_loadcnt_dscnt 0x0
	s_barrier_signal -1
	s_barrier_wait -1
	global_inv scope:SCOPE_SE
	s_and_saveexec_b32 s10, s3
	s_cbranch_execz .LBB55_18
; %bb.17:                               ;   in Loop: Header=BB55_10 Depth=1
	ds_load_2addr_stride64_b32 v[1:2], v8 offset1:1
	s_wait_dscnt 0x0
	v_add_f32_e32 v1, v1, v2
	ds_store_b32 v8, v1
.LBB55_18:                              ;   in Loop: Header=BB55_10 Depth=1
	s_wait_alu 0xfffe
	s_or_b32 exec_lo, exec_lo, s10
	s_wait_loadcnt_dscnt 0x0
	s_barrier_signal -1
	s_barrier_wait -1
	global_inv scope:SCOPE_SE
	s_and_saveexec_b32 s10, s4
	s_cbranch_execz .LBB55_20
; %bb.19:                               ;   in Loop: Header=BB55_10 Depth=1
	ds_load_2addr_b32 v[1:2], v8 offset1:32
	s_wait_dscnt 0x0
	v_add_f32_e32 v1, v1, v2
	ds_store_b32 v8, v1
.LBB55_20:                              ;   in Loop: Header=BB55_10 Depth=1
	s_wait_alu 0xfffe
	s_or_b32 exec_lo, exec_lo, s10
	s_wait_loadcnt_dscnt 0x0
	s_barrier_signal -1
	s_barrier_wait -1
	global_inv scope:SCOPE_SE
	s_and_saveexec_b32 s10, s5
	s_cbranch_execz .LBB55_22
; %bb.21:                               ;   in Loop: Header=BB55_10 Depth=1
	ds_load_2addr_b32 v[1:2], v8 offset1:16
	s_wait_dscnt 0x0
	v_add_f32_e32 v1, v1, v2
	ds_store_b32 v8, v1
.LBB55_22:                              ;   in Loop: Header=BB55_10 Depth=1
	;; [unrolled: 14-line block ×5, first 2 shown]
	s_wait_alu 0xfffe
	s_or_b32 exec_lo, exec_lo, s10
	s_wait_loadcnt_dscnt 0x0
	s_barrier_signal -1
	s_barrier_wait -1
	global_inv scope:SCOPE_SE
	s_and_saveexec_b32 s10, s9
	s_cbranch_execz .LBB55_30
; %bb.29:                               ;   in Loop: Header=BB55_10 Depth=1
	ds_load_b64 v[1:2], v9
	s_wait_dscnt 0x0
	v_add_f32_e32 v1, v1, v2
	ds_store_b32 v9, v1
.LBB55_30:                              ;   in Loop: Header=BB55_10 Depth=1
	s_wait_alu 0xfffe
	s_or_b32 exec_lo, exec_lo, s10
	s_wait_loadcnt_dscnt 0x0
	s_barrier_signal -1
	s_barrier_wait -1
	global_inv scope:SCOPE_SE
	s_and_saveexec_b32 s33, s9
	s_cbranch_execz .LBB55_9
; %bb.31:                               ;   in Loop: Header=BB55_10 Depth=1
	ds_load_b32 v1, v9
	s_and_not1_b32 vcc_lo, exec_lo, s31
	s_add_nc_u64 s[10:11], s[22:23], s[42:43]
	s_wait_alu 0xfffe
	s_cbranch_vccnz .LBB55_8
; %bb.32:                               ;   in Loop: Header=BB55_10 Depth=1
	global_load_b32 v2, v9, s[10:11]
	s_wait_loadcnt_dscnt 0x0
	v_fmac_f32_e32 v1, s20, v2
	s_branch .LBB55_8
.LBB55_33:
	s_mov_b32 s10, 0
.LBB55_34:
	s_wait_alu 0xfffe
	s_and_b32 vcc_lo, exec_lo, s10
	s_wait_alu 0xfffe
	s_cbranch_vccz .LBB55_69
; %bb.35:
	s_load_b64 s[6:7], s[0:1], 0x10
	v_mov_b32_e32 v8, 0
	v_or_b32_e32 v1, s21, v0
	s_sub_co_i32 s8, s36, s21
	s_mov_b32 s2, exec_lo
	s_wait_kmcnt 0x0
	s_add_nc_u64 s[4:5], s[6:7], s[38:39]
	global_load_b32 v7, v8, s[4:5]
	v_cmpx_eq_u32_e32 0, v1
	s_cbranch_execz .LBB55_39
; %bb.36:
	v_mov_b32_e32 v1, 0
	s_add_nc_u64 s[10:11], s[22:23], s[34:35]
	s_mov_b32 s3, exec_lo
	s_delay_alu instid0(SALU_CYCLE_1)
	v_mbcnt_lo_u32_b32 v3, s3, 0
	global_load_b32 v2, v1, s[10:11]
	s_add_f32 s10, s20, -1.0
	s_mov_b32 s11, exec_lo
	s_wait_loadcnt 0x0
	s_wait_storecnt 0x0
	global_inv scope:SCOPE_DEV
	v_cmpx_eq_u32_e32 0, v3
	s_cbranch_execz .LBB55_38
; %bb.37:
	s_bcnt1_i32_b32 s3, s3
	s_ashr_i32 s9, s8, 31
	s_wait_alu 0xfffe
	s_and_b32 s3, s3, 1
	s_lshl_b64 s[36:37], s[8:9], 2
	s_wait_alu 0xfffe
	v_mov_b32_e32 v3, s3
	s_add_nc_u64 s[36:37], s[6:7], s[36:37]
	global_atomic_xor_b32 v1, v3, s[36:37] scope:SCOPE_DEV
.LBB55_38:
	s_wait_alu 0xfffe
	s_or_b32 exec_lo, exec_lo, s11
	v_mul_f32_e32 v8, s10, v2
.LBB55_39:
	s_or_b32 exec_lo, exec_lo, s2
	s_load_b32 s2, s[26:27], 0x4
	s_mul_i32 s3, s21, 0xc00
	s_sub_co_i32 s9, s29, s30
	s_wait_alu 0xfffe
	s_add_co_i32 s9, s9, s3
	s_mov_b32 s3, exec_lo
	v_add_nc_u32_e32 v1, s9, v0
	s_wait_kmcnt 0x0
	s_sub_co_i32 s2, s2, s30
	s_wait_alu 0xfffe
	s_delay_alu instid0(VALU_DEP_1)
	v_cmpx_gt_i32_e64 s2, v1
	s_cbranch_execz .LBB55_43
; %bb.40:
	v_ashrrev_i32_e32 v2, 31, v1
	v_add_co_u32 v3, vcc_lo, s16, v1
	s_addk_co_i32 s9, 0xc00
	s_mov_b32 s10, 0
	v_lshlrev_b64_e32 v[5:6], 2, v[1:2]
	s_wait_alu 0xfffd
	v_add_co_ci_u32_e64 v4, null, s17, v2, vcc_lo
	s_wait_alu 0xfffe
	s_min_i32 s9, s9, s2
	s_delay_alu instid0(VALU_DEP_2)
	v_add_co_u32 v5, vcc_lo, s14, v5
	s_wait_alu 0xfffd
	v_add_co_ci_u32_e64 v6, null, s15, v6, vcc_lo
.LBB55_41:                              ; =>This Inner Loop Header: Depth=1
	global_load_b32 v2, v[5:6], off
	global_load_i8 v11, v[3:4], off
	s_wait_loadcnt 0x1
	v_subrev_nc_u32_e32 v2, s30, v2
	s_delay_alu instid0(VALU_DEP_1) | instskip(SKIP_2) | instid1(VALU_DEP_2)
	v_ashrrev_i32_e32 v10, 31, v2
	v_add_co_u32 v9, vcc_lo, s18, v2
	s_wait_alu 0xfffd
	v_add_co_ci_u32_e64 v10, null, s19, v10, vcc_lo
	v_add_co_u32 v3, vcc_lo, 0x100, v3
	s_wait_alu 0xfffd
	v_add_co_ci_u32_e64 v4, null, 0, v4, vcc_lo
	global_load_i8 v2, v[9:10], off
	s_wait_loadcnt 0x1
	v_cvt_f32_i32_e32 v9, v11
	v_add_co_u32 v5, vcc_lo, 0x400, v5
	s_wait_alu 0xfffd
	v_add_co_ci_u32_e64 v6, null, 0, v6, vcc_lo
	s_delay_alu instid0(VALU_DEP_3) | instskip(SKIP_2) | instid1(VALU_DEP_1)
	v_mul_f32_e32 v9, s28, v9
	s_wait_loadcnt 0x0
	v_cvt_f32_i32_e32 v2, v2
	v_dual_fmac_f32 v8, v9, v2 :: v_dual_add_nc_u32 v1, 0x100, v1
	s_wait_alu 0xfffe
	s_delay_alu instid0(VALU_DEP_1)
	v_cmp_le_i32_e64 s2, s9, v1
	s_or_b32 s10, s2, s10
	s_wait_alu 0xfffe
	s_and_not1_b32 exec_lo, exec_lo, s10
	s_cbranch_execnz .LBB55_41
; %bb.42:
	s_or_b32 exec_lo, exec_lo, s10
.LBB55_43:
	s_delay_alu instid0(SALU_CYCLE_1)
	s_or_b32 exec_lo, exec_lo, s3
	v_lshlrev_b32_e32 v1, 2, v0
	s_mov_b32 s2, exec_lo
	ds_store_b32 v1, v8
	s_wait_storecnt 0x0
	s_wait_loadcnt_dscnt 0x0
	s_barrier_signal -1
	s_barrier_wait -1
	global_inv scope:SCOPE_SE
	v_cmpx_gt_u32_e32 0x80, v0
	s_cbranch_execz .LBB55_45
; %bb.44:
	ds_load_2addr_stride64_b32 v[2:3], v1 offset1:2
	s_wait_dscnt 0x0
	v_add_f32_e32 v2, v2, v3
	ds_store_b32 v1, v2
.LBB55_45:
	s_wait_alu 0xfffe
	s_or_b32 exec_lo, exec_lo, s2
	s_delay_alu instid0(SALU_CYCLE_1)
	s_mov_b32 s2, exec_lo
	s_wait_loadcnt_dscnt 0x0
	s_barrier_signal -1
	s_barrier_wait -1
	global_inv scope:SCOPE_SE
	v_cmpx_gt_u32_e32 64, v0
	s_cbranch_execz .LBB55_47
; %bb.46:
	ds_load_2addr_stride64_b32 v[2:3], v1 offset1:1
	s_wait_dscnt 0x0
	v_add_f32_e32 v2, v2, v3
	ds_store_b32 v1, v2
.LBB55_47:
	s_wait_alu 0xfffe
	s_or_b32 exec_lo, exec_lo, s2
	s_delay_alu instid0(SALU_CYCLE_1)
	s_mov_b32 s2, exec_lo
	s_wait_loadcnt_dscnt 0x0
	s_barrier_signal -1
	s_barrier_wait -1
	global_inv scope:SCOPE_SE
	v_cmpx_gt_u32_e32 32, v0
	s_cbranch_execz .LBB55_49
; %bb.48:
	ds_load_2addr_b32 v[2:3], v1 offset1:32
	s_wait_dscnt 0x0
	v_add_f32_e32 v2, v2, v3
	ds_store_b32 v1, v2
.LBB55_49:
	s_wait_alu 0xfffe
	s_or_b32 exec_lo, exec_lo, s2
	s_delay_alu instid0(SALU_CYCLE_1)
	s_mov_b32 s2, exec_lo
	s_wait_loadcnt_dscnt 0x0
	s_barrier_signal -1
	s_barrier_wait -1
	global_inv scope:SCOPE_SE
	v_cmpx_gt_u32_e32 16, v0
	s_cbranch_execz .LBB55_51
; %bb.50:
	ds_load_2addr_b32 v[2:3], v1 offset1:16
	s_wait_dscnt 0x0
	v_add_f32_e32 v2, v2, v3
	ds_store_b32 v1, v2
.LBB55_51:
	s_wait_alu 0xfffe
	s_or_b32 exec_lo, exec_lo, s2
	s_delay_alu instid0(SALU_CYCLE_1)
	s_mov_b32 s2, exec_lo
	s_wait_loadcnt_dscnt 0x0
	s_barrier_signal -1
	s_barrier_wait -1
	global_inv scope:SCOPE_SE
	v_cmpx_gt_u32_e32 8, v0
	s_cbranch_execz .LBB55_53
; %bb.52:
	ds_load_2addr_b32 v[2:3], v1 offset1:8
	s_wait_dscnt 0x0
	v_add_f32_e32 v2, v2, v3
	ds_store_b32 v1, v2
.LBB55_53:
	s_wait_alu 0xfffe
	s_or_b32 exec_lo, exec_lo, s2
	s_delay_alu instid0(SALU_CYCLE_1)
	s_mov_b32 s2, exec_lo
	s_wait_loadcnt_dscnt 0x0
	s_barrier_signal -1
	s_barrier_wait -1
	global_inv scope:SCOPE_SE
	v_cmpx_gt_u32_e32 4, v0
	s_cbranch_execz .LBB55_55
; %bb.54:
	ds_load_2addr_b32 v[2:3], v1 offset1:4
	s_wait_dscnt 0x0
	v_add_f32_e32 v2, v2, v3
	ds_store_b32 v1, v2
.LBB55_55:
	s_wait_alu 0xfffe
	s_or_b32 exec_lo, exec_lo, s2
	s_delay_alu instid0(SALU_CYCLE_1)
	s_mov_b32 s2, exec_lo
	s_wait_loadcnt_dscnt 0x0
	s_barrier_signal -1
	s_barrier_wait -1
	global_inv scope:SCOPE_SE
	v_cmpx_gt_u32_e32 2, v0
	s_cbranch_execz .LBB55_57
; %bb.56:
	ds_load_2addr_b32 v[2:3], v1 offset1:2
	s_wait_dscnt 0x0
	v_add_f32_e32 v2, v2, v3
	ds_store_b32 v1, v2
.LBB55_57:
	s_wait_alu 0xfffe
	s_or_b32 exec_lo, exec_lo, s2
	v_cmp_eq_u32_e32 vcc_lo, 0, v0
	s_wait_loadcnt_dscnt 0x0
	s_barrier_signal -1
	s_barrier_wait -1
	global_inv scope:SCOPE_SE
	s_and_saveexec_b32 s2, vcc_lo
	s_cbranch_execz .LBB55_59
; %bb.58:
	v_mov_b32_e32 v3, 0
	ds_load_b64 v[1:2], v3
	s_wait_dscnt 0x0
	v_add_f32_e32 v1, v1, v2
	ds_store_b32 v3, v1
.LBB55_59:
	s_wait_alu 0xfffe
	s_or_b32 exec_lo, exec_lo, s2
	s_wait_loadcnt_dscnt 0x0
	s_barrier_signal -1
	s_barrier_wait -1
	global_inv scope:SCOPE_SE
	s_and_saveexec_b32 s10, vcc_lo
	s_cbranch_execz .LBB55_68
; %bb.60:
	s_cmp_eq_u32 s21, 0
	s_cbranch_scc1 .LBB55_66
; %bb.61:
	s_ashr_i32 s9, s8, 31
	v_mov_b32_e32 v1, 0
	s_wait_alu 0xfffe
	s_lshl_b64 s[2:3], s[8:9], 2
	s_wait_alu 0xfffe
	s_add_nc_u64 s[2:3], s[6:7], s[2:3]
	s_branch .LBB55_63
.LBB55_62:                              ;   in Loop: Header=BB55_63 Depth=1
	s_wait_alu 0xfffe
	s_or_b32 exec_lo, exec_lo, s6
	s_wait_loadcnt 0x0
	v_readfirstlane_b32 s6, v2
	s_wait_alu 0xf1ff
	s_delay_alu instid0(VALU_DEP_1)
	v_cmp_eq_u32_e32 vcc_lo, s6, v7
	s_cbranch_vccz .LBB55_65
.LBB55_63:                              ; =>This Inner Loop Header: Depth=1
	v_mbcnt_lo_u32_b32 v2, exec_lo, 0
	s_delay_alu instid0(VALU_DEP_1)
	v_cmp_eq_u32_e32 vcc_lo, 0, v2
                                        ; implicit-def: $vgpr2
	s_and_saveexec_b32 s6, vcc_lo
	s_cbranch_execz .LBB55_62
; %bb.64:                               ;   in Loop: Header=BB55_63 Depth=1
	global_load_b32 v2, v1, s[2:3] scope:SCOPE_DEV
	s_branch .LBB55_62
.LBB55_65:
	v_mov_b32_e32 v1, 0
	global_load_u16 v2, v1, s[4:5]
	s_wait_loadcnt 0x0
	v_xor_b32_e32 v2, 1, v2
	global_store_b16 v1, v2, s[4:5]
.LBB55_66:
	s_mov_b32 s2, exec_lo
	s_wait_alu 0xfffe
	v_mbcnt_lo_u32_b32 v1, s2, 0
	s_delay_alu instid0(VALU_DEP_1)
	v_cmp_eq_u32_e32 vcc_lo, 0, v1
	s_and_b32 s3, exec_lo, vcc_lo
	s_wait_alu 0xfffe
	s_mov_b32 exec_lo, s3
	s_cbranch_execz .LBB55_68
; %bb.67:
	s_bcnt1_i32_b32 s2, s2
	s_wait_alu 0xfffe
	v_cvt_f32_ubyte0_e32 v3, s2
	v_mov_b32_e32 v1, 0
	s_add_nc_u64 s[2:3], s[22:23], s[34:35]
	ds_load_b32 v2, v1
	s_wait_dscnt 0x0
	v_mul_f32_e32 v2, v2, v3
	global_atomic_add_f32 v1, v2, s[2:3] scope:SCOPE_DEV
.LBB55_68:
	s_wait_alu 0xfffe
	s_or_b32 exec_lo, exec_lo, s10
.LBB55_69:
	s_mov_b32 s2, 0
.LBB55_70:
	s_wait_alu 0xfffe
	s_and_not1_b32 vcc_lo, exec_lo, s2
	s_wait_alu 0xfffe
	s_cbranch_vccnz .LBB55_114
; %bb.71:
	s_load_b32 s0, s[0:1], 0x4
	v_subrev_nc_u32_e32 v1, s30, v0
	s_wait_kmcnt 0x0
	s_delay_alu instid0(VALU_DEP_1) | instskip(NEXT) | instid1(VALU_DEP_1)
	v_add_nc_u32_e32 v1, s29, v1
	v_add_nc_u32_e32 v2, 0x300, v1
	s_delay_alu instid0(VALU_DEP_1)
	v_cmp_le_i32_e32 vcc_lo, s0, v2
	s_and_saveexec_b32 s0, vcc_lo
	s_wait_alu 0xfffe
	s_xor_b32 s0, exec_lo, s0
	s_cbranch_execz .LBB55_76
; %bb.72:
	s_ashr_i32 s3, s25, 31
	s_mov_b32 s2, s25
	s_wait_alu 0xfffe
	s_lshl_b64 s[2:3], s[2:3], 2
	s_wait_alu 0xfffe
	s_add_nc_u64 s[2:3], s[12:13], s[2:3]
	s_load_b32 s1, s[2:3], 0x0
	s_mov_b32 s2, exec_lo
	s_wait_kmcnt 0x0
	s_sub_co_i32 s1, s1, s30
	s_wait_alu 0xfffe
	v_cmpx_gt_i32_e64 s1, v1
	s_cbranch_execz .LBB55_75
; %bb.73:
	v_lshlrev_b32_e32 v3, 2, v0
	s_mov_b32 s3, 0
.LBB55_74:                              ; =>This Inner Loop Header: Depth=1
	v_ashrrev_i32_e32 v2, 31, v1
	s_delay_alu instid0(VALU_DEP_1) | instskip(NEXT) | instid1(VALU_DEP_1)
	v_lshlrev_b64_e32 v[4:5], 2, v[1:2]
	v_add_co_u32 v4, vcc_lo, s14, v4
	s_wait_alu 0xfffd
	s_delay_alu instid0(VALU_DEP_2)
	v_add_co_ci_u32_e64 v5, null, s15, v5, vcc_lo
	global_load_b32 v5, v[4:5], off
	v_add_co_u32 v4, vcc_lo, s16, v1
	v_add_nc_u32_e32 v1, 0x100, v1
	s_wait_loadcnt 0x0
	v_subrev_nc_u32_e32 v6, s30, v5
	s_wait_alu 0xfffd
	v_add_co_ci_u32_e64 v5, null, s17, v2, vcc_lo
	global_load_i8 v2, v[4:5], off
	v_ashrrev_i32_e32 v5, 31, v6
	v_add_co_u32 v4, vcc_lo, s18, v6
	s_wait_alu 0xfffd
	s_delay_alu instid0(VALU_DEP_2)
	v_add_co_ci_u32_e64 v5, null, s19, v5, vcc_lo
	v_cmp_le_i32_e32 vcc_lo, s1, v1
	global_load_i8 v4, v[4:5], off
	s_wait_alu 0xfffe
	s_or_b32 s3, vcc_lo, s3
	s_wait_loadcnt 0x1
	v_cvt_f32_i32_e32 v2, v2
	s_delay_alu instid0(VALU_DEP_1) | instskip(SKIP_2) | instid1(VALU_DEP_1)
	v_mul_f32_e32 v2, s28, v2
	s_wait_loadcnt 0x0
	v_cvt_f32_i32_e32 v4, v4
	v_mul_f32_e32 v2, v2, v4
	ds_store_b32 v3, v2
	v_add_nc_u32_e32 v3, 0x400, v3
	s_wait_alu 0xfffe
	s_and_not1_b32 exec_lo, exec_lo, s3
	s_cbranch_execnz .LBB55_74
.LBB55_75:
	s_or_b32 exec_lo, exec_lo, s2
                                        ; implicit-def: $vgpr1
.LBB55_76:
	s_wait_alu 0xfffe
	s_or_saveexec_b32 s0, s0
	v_lshlrev_b32_e32 v6, 2, v0
	s_wait_alu 0xfffe
	s_xor_b32 exec_lo, exec_lo, s0
	s_cbranch_execz .LBB55_78
; %bb.77:
	v_ashrrev_i32_e32 v2, 31, v1
	s_delay_alu instid0(VALU_DEP_1) | instskip(NEXT) | instid1(VALU_DEP_1)
	v_lshlrev_b64_e32 v[3:4], 2, v[1:2]
	v_add_co_u32 v3, vcc_lo, s14, v3
	s_wait_alu 0xfffd
	s_delay_alu instid0(VALU_DEP_2)
	v_add_co_ci_u32_e64 v4, null, s15, v4, vcc_lo
	v_add_co_u32 v1, vcc_lo, s16, v1
	s_wait_alu 0xfffd
	v_add_co_ci_u32_e64 v2, null, s17, v2, vcc_lo
	s_clause 0x3
	global_load_b32 v5, v[3:4], off
	global_load_b32 v7, v[3:4], off offset:1024
	global_load_b32 v8, v[3:4], off offset:2048
	;; [unrolled: 1-line block ×3, first 2 shown]
	s_clause 0x3
	global_load_i8 v11, v[1:2], off
	global_load_i8 v12, v[1:2], off offset:256
	global_load_i8 v13, v[1:2], off offset:512
	;; [unrolled: 1-line block ×3, first 2 shown]
	s_wait_loadcnt 0x7
	v_subrev_nc_u32_e32 v4, s30, v5
	s_wait_loadcnt 0x6
	v_subrev_nc_u32_e32 v5, s30, v7
	;; [unrolled: 2-line block ×4, first 2 shown]
	v_ashrrev_i32_e32 v2, 31, v4
	v_ashrrev_i32_e32 v8, 31, v5
	v_add_co_u32 v1, vcc_lo, s18, v4
	v_ashrrev_i32_e32 v10, 31, v7
	s_wait_alu 0xfffd
	v_add_co_ci_u32_e64 v2, null, s19, v2, vcc_lo
	v_add_co_u32 v3, vcc_lo, s18, v5
	v_ashrrev_i32_e32 v15, 31, v9
	s_wait_alu 0xfffd
	v_add_co_ci_u32_e64 v4, null, s19, v8, vcc_lo
	v_add_co_u32 v7, vcc_lo, s18, v7
	s_wait_alu 0xfffd
	v_add_co_ci_u32_e64 v8, null, s19, v10, vcc_lo
	v_add_co_u32 v9, vcc_lo, s18, v9
	s_wait_alu 0xfffd
	v_add_co_ci_u32_e64 v10, null, s19, v15, vcc_lo
	s_clause 0x3
	global_load_i8 v1, v[1:2], off
	global_load_i8 v2, v[3:4], off
	global_load_i8 v3, v[7:8], off
	global_load_i8 v4, v[9:10], off
	s_wait_loadcnt 0x7
	v_cvt_f32_i32_e32 v5, v11
	s_wait_loadcnt 0x6
	v_cvt_f32_i32_e32 v7, v12
	;; [unrolled: 2-line block ×3, first 2 shown]
	v_cvt_f32_i32_e32 v8, v13
	s_delay_alu instid0(VALU_DEP_1)
	v_dual_mul_f32 v5, s28, v5 :: v_dual_mul_f32 v8, s28, v8
	s_wait_loadcnt 0x3
	v_cvt_f32_i32_e32 v1, v1
	s_wait_loadcnt 0x2
	v_cvt_f32_i32_e32 v2, v2
	v_mul_f32_e32 v9, s28, v9
	s_wait_loadcnt 0x0
	v_cvt_f32_i32_e32 v4, v4
	v_mul_f32_e32 v7, s28, v7
	v_cvt_f32_i32_e32 v3, v3
	v_mul_f32_e32 v1, v5, v1
	s_delay_alu instid0(VALU_DEP_4) | instskip(NEXT) | instid1(VALU_DEP_3)
	v_mul_f32_e32 v4, v9, v4
	v_dual_mul_f32 v2, v7, v2 :: v_dual_mul_f32 v3, v8, v3
	ds_store_2addr_stride64_b32 v6, v1, v2 offset1:4
	ds_store_2addr_stride64_b32 v6, v3, v4 offset0:8 offset1:12
.LBB55_78:
	s_or_b32 exec_lo, exec_lo, s0
	s_cmp_lt_i32 s21, 2
	s_mov_b32 s0, -1
	s_wait_storecnt 0x0
	s_wait_loadcnt_dscnt 0x0
	s_barrier_signal -1
	s_barrier_wait -1
	global_inv scope:SCOPE_SE
	s_cbranch_scc0 .LBB55_89
; %bb.79:
	v_add_nc_u32_e32 v1, s24, v0
	s_mov_b32 s1, exec_lo
	s_delay_alu instid0(VALU_DEP_1)
	v_cmpx_gt_i32_e64 s25, v1
	s_cbranch_execz .LBB55_88
; %bb.80:
	s_cmp_neq_f32 s20, 0
	s_mov_b32 s3, 0
	s_cselect_b32 s2, -1, 0
	s_lshl_b32 s0, s29, 2
	s_wait_alu 0xfffe
	s_sub_co_i32 s4, 0, s0
	s_branch .LBB55_82
.LBB55_81:                              ;   in Loop: Header=BB55_82 Depth=1
	v_add_nc_u32_e32 v1, 0x100, v1
	v_add_co_u32 v2, s0, s22, v2
	s_wait_alu 0xf1ff
	v_add_co_ci_u32_e64 v3, null, s23, v3, s0
	s_delay_alu instid0(VALU_DEP_3)
	v_cmp_le_i32_e32 vcc_lo, s25, v1
	global_store_b32 v[2:3], v7, off
	s_or_b32 s3, vcc_lo, s3
	s_wait_alu 0xfffe
	s_and_not1_b32 exec_lo, exec_lo, s3
	s_cbranch_execz .LBB55_88
.LBB55_82:                              ; =>This Loop Header: Depth=1
                                        ;     Child Loop BB55_84 Depth 2
	v_ashrrev_i32_e32 v2, 31, v1
	v_mov_b32_e32 v7, 0
	s_mov_b32 s0, exec_lo
	s_delay_alu instid0(VALU_DEP_2) | instskip(NEXT) | instid1(VALU_DEP_1)
	v_lshlrev_b64_e32 v[2:3], 2, v[1:2]
	v_add_co_u32 v4, vcc_lo, s12, v2
	s_wait_alu 0xfffd
	s_delay_alu instid0(VALU_DEP_2)
	v_add_co_ci_u32_e64 v5, null, s13, v3, vcc_lo
	global_load_b64 v[4:5], v[4:5], off
	s_wait_loadcnt 0x0
	v_cmpx_lt_i32_e64 v4, v5
	s_cbranch_execz .LBB55_86
; %bb.83:                               ;   in Loop: Header=BB55_82 Depth=1
	v_subrev_nc_u32_e32 v5, s29, v5
	v_subrev_nc_u32_e32 v8, s29, v4
	v_lshl_add_u32 v4, v4, 2, s4
	v_mov_b32_e32 v7, 0
	s_mov_b32 s5, 0
.LBB55_84:                              ;   Parent Loop BB55_82 Depth=1
                                        ; =>  This Inner Loop Header: Depth=2
	ds_load_b32 v9, v4
	v_add_nc_u32_e32 v8, 1, v8
	s_wait_dscnt 0x0
	v_dual_add_f32 v7, v7, v9 :: v_dual_add_nc_u32 v4, 4, v4
	s_delay_alu instid0(VALU_DEP_2)
	v_cmp_ge_i32_e32 vcc_lo, v8, v5
	s_wait_alu 0xfffe
	s_or_b32 s5, vcc_lo, s5
	s_wait_alu 0xfffe
	s_and_not1_b32 exec_lo, exec_lo, s5
	s_cbranch_execnz .LBB55_84
; %bb.85:                               ;   in Loop: Header=BB55_82 Depth=1
	s_or_b32 exec_lo, exec_lo, s5
.LBB55_86:                              ;   in Loop: Header=BB55_82 Depth=1
	s_wait_alu 0xfffe
	s_or_b32 exec_lo, exec_lo, s0
	s_delay_alu instid0(SALU_CYCLE_1)
	s_and_b32 vcc_lo, exec_lo, s2
	s_wait_alu 0xfffe
	s_cbranch_vccz .LBB55_81
; %bb.87:                               ;   in Loop: Header=BB55_82 Depth=1
	v_add_co_u32 v4, vcc_lo, s22, v2
	s_wait_alu 0xfffd
	v_add_co_ci_u32_e64 v5, null, s23, v3, vcc_lo
	global_load_b32 v4, v[4:5], off
	s_wait_loadcnt 0x0
	v_fmac_f32_e32 v7, s20, v4
	s_branch .LBB55_81
.LBB55_88:
	s_wait_alu 0xfffe
	s_or_b32 exec_lo, exec_lo, s1
	s_mov_b32 s0, 0
.LBB55_89:
	s_wait_alu 0xfffe
	s_and_not1_b32 vcc_lo, exec_lo, s0
	s_wait_alu 0xfffe
	s_cbranch_vccnz .LBB55_114
; %bb.90:
	s_clz_i32_u32 s0, s21
	s_mov_b32 s1, exec_lo
	s_wait_alu 0xfffe
	s_xor_b32 s0, s0, 31
	v_mov_b32_e32 v2, 0
	s_wait_alu 0xfffe
	v_lshrrev_b32_e32 v3, s0, v0
	s_add_co_i32 s0, s21, -1
	s_wait_alu 0xfffe
	v_and_b32_e32 v0, s0, v0
	s_delay_alu instid0(VALU_DEP_2) | instskip(NEXT) | instid1(VALU_DEP_1)
	v_add_nc_u32_e32 v1, s24, v3
	v_cmp_le_i32_e32 vcc_lo, s25, v1
	v_cmpx_gt_i32_e64 s25, v1
	s_cbranch_execz .LBB55_96
; %bb.91:
	v_lshlrev_b32_e32 v2, 2, v3
	v_subrev_nc_u32_e32 v4, s29, v0
	s_mov_b32 s2, exec_lo
	global_load_b64 v[2:3], v2, s[26:27]
	s_wait_loadcnt 0x0
	v_subrev_nc_u32_e32 v3, s29, v3
	v_add_nc_u32_e32 v4, v2, v4
	v_mov_b32_e32 v2, 0
	s_delay_alu instid0(VALU_DEP_2)
	v_cmpx_lt_i32_e64 v4, v3
	s_cbranch_execz .LBB55_95
; %bb.92:
	v_dual_mov_b32 v2, 0 :: v_dual_lshlrev_b32 v5, 2, v4
	s_lshl_b32 s4, s21, 2
	s_mov_b32 s3, 0
.LBB55_93:                              ; =>This Inner Loop Header: Depth=1
	ds_load_b32 v7, v5
	v_add_nc_u32_e32 v4, s21, v4
	s_wait_alu 0xfffe
	v_add_nc_u32_e32 v5, s4, v5
	s_delay_alu instid0(VALU_DEP_2)
	v_cmp_ge_i32_e64 s0, v4, v3
	s_or_b32 s3, s0, s3
	s_wait_dscnt 0x0
	v_add_f32_e32 v2, v2, v7
	s_wait_alu 0xfffe
	s_and_not1_b32 exec_lo, exec_lo, s3
	s_cbranch_execnz .LBB55_93
; %bb.94:
	s_or_b32 exec_lo, exec_lo, s3
.LBB55_95:
	s_wait_alu 0xfffe
	s_or_b32 exec_lo, exec_lo, s2
.LBB55_96:
	s_delay_alu instid0(SALU_CYCLE_1)
	s_or_b32 exec_lo, exec_lo, s1
	s_cmp_lt_u32 s21, 0x81
	s_wait_loadcnt 0x0
	s_wait_storecnt 0x0
	s_barrier_signal -1
	s_barrier_wait -1
	global_inv scope:SCOPE_SE
	ds_store_b32 v6, v2
	s_wait_loadcnt_dscnt 0x0
	s_barrier_signal -1
	s_barrier_wait -1
	global_inv scope:SCOPE_SE
	s_cbranch_scc1 .LBB55_98
; %bb.97:
	ds_load_b32 v3, v6 offset:512
	s_wait_loadcnt_dscnt 0x0
	s_barrier_signal -1
	s_barrier_wait -1
	global_inv scope:SCOPE_SE
	v_add_f32_e32 v2, v2, v3
	ds_store_b32 v6, v2
.LBB55_98:
	s_cmp_lt_u32 s21, 0x41
	s_wait_loadcnt_dscnt 0x0
	s_barrier_signal -1
	s_barrier_wait -1
	global_inv scope:SCOPE_SE
	s_cbranch_scc1 .LBB55_100
; %bb.99:
	ds_load_b32 v3, v6 offset:256
	s_wait_loadcnt_dscnt 0x0
	s_barrier_signal -1
	s_barrier_wait -1
	global_inv scope:SCOPE_SE
	v_add_f32_e32 v2, v2, v3
	ds_store_b32 v6, v2
.LBB55_100:
	s_cmp_lt_u32 s21, 33
	;; [unrolled: 15-line block ×5, first 2 shown]
	s_wait_loadcnt_dscnt 0x0
	s_barrier_signal -1
	s_barrier_wait -1
	global_inv scope:SCOPE_SE
	s_cbranch_scc1 .LBB55_108
; %bb.107:
	ds_load_b32 v3, v6 offset:16
	s_wait_loadcnt_dscnt 0x0
	s_barrier_signal -1
	s_barrier_wait -1
	global_inv scope:SCOPE_SE
	v_add_f32_e32 v2, v2, v3
	ds_store_b32 v6, v2
.LBB55_108:
	s_cmp_eq_u32 s21, 2
	s_wait_loadcnt_dscnt 0x0
	s_barrier_signal -1
	s_barrier_wait -1
	global_inv scope:SCOPE_SE
	s_cbranch_scc1 .LBB55_110
; %bb.109:
	ds_load_b32 v3, v6 offset:8
	s_wait_loadcnt_dscnt 0x0
	s_barrier_signal -1
	s_barrier_wait -1
	global_inv scope:SCOPE_SE
	v_add_f32_e32 v2, v2, v3
	ds_store_b32 v6, v2
.LBB55_110:
	s_wait_loadcnt_dscnt 0x0
	s_barrier_signal -1
	s_barrier_wait -1
	global_inv scope:SCOPE_SE
	ds_load_b32 v3, v6 offset:4
	v_cmp_eq_u32_e64 s0, 0, v0
	s_xor_b32 s1, vcc_lo, -1
	s_wait_loadcnt_dscnt 0x0
	s_barrier_signal -1
	s_barrier_wait -1
	s_wait_alu 0xfffe
	s_and_b32 s0, s0, s1
	global_inv scope:SCOPE_SE
	v_add_f32_e32 v3, v2, v3
	ds_store_b32 v6, v3
	s_wait_alu 0xfffe
	s_and_saveexec_b32 s1, s0
	s_cbranch_execz .LBB55_114
; %bb.111:
	v_ashrrev_i32_e32 v2, 31, v1
	s_cmp_eq_f32 s20, 0
	s_delay_alu instid0(VALU_DEP_1)
	v_lshlrev_b64_e32 v[0:1], 2, v[1:2]
	s_cbranch_scc1 .LBB55_113
; %bb.112:
	s_delay_alu instid0(VALU_DEP_1) | instskip(SKIP_1) | instid1(VALU_DEP_2)
	v_add_co_u32 v4, vcc_lo, s22, v0
	s_wait_alu 0xfffd
	v_add_co_ci_u32_e64 v5, null, s23, v1, vcc_lo
	global_load_b32 v2, v[4:5], off
	s_wait_loadcnt 0x0
	v_fmac_f32_e32 v3, s20, v2
.LBB55_113:
	s_delay_alu instid0(VALU_DEP_1) | instskip(SKIP_1) | instid1(VALU_DEP_2)
	v_add_co_u32 v0, vcc_lo, s22, v0
	s_wait_alu 0xfffd
	v_add_co_ci_u32_e64 v1, null, s23, v1, vcc_lo
	global_store_b32 v[0:1], v3, off
.LBB55_114:
	s_endpgm
	.section	.rodata,"a",@progbits
	.p2align	6, 0x0
	.amdhsa_kernel _ZN9rocsparseL22csrmvn_adaptive_kernelIiiaaffEEvbT_PKS1_PjPKT0_NS_24const_host_device_scalarIT4_EES3_S7_PKT1_PKT2_SA_PT3_21rocsparse_index_base_b
		.amdhsa_group_segment_fixed_size 4096
		.amdhsa_private_segment_fixed_size 0
		.amdhsa_kernarg_size 96
		.amdhsa_user_sgpr_count 2
		.amdhsa_user_sgpr_dispatch_ptr 0
		.amdhsa_user_sgpr_queue_ptr 0
		.amdhsa_user_sgpr_kernarg_segment_ptr 1
		.amdhsa_user_sgpr_dispatch_id 0
		.amdhsa_user_sgpr_private_segment_size 0
		.amdhsa_wavefront_size32 1
		.amdhsa_uses_dynamic_stack 0
		.amdhsa_enable_private_segment 0
		.amdhsa_system_sgpr_workgroup_id_x 1
		.amdhsa_system_sgpr_workgroup_id_y 0
		.amdhsa_system_sgpr_workgroup_id_z 0
		.amdhsa_system_sgpr_workgroup_info 0
		.amdhsa_system_vgpr_workitem_id 0
		.amdhsa_next_free_vgpr 16
		.amdhsa_next_free_sgpr 44
		.amdhsa_reserve_vcc 1
		.amdhsa_float_round_mode_32 0
		.amdhsa_float_round_mode_16_64 0
		.amdhsa_float_denorm_mode_32 3
		.amdhsa_float_denorm_mode_16_64 3
		.amdhsa_fp16_overflow 0
		.amdhsa_workgroup_processor_mode 1
		.amdhsa_memory_ordered 1
		.amdhsa_forward_progress 1
		.amdhsa_inst_pref_size 39
		.amdhsa_round_robin_scheduling 0
		.amdhsa_exception_fp_ieee_invalid_op 0
		.amdhsa_exception_fp_denorm_src 0
		.amdhsa_exception_fp_ieee_div_zero 0
		.amdhsa_exception_fp_ieee_overflow 0
		.amdhsa_exception_fp_ieee_underflow 0
		.amdhsa_exception_fp_ieee_inexact 0
		.amdhsa_exception_int_div_zero 0
	.end_amdhsa_kernel
	.section	.text._ZN9rocsparseL22csrmvn_adaptive_kernelIiiaaffEEvbT_PKS1_PjPKT0_NS_24const_host_device_scalarIT4_EES3_S7_PKT1_PKT2_SA_PT3_21rocsparse_index_base_b,"axG",@progbits,_ZN9rocsparseL22csrmvn_adaptive_kernelIiiaaffEEvbT_PKS1_PjPKT0_NS_24const_host_device_scalarIT4_EES3_S7_PKT1_PKT2_SA_PT3_21rocsparse_index_base_b,comdat
.Lfunc_end55:
	.size	_ZN9rocsparseL22csrmvn_adaptive_kernelIiiaaffEEvbT_PKS1_PjPKT0_NS_24const_host_device_scalarIT4_EES3_S7_PKT1_PKT2_SA_PT3_21rocsparse_index_base_b, .Lfunc_end55-_ZN9rocsparseL22csrmvn_adaptive_kernelIiiaaffEEvbT_PKS1_PjPKT0_NS_24const_host_device_scalarIT4_EES3_S7_PKT1_PKT2_SA_PT3_21rocsparse_index_base_b
                                        ; -- End function
	.set _ZN9rocsparseL22csrmvn_adaptive_kernelIiiaaffEEvbT_PKS1_PjPKT0_NS_24const_host_device_scalarIT4_EES3_S7_PKT1_PKT2_SA_PT3_21rocsparse_index_base_b.num_vgpr, 16
	.set _ZN9rocsparseL22csrmvn_adaptive_kernelIiiaaffEEvbT_PKS1_PjPKT0_NS_24const_host_device_scalarIT4_EES3_S7_PKT1_PKT2_SA_PT3_21rocsparse_index_base_b.num_agpr, 0
	.set _ZN9rocsparseL22csrmvn_adaptive_kernelIiiaaffEEvbT_PKS1_PjPKT0_NS_24const_host_device_scalarIT4_EES3_S7_PKT1_PKT2_SA_PT3_21rocsparse_index_base_b.numbered_sgpr, 44
	.set _ZN9rocsparseL22csrmvn_adaptive_kernelIiiaaffEEvbT_PKS1_PjPKT0_NS_24const_host_device_scalarIT4_EES3_S7_PKT1_PKT2_SA_PT3_21rocsparse_index_base_b.num_named_barrier, 0
	.set _ZN9rocsparseL22csrmvn_adaptive_kernelIiiaaffEEvbT_PKS1_PjPKT0_NS_24const_host_device_scalarIT4_EES3_S7_PKT1_PKT2_SA_PT3_21rocsparse_index_base_b.private_seg_size, 0
	.set _ZN9rocsparseL22csrmvn_adaptive_kernelIiiaaffEEvbT_PKS1_PjPKT0_NS_24const_host_device_scalarIT4_EES3_S7_PKT1_PKT2_SA_PT3_21rocsparse_index_base_b.uses_vcc, 1
	.set _ZN9rocsparseL22csrmvn_adaptive_kernelIiiaaffEEvbT_PKS1_PjPKT0_NS_24const_host_device_scalarIT4_EES3_S7_PKT1_PKT2_SA_PT3_21rocsparse_index_base_b.uses_flat_scratch, 0
	.set _ZN9rocsparseL22csrmvn_adaptive_kernelIiiaaffEEvbT_PKS1_PjPKT0_NS_24const_host_device_scalarIT4_EES3_S7_PKT1_PKT2_SA_PT3_21rocsparse_index_base_b.has_dyn_sized_stack, 0
	.set _ZN9rocsparseL22csrmvn_adaptive_kernelIiiaaffEEvbT_PKS1_PjPKT0_NS_24const_host_device_scalarIT4_EES3_S7_PKT1_PKT2_SA_PT3_21rocsparse_index_base_b.has_recursion, 0
	.set _ZN9rocsparseL22csrmvn_adaptive_kernelIiiaaffEEvbT_PKS1_PjPKT0_NS_24const_host_device_scalarIT4_EES3_S7_PKT1_PKT2_SA_PT3_21rocsparse_index_base_b.has_indirect_call, 0
	.section	.AMDGPU.csdata,"",@progbits
; Kernel info:
; codeLenInByte = 4960
; TotalNumSgprs: 46
; NumVgprs: 16
; ScratchSize: 0
; MemoryBound: 0
; FloatMode: 240
; IeeeMode: 1
; LDSByteSize: 4096 bytes/workgroup (compile time only)
; SGPRBlocks: 0
; VGPRBlocks: 1
; NumSGPRsForWavesPerEU: 46
; NumVGPRsForWavesPerEU: 16
; Occupancy: 16
; WaveLimiterHint : 1
; COMPUTE_PGM_RSRC2:SCRATCH_EN: 0
; COMPUTE_PGM_RSRC2:USER_SGPR: 2
; COMPUTE_PGM_RSRC2:TRAP_HANDLER: 0
; COMPUTE_PGM_RSRC2:TGID_X_EN: 1
; COMPUTE_PGM_RSRC2:TGID_Y_EN: 0
; COMPUTE_PGM_RSRC2:TGID_Z_EN: 0
; COMPUTE_PGM_RSRC2:TIDIG_COMP_CNT: 0
	.section	.text._ZN9rocsparseL27csrmvn_symm_adaptive_kernelIiiaaffEEvbT_S1_PKS1_NS_24const_host_device_scalarIT4_EES3_PKT0_PKT1_PKT2_S6_PT3_21rocsparse_index_base_b,"axG",@progbits,_ZN9rocsparseL27csrmvn_symm_adaptive_kernelIiiaaffEEvbT_S1_PKS1_NS_24const_host_device_scalarIT4_EES3_PKT0_PKT1_PKT2_S6_PT3_21rocsparse_index_base_b,comdat
	.globl	_ZN9rocsparseL27csrmvn_symm_adaptive_kernelIiiaaffEEvbT_S1_PKS1_NS_24const_host_device_scalarIT4_EES3_PKT0_PKT1_PKT2_S6_PT3_21rocsparse_index_base_b ; -- Begin function _ZN9rocsparseL27csrmvn_symm_adaptive_kernelIiiaaffEEvbT_S1_PKS1_NS_24const_host_device_scalarIT4_EES3_PKT0_PKT1_PKT2_S6_PT3_21rocsparse_index_base_b
	.p2align	8
	.type	_ZN9rocsparseL27csrmvn_symm_adaptive_kernelIiiaaffEEvbT_S1_PKS1_NS_24const_host_device_scalarIT4_EES3_PKT0_PKT1_PKT2_S6_PT3_21rocsparse_index_base_b,@function
_ZN9rocsparseL27csrmvn_symm_adaptive_kernelIiiaaffEEvbT_S1_PKS1_NS_24const_host_device_scalarIT4_EES3_PKT0_PKT1_PKT2_S6_PT3_21rocsparse_index_base_b: ; @_ZN9rocsparseL27csrmvn_symm_adaptive_kernelIiiaaffEEvbT_S1_PKS1_NS_24const_host_device_scalarIT4_EES3_PKT0_PKT1_PKT2_S6_PT3_21rocsparse_index_base_b
; %bb.0:
	s_clause 0x2
	s_load_b64 s[20:21], s[0:1], 0x50
	s_load_b64 s[22:23], s[0:1], 0x18
	;; [unrolled: 1-line block ×3, first 2 shown]
	s_wait_kmcnt 0x0
	s_bitcmp1_b32 s21, 0
	s_cselect_b32 s4, -1, 0
	s_delay_alu instid0(SALU_CYCLE_1)
	s_and_b32 vcc_lo, exec_lo, s4
	s_xor_b32 s4, s4, -1
	s_cbranch_vccnz .LBB56_2
; %bb.1:
	s_load_b32 s22, s[22:23], 0x0
.LBB56_2:
	s_and_not1_b32 vcc_lo, exec_lo, s4
	s_cbranch_vccnz .LBB56_4
; %bb.3:
	s_load_b32 s2, s[2:3], 0x0
.LBB56_4:
	s_wait_kmcnt 0x0
	s_cmp_neq_f32 s22, 0
	s_cselect_b32 s3, -1, 0
	s_cmp_neq_f32 s2, 1.0
	s_cselect_b32 s2, -1, 0
	s_delay_alu instid0(SALU_CYCLE_1) | instskip(NEXT) | instid1(SALU_CYCLE_1)
	s_or_b32 s2, s3, s2
	s_and_not1_b32 vcc_lo, exec_lo, s2
	s_cbranch_vccnz .LBB56_141
; %bb.5:
	s_load_b64 s[4:5], s[0:1], 0x10
	s_mov_b32 s2, ttmp9
	s_ashr_i32 s3, ttmp9, 31
	v_lshlrev_b32_e32 v7, 2, v0
	v_mov_b32_e32 v1, 0
	s_lshl_b64 s[2:3], s[2:3], 2
	ds_store_2addr_stride64_b32 v7, v1, v1 offset1:4
	ds_store_2addr_stride64_b32 v7, v1, v1 offset0:8 offset1:12
	s_wait_dscnt 0x0
	s_barrier_signal -1
	s_barrier_wait -1
	global_inv scope:SCOPE_SE
	v_subrev_nc_u32_e32 v8, s20, v0
	s_wait_kmcnt 0x0
	s_add_nc_u64 s[2:3], s[4:5], s[2:3]
	s_load_b64 s[18:19], s[2:3], 0x0
	s_clause 0x1
	s_load_b256 s[8:15], s[0:1], 0x20
	s_load_b64 s[16:17], s[0:1], 0x48
	s_mov_b32 s2, -1
	s_wait_kmcnt 0x0
	s_sub_co_i32 s21, s19, s18
	s_wait_alu 0xfffe
	s_cmp_gt_i32 s21, 2
	s_cbranch_scc1 .LBB56_34
; %bb.6:
	s_cmp_le_i32 s19, s18
	s_cbranch_scc1 .LBB56_24
; %bb.7:
	v_cmp_gt_u32_e64 s2, 16, v0
	v_cmp_gt_u32_e64 s3, 4, v0
	v_cmp_eq_u32_e64 s4, 0, v0
	v_mov_b32_e32 v9, 0
	s_mov_b32 s24, s18
	v_cmp_gt_u32_e32 vcc_lo, 64, v0
	s_branch .LBB56_9
.LBB56_8:                               ;   in Loop: Header=BB56_9 Depth=1
	s_wait_alu 0xfffe
	s_or_b32 exec_lo, exec_lo, s6
	s_add_co_i32 s24, s24, 1
	s_delay_alu instid0(SALU_CYCLE_1)
	s_cmp_ge_i32 s24, s19
	s_cbranch_scc1 .LBB56_24
.LBB56_9:                               ; =>This Loop Header: Depth=1
                                        ;     Child Loop BB56_11 Depth 2
	s_ashr_i32 s25, s24, 31
	v_mov_b32_e32 v2, 0
	s_lshl_b64 s[26:27], s[24:25], 2
	s_delay_alu instid0(SALU_CYCLE_1)
	s_add_nc_u64 s[6:7], s[8:9], s[26:27]
	s_load_b64 s[6:7], s[6:7], 0x0
	s_wait_kmcnt 0x0
	v_add_nc_u32_e32 v1, s6, v8
	s_sub_co_i32 s23, s7, s20
	s_mov_b32 s7, exec_lo
	s_wait_alu 0xfffe
	s_delay_alu instid0(VALU_DEP_1)
	v_cmpx_gt_i32_e64 s23, v1
	s_cbranch_execz .LBB56_13
; %bb.10:                               ;   in Loop: Header=BB56_9 Depth=1
	v_ashrrev_i32_e32 v2, 31, v1
	v_add_co_u32 v3, s5, s12, v1
	s_mov_b32 s25, 0
	v_lshlrev_b64_e32 v[5:6], 2, v[1:2]
	s_wait_alu 0xf1ff
	v_add_co_ci_u32_e64 v4, null, s13, v2, s5
	v_mov_b32_e32 v2, 0
	s_delay_alu instid0(VALU_DEP_3)
	v_add_co_u32 v5, s5, s10, v5
	s_wait_alu 0xf1ff
	v_add_co_ci_u32_e64 v6, null, s11, v6, s5
.LBB56_11:                              ;   Parent Loop BB56_9 Depth=1
                                        ; =>  This Inner Loop Header: Depth=2
	global_load_b32 v10, v[5:6], off
	s_wait_loadcnt 0x0
	v_subrev_nc_u32_e32 v10, s20, v10
	s_delay_alu instid0(VALU_DEP_1) | instskip(SKIP_2) | instid1(VALU_DEP_2)
	v_ashrrev_i32_e32 v11, 31, v10
	v_add_co_u32 v10, s5, s14, v10
	s_wait_alu 0xf1ff
	v_add_co_ci_u32_e64 v11, null, s15, v11, s5
	v_add_co_u32 v5, s5, 0x400, v5
	global_load_i8 v12, v[3:4], off
	global_load_i8 v10, v[10:11], off
	s_wait_alu 0xf1ff
	v_add_co_ci_u32_e64 v6, null, 0, v6, s5
	v_add_co_u32 v3, s5, 0x100, v3
	s_wait_alu 0xf1ff
	v_add_co_ci_u32_e64 v4, null, 0, v4, s5
	s_wait_loadcnt 0x1
	v_cvt_f32_i32_e32 v11, v12
	s_wait_loadcnt 0x0
	v_cvt_f32_i32_e32 v10, v10
	s_delay_alu instid0(VALU_DEP_1) | instskip(NEXT) | instid1(VALU_DEP_1)
	v_dual_fmac_f32 v2, v11, v10 :: v_dual_add_nc_u32 v1, 0x100, v1
	v_cmp_le_i32_e64 s6, s23, v1
	s_or_b32 s25, s6, s25
	s_delay_alu instid0(SALU_CYCLE_1)
	s_and_not1_b32 exec_lo, exec_lo, s25
	s_cbranch_execnz .LBB56_11
; %bb.12:                               ;   in Loop: Header=BB56_9 Depth=1
	s_or_b32 exec_lo, exec_lo, s25
.LBB56_13:                              ;   in Loop: Header=BB56_9 Depth=1
	s_wait_alu 0xfffe
	s_or_b32 exec_lo, exec_lo, s7
	ds_store_b32 v7, v2
	s_wait_loadcnt_dscnt 0x0
	s_barrier_signal -1
	s_barrier_wait -1
	global_inv scope:SCOPE_SE
	ds_load_2addr_stride64_b32 v[1:2], v7 offset1:4
	ds_load_2addr_stride64_b32 v[3:4], v7 offset0:8 offset1:12
	s_wait_dscnt 0x0
	v_add_f32_e32 v2, v2, v3
	s_delay_alu instid0(VALU_DEP_1) | instskip(NEXT) | instid1(VALU_DEP_1)
	v_add_f32_e32 v2, v2, v4
	v_add_f32_e32 v1, v1, v2
	ds_store_b32 v7, v1
	s_wait_loadcnt_dscnt 0x0
	s_barrier_signal -1
	s_barrier_wait -1
	global_inv scope:SCOPE_SE
	s_and_saveexec_b32 s5, vcc_lo
	s_cbranch_execz .LBB56_15
; %bb.14:                               ;   in Loop: Header=BB56_9 Depth=1
	ds_load_2addr_stride64_b32 v[1:2], v7 offset1:1
	ds_load_2addr_stride64_b32 v[3:4], v7 offset0:2 offset1:3
	s_wait_dscnt 0x0
	v_add_f32_e32 v2, v2, v3
	s_delay_alu instid0(VALU_DEP_1) | instskip(NEXT) | instid1(VALU_DEP_1)
	v_add_f32_e32 v2, v2, v4
	v_add_f32_e32 v1, v1, v2
	ds_store_b32 v7, v1
.LBB56_15:                              ;   in Loop: Header=BB56_9 Depth=1
	s_wait_alu 0xfffe
	s_or_b32 exec_lo, exec_lo, s5
	s_wait_loadcnt_dscnt 0x0
	s_barrier_signal -1
	s_barrier_wait -1
	global_inv scope:SCOPE_SE
	s_and_saveexec_b32 s5, s2
	s_cbranch_execz .LBB56_17
; %bb.16:                               ;   in Loop: Header=BB56_9 Depth=1
	ds_load_2addr_b32 v[1:2], v7 offset1:16
	ds_load_2addr_b32 v[3:4], v7 offset0:32 offset1:48
	s_wait_dscnt 0x0
	v_add_f32_e32 v2, v2, v3
	s_delay_alu instid0(VALU_DEP_1) | instskip(NEXT) | instid1(VALU_DEP_1)
	v_add_f32_e32 v2, v2, v4
	v_add_f32_e32 v1, v1, v2
	ds_store_b32 v7, v1
.LBB56_17:                              ;   in Loop: Header=BB56_9 Depth=1
	s_wait_alu 0xfffe
	s_or_b32 exec_lo, exec_lo, s5
	s_wait_loadcnt_dscnt 0x0
	s_barrier_signal -1
	s_barrier_wait -1
	global_inv scope:SCOPE_SE
	s_and_saveexec_b32 s5, s3
	s_cbranch_execz .LBB56_19
; %bb.18:                               ;   in Loop: Header=BB56_9 Depth=1
	ds_load_2addr_b32 v[1:2], v7 offset1:4
	ds_load_2addr_b32 v[3:4], v7 offset0:8 offset1:12
	s_wait_dscnt 0x0
	v_add_f32_e32 v2, v2, v3
	s_delay_alu instid0(VALU_DEP_1) | instskip(NEXT) | instid1(VALU_DEP_1)
	v_add_f32_e32 v2, v2, v4
	v_add_f32_e32 v1, v1, v2
	ds_store_b32 v7, v1
.LBB56_19:                              ;   in Loop: Header=BB56_9 Depth=1
	s_wait_alu 0xfffe
	s_or_b32 exec_lo, exec_lo, s5
	s_wait_loadcnt_dscnt 0x0
	s_barrier_signal -1
	s_barrier_wait -1
	global_inv scope:SCOPE_SE
	s_and_saveexec_b32 s5, s4
	s_cbranch_execz .LBB56_21
; %bb.20:                               ;   in Loop: Header=BB56_9 Depth=1
	ds_load_2addr_b32 v[1:2], v9 offset0:1 offset1:2
	ds_load_b32 v3, v9 offset:12
	ds_load_b32 v4, v7
	s_wait_dscnt 0x2
	v_add_f32_e32 v1, v1, v2
	s_wait_dscnt 0x1
	s_delay_alu instid0(VALU_DEP_1) | instskip(SKIP_1) | instid1(VALU_DEP_1)
	v_add_f32_e32 v1, v1, v3
	s_wait_dscnt 0x0
	v_add_f32_e32 v1, v4, v1
	ds_store_b32 v7, v1
.LBB56_21:                              ;   in Loop: Header=BB56_9 Depth=1
	s_wait_alu 0xfffe
	s_or_b32 exec_lo, exec_lo, s5
	s_wait_loadcnt_dscnt 0x0
	s_barrier_signal -1
	s_barrier_wait -1
	global_inv scope:SCOPE_SE
	s_and_saveexec_b32 s6, s4
	s_cbranch_execz .LBB56_8
; %bb.22:                               ;   in Loop: Header=BB56_9 Depth=1
	s_mov_b32 s7, exec_lo
	s_wait_alu 0xfffe
	v_mbcnt_lo_u32_b32 v1, s7, 0
	s_delay_alu instid0(VALU_DEP_1)
	v_cmp_eq_u32_e64 s5, 0, v1
	s_and_b32 s5, exec_lo, s5
	s_wait_alu 0xfffe
	s_mov_b32 exec_lo, s5
	s_cbranch_execz .LBB56_8
; %bb.23:                               ;   in Loop: Header=BB56_9 Depth=1
	ds_load_b32 v1, v9
	s_bcnt1_i32_b32 s5, s7
	s_add_nc_u64 s[26:27], s[16:17], s[26:27]
	s_wait_alu 0xfffe
	v_cvt_f32_ubyte0_e32 v2, s5
	s_wait_dscnt 0x0
	v_mul_f32_e32 v1, s22, v1
	s_delay_alu instid0(VALU_DEP_1)
	v_mul_f32_e32 v1, v1, v2
	global_atomic_add_f32 v9, v1, s[26:27] scope:SCOPE_DEV
	s_branch .LBB56_8
.LBB56_24:
	s_ashr_i32 s3, s18, 31
	s_mov_b32 s2, s18
	s_ashr_i32 s5, s19, 31
	s_lshl_b64 s[2:3], s[2:3], 2
	s_mov_b32 s4, s19
	s_add_nc_u64 s[2:3], s[8:9], s[2:3]
	s_wait_alu 0xfffe
	s_lshl_b64 s[4:5], s[4:5], 2
	s_load_b32 s6, s[2:3], 0x0
	s_add_nc_u64 s[2:3], s[8:9], s[4:5]
	s_mov_b32 s4, exec_lo
	s_load_b32 s2, s[2:3], 0x0
	s_wait_kmcnt 0x0
	v_add_nc_u32_e32 v1, s6, v8
	s_sub_co_i32 s3, s2, s20
	s_delay_alu instid0(VALU_DEP_1) | instid1(SALU_CYCLE_1)
	v_cmpx_gt_i32_e64 s3, v1
	s_cbranch_execz .LBB56_33
; %bb.25:
	s_add_co_i32 s5, s19, -1
	s_mov_b32 s7, 0
	s_wait_alu 0xfffe
	s_cmp_lt_i32 s18, s5
	s_cselect_b32 s2, -1, 0
	s_add_co_i32 s6, s19, -2
	s_wait_alu 0xfffe
	s_cmp_lg_u32 s18, s6
	s_cselect_b32 s6, -1, 0
	s_wait_alu 0xfffe
	s_and_b32 s6, s2, s6
	s_branch .LBB56_27
.LBB56_26:                              ;   in Loop: Header=BB56_27 Depth=1
	s_wait_alu 0xfffe
	s_or_b32 exec_lo, exec_lo, s2
	v_add_nc_u32_e32 v1, 0x100, v1
	s_delay_alu instid0(VALU_DEP_1)
	v_cmp_le_i32_e32 vcc_lo, s3, v1
	s_or_b32 s7, vcc_lo, s7
	s_wait_alu 0xfffe
	s_and_not1_b32 exec_lo, exec_lo, s7
	s_cbranch_execz .LBB56_33
.LBB56_27:                              ; =>This Loop Header: Depth=1
                                        ;     Child Loop BB56_29 Depth 2
	v_mov_b32_e32 v5, s18
	v_mov_b32_e32 v3, s5
	s_wait_alu 0xfffe
	s_and_not1_b32 vcc_lo, exec_lo, s6
	s_wait_alu 0xfffe
	s_cbranch_vccnz .LBB56_31
; %bb.28:                               ;   in Loop: Header=BB56_27 Depth=1
	v_mov_b32_e32 v5, s18
	v_mov_b32_e32 v3, s5
	s_mov_b32 s23, 0
.LBB56_29:                              ;   Parent Loop BB56_27 Depth=1
                                        ; =>  This Inner Loop Header: Depth=2
	s_delay_alu instid0(VALU_DEP_1) | instskip(NEXT) | instid1(VALU_DEP_1)
	v_add_nc_u32_e32 v2, v3, v5
	v_lshrrev_b32_e32 v4, 31, v2
	s_delay_alu instid0(VALU_DEP_1) | instskip(NEXT) | instid1(VALU_DEP_1)
	v_add_nc_u32_e32 v2, v2, v4
	v_ashrrev_i32_e32 v9, 1, v2
	s_delay_alu instid0(VALU_DEP_1) | instskip(NEXT) | instid1(VALU_DEP_1)
	v_ashrrev_i32_e32 v10, 31, v9
	v_lshlrev_b64_e32 v[10:11], 2, v[9:10]
	s_delay_alu instid0(VALU_DEP_1) | instskip(SKIP_1) | instid1(VALU_DEP_2)
	v_add_co_u32 v10, vcc_lo, s8, v10
	s_wait_alu 0xfffd
	v_add_co_ci_u32_e64 v11, null, s9, v11, vcc_lo
	global_load_b32 v2, v[10:11], off
	s_wait_loadcnt 0x0
	v_subrev_nc_u32_e32 v2, s20, v2
	s_delay_alu instid0(VALU_DEP_1) | instskip(SKIP_2) | instid1(VALU_DEP_1)
	v_cmp_lt_i32_e32 vcc_lo, v1, v2
	s_wait_alu 0xfffd
	v_cndmask_b32_e32 v3, v3, v9, vcc_lo
	v_dual_cndmask_b32 v5, v9, v5 :: v_dual_add_nc_u32 v2, -1, v3
	s_delay_alu instid0(VALU_DEP_1) | instskip(NEXT) | instid1(VALU_DEP_2)
	v_cmp_ge_i32_e32 vcc_lo, v5, v3
	v_cmp_eq_u32_e64 s2, v5, v2
	s_or_b32 s2, vcc_lo, s2
	s_wait_alu 0xfffe
	s_and_b32 s2, exec_lo, s2
	s_wait_alu 0xfffe
	s_or_b32 s23, s2, s23
	s_wait_alu 0xfffe
	s_and_not1_b32 exec_lo, exec_lo, s23
	s_cbranch_execnz .LBB56_29
; %bb.30:                               ;   in Loop: Header=BB56_27 Depth=1
	s_or_b32 exec_lo, exec_lo, s23
.LBB56_31:                              ;   in Loop: Header=BB56_27 Depth=1
	v_ashrrev_i32_e32 v4, 31, v3
	v_ashrrev_i32_e32 v2, 31, v1
	s_mov_b32 s2, exec_lo
	s_delay_alu instid0(VALU_DEP_2) | instskip(NEXT) | instid1(VALU_DEP_2)
	v_lshlrev_b64_e32 v[9:10], 2, v[3:4]
	v_lshlrev_b64_e32 v[11:12], 2, v[1:2]
	s_delay_alu instid0(VALU_DEP_2) | instskip(SKIP_1) | instid1(VALU_DEP_3)
	v_add_co_u32 v9, vcc_lo, s8, v9
	s_wait_alu 0xfffd
	v_add_co_ci_u32_e64 v10, null, s9, v10, vcc_lo
	global_load_b32 v4, v[9:10], off
	v_add_co_u32 v9, vcc_lo, s10, v11
	s_wait_alu 0xfffd
	v_add_co_ci_u32_e64 v10, null, s11, v12, vcc_lo
	global_load_b32 v6, v[9:10], off
	s_wait_loadcnt 0x1
	v_subrev_nc_u32_e32 v4, s20, v4
	s_delay_alu instid0(VALU_DEP_1) | instskip(SKIP_4) | instid1(VALU_DEP_1)
	v_cmp_lt_i32_e32 vcc_lo, v1, v4
	s_wait_alu 0xfffd
	v_cndmask_b32_e32 v4, v3, v5, vcc_lo
	s_wait_loadcnt 0x0
	v_subrev_nc_u32_e32 v3, s20, v6
	v_cmpx_ne_u32_e64 v3, v4
	s_cbranch_execz .LBB56_26
; %bb.32:                               ;   in Loop: Header=BB56_27 Depth=1
	v_add_co_u32 v5, vcc_lo, s12, v1
	s_wait_alu 0xfffd
	v_add_co_ci_u32_e64 v6, null, s13, v2, vcc_lo
	v_ashrrev_i32_e32 v2, 31, v4
	v_add_co_u32 v4, vcc_lo, s14, v4
	global_load_i8 v6, v[5:6], off
	s_wait_alu 0xfffd
	v_add_co_ci_u32_e64 v5, null, s15, v2, vcc_lo
	global_load_i8 v5, v[4:5], off
	v_ashrrev_i32_e32 v4, 31, v3
	s_delay_alu instid0(VALU_DEP_1) | instskip(NEXT) | instid1(VALU_DEP_1)
	v_lshlrev_b64_e32 v[2:3], 2, v[3:4]
	v_add_co_u32 v2, vcc_lo, s16, v2
	s_wait_alu 0xfffd
	s_delay_alu instid0(VALU_DEP_2) | instskip(SKIP_2) | instid1(VALU_DEP_1)
	v_add_co_ci_u32_e64 v3, null, s17, v3, vcc_lo
	s_wait_loadcnt 0x1
	v_cvt_f32_i32_e32 v6, v6
	v_mul_f32_e32 v4, s22, v6
	s_wait_loadcnt 0x0
	v_cvt_f32_i32_e32 v5, v5
	s_delay_alu instid0(VALU_DEP_1)
	v_mul_f32_e32 v4, v4, v5
	global_atomic_add_f32 v[2:3], v4, off scope:SCOPE_DEV
	s_branch .LBB56_26
.LBB56_33:
	s_or_b32 exec_lo, exec_lo, s4
	s_mov_b32 s2, 0
.LBB56_34:
	s_wait_alu 0xfffe
	s_and_b32 vcc_lo, exec_lo, s2
	s_wait_alu 0xfffe
	s_cbranch_vccz .LBB56_141
; %bb.35:
	s_ashr_i32 s3, s18, 31
	s_mov_b32 s2, s18
	s_cvt_f32_u32 s4, s21
	s_wait_alu 0xfffe
	s_lshl_b64 s[2:3], s[2:3], 2
	s_mov_b32 s5, 0
	s_wait_alu 0xfffe
	s_add_nc_u64 s[2:3], s[8:9], s[2:3]
	v_rcp_iflag_f32_e32 v1, s4
	s_load_b32 s23, s[2:3], 0x0
	s_clause 0x1
	s_load_b64 s[6:7], s[0:1], 0x4
	s_load_b32 s1, s[0:1], 0x64
	s_delay_alu instid0(TRANS32_DEP_1) | instskip(SKIP_1) | instid1(SALU_CYCLE_3)
	v_readfirstlane_b32 s0, v1
	s_mul_f32 s0, s0, 0x4f7ffffe
	s_cvt_u32_f32 s24, s0
	s_sub_co_i32 s0, 0, s21
	s_wait_kmcnt 0x0
	v_add_nc_u32_e32 v1, s23, v8
	s_mul_i32 s0, s0, s24
	s_delay_alu instid0(VALU_DEP_1) | instskip(NEXT) | instid1(VALU_DEP_1)
	v_add_nc_u32_e32 v8, 0x300, v1
	v_cmp_le_i32_e32 vcc_lo, s6, v8
	s_mul_hi_u32 s6, s24, s0
	s_and_saveexec_b32 s0, vcc_lo
	s_delay_alu instid0(SALU_CYCLE_1)
	s_xor_b32 s4, exec_lo, s0
	s_cbranch_execz .LBB56_40
; %bb.36:
	s_ashr_i32 s27, s19, 31
	s_mov_b32 s26, s19
	s_delay_alu instid0(SALU_CYCLE_1) | instskip(NEXT) | instid1(SALU_CYCLE_1)
	s_lshl_b64 s[26:27], s[26:27], 2
	s_add_nc_u64 s[26:27], s[8:9], s[26:27]
	s_load_b32 s0, s[26:27], 0x0
	s_mov_b32 s26, exec_lo
	s_wait_kmcnt 0x0
	s_sub_co_i32 s25, s0, s23
	s_delay_alu instid0(SALU_CYCLE_1)
	v_cmpx_gt_i32_e64 s25, v0
	s_cbranch_execz .LBB56_39
; %bb.37:
	v_dual_mov_b32 v2, v7 :: v_dual_mov_b32 v3, v0
	s_sub_co_i32 s27, s23, s20
	s_mov_b32 s28, 0
.LBB56_38:                              ; =>This Inner Loop Header: Depth=1
	s_delay_alu instid0(VALU_DEP_1) | instskip(NEXT) | instid1(VALU_DEP_1)
	v_add_nc_u32_e32 v4, s27, v3
	v_ashrrev_i32_e32 v5, 31, v4
	v_add_co_u32 v4, s0, s12, v4
	s_wait_alu 0xf1ff
	s_delay_alu instid0(VALU_DEP_2) | instskip(SKIP_3) | instid1(VALU_DEP_1)
	v_add_co_ci_u32_e64 v5, null, s13, v5, s0
	global_load_i8 v4, v[4:5], off
	s_wait_loadcnt 0x0
	v_cvt_f32_i32_e32 v4, v4
	v_dual_mul_f32 v4, s22, v4 :: v_dual_add_nc_u32 v3, 0x100, v3
	s_delay_alu instid0(VALU_DEP_1) | instskip(SKIP_3) | instid1(SALU_CYCLE_1)
	v_cmp_le_i32_e64 s0, s25, v3
	ds_store_b32 v2, v4
	v_add_nc_u32_e32 v2, 0x400, v2
	s_or_b32 s28, s0, s28
	s_and_not1_b32 exec_lo, exec_lo, s28
	s_cbranch_execnz .LBB56_38
.LBB56_39:
	s_or_b32 exec_lo, exec_lo, s26
.LBB56_40:
	s_wait_alu 0xfffe
	s_or_saveexec_b32 s25, s4
	v_ashrrev_i32_e32 v2, 31, v1
	s_and_b32 s4, s1, 0xffff
	s_add_co_i32 s24, s24, s6
	s_wait_alu 0xfffe
	s_xor_b32 exec_lo, exec_lo, s25
	s_cbranch_execz .LBB56_42
; %bb.41:
	v_add_co_u32 v3, s0, s12, v1
	s_wait_alu 0xf1ff
	v_add_co_ci_u32_e64 v4, null, s13, v2, s0
	s_clause 0x3
	global_load_i8 v5, v[3:4], off
	global_load_i8 v6, v[3:4], off offset:256
	global_load_i8 v9, v[3:4], off offset:512
	;; [unrolled: 1-line block ×3, first 2 shown]
	s_wait_loadcnt 0x3
	v_cvt_f32_i32_e32 v4, v5
	s_wait_loadcnt 0x2
	v_cvt_f32_i32_e32 v5, v6
	;; [unrolled: 2-line block ×4, first 2 shown]
	v_dual_mul_f32 v4, s22, v4 :: v_dual_mul_f32 v5, s22, v5
	s_delay_alu instid0(VALU_DEP_2)
	v_dual_mul_f32 v6, s22, v6 :: v_dual_mul_f32 v3, s22, v3
	ds_store_2addr_stride64_b32 v7, v4, v5 offset1:4
	ds_store_2addr_stride64_b32 v7, v6, v3 offset0:8 offset1:12
.LBB56_42:
	s_or_b32 exec_lo, exec_lo, s25
	v_lshl_add_u32 v6, v0, 2, 0x1000
	s_mov_b32 s25, s5
	s_mov_b32 s1, exec_lo
	v_cmpx_gt_i32_e64 s7, v0
	s_cbranch_execz .LBB56_45
; %bb.43:
	v_lshl_add_u32 v3, v0, 2, 0x1000
	v_dual_mov_b32 v4, 0 :: v_dual_mov_b32 v5, v0
	s_mov_b32 s6, 0
.LBB56_44:                              ; =>This Inner Loop Header: Depth=1
	s_delay_alu instid0(VALU_DEP_1)
	v_add_nc_u32_e32 v5, 0x100, v5
	ds_store_b32 v3, v4
	v_add_nc_u32_e32 v3, 0x400, v3
	v_cmp_le_i32_e64 s0, s7, v5
	s_wait_alu 0xfffe
	s_or_b32 s6, s0, s6
	s_wait_alu 0xfffe
	s_and_not1_b32 exec_lo, exec_lo, s6
	s_cbranch_execnz .LBB56_44
.LBB56_45:
	s_wait_alu 0xfffe
	s_or_b32 exec_lo, exec_lo, s1
	s_mul_u64 s[0:1], s[4:5], s[24:25]
	s_sub_co_i32 s0, s19, s7
	s_cmp_ge_i32 s19, s7
	s_wait_storecnt 0x0
	s_wait_loadcnt_dscnt 0x0
	s_wait_alu 0xfffe
	s_cselect_b32 s5, s0, 0
	s_barrier_signal -1
	s_barrier_wait -1
	global_inv scope:SCOPE_SE
	s_and_saveexec_b32 s0, vcc_lo
	s_wait_alu 0xfffe
	s_xor_b32 s6, exec_lo, s0
	s_cbranch_execz .LBB56_62
; %bb.46:
	s_ashr_i32 s13, s19, 31
	s_mov_b32 s12, s19
	s_wait_alu 0xfffe
	s_lshl_b64 s[12:13], s[12:13], 2
	s_wait_alu 0xfffe
	s_add_nc_u64 s[12:13], s[8:9], s[12:13]
	s_load_b32 s0, s[12:13], 0x0
	s_mov_b32 s13, exec_lo
	s_wait_kmcnt 0x0
	s_sub_co_i32 s12, s0, s23
	s_wait_alu 0xfffe
	v_cmpx_gt_i32_e64 s12, v0
	s_cbranch_execz .LBB56_61
; %bb.47:
	s_add_co_i32 s24, s19, -2
	s_add_co_i32 s22, s19, -1
	s_wait_alu 0xfffe
	s_cmp_lg_u32 s18, s24
	s_mov_b32 s26, 0
	s_cselect_b32 s24, -1, 0
	s_sub_co_i32 s25, s0, s20
	s_mov_b32 s27, 0
	s_branch .LBB56_50
.LBB56_48:                              ;   in Loop: Header=BB56_50 Depth=1
	s_wait_alu 0xfffe
	s_or_b32 exec_lo, exec_lo, s0
.LBB56_49:                              ;   in Loop: Header=BB56_50 Depth=1
	s_delay_alu instid0(SALU_CYCLE_1)
	s_or_b32 exec_lo, exec_lo, s28
	v_ashrrev_i32_e32 v4, 31, v3
	v_add_co_u32 v3, vcc_lo, s14, v3
	s_addk_co_i32 s27, 0x100
	s_wait_alu 0xfffd
	v_add_co_ci_u32_e64 v4, null, s15, v4, vcc_lo
	global_load_i8 v3, v[3:4], off
	s_wait_loadcnt 0x0
	v_cvt_f32_i32_e32 v3, v3
	s_wait_dscnt 0x0
	s_wait_alu 0xfffe
	s_delay_alu instid0(VALU_DEP_1) | instskip(NEXT) | instid1(VALU_DEP_1)
	v_dual_mul_f32 v3, v5, v3 :: v_dual_add_nc_u32 v4, s27, v0
	v_cmp_le_i32_e32 vcc_lo, s12, v4
	ds_store_b32 v2, v3
	s_or_b32 s26, vcc_lo, s26
	s_wait_alu 0xfffe
	s_and_not1_b32 exec_lo, exec_lo, s26
	s_cbranch_execz .LBB56_61
.LBB56_50:                              ; =>This Loop Header: Depth=1
                                        ;     Child Loop BB56_52 Depth 2
	s_wait_alu 0xfffe
	v_add_nc_u32_e32 v2, s27, v1
	v_mov_b32_e32 v8, s18
	v_mov_b32_e32 v4, s22
	s_and_not1_b32 vcc_lo, exec_lo, s24
	s_wait_alu 0xfffe
	s_cbranch_vccnz .LBB56_54
; %bb.51:                               ;   in Loop: Header=BB56_50 Depth=1
	v_mov_b32_e32 v8, s18
	v_mov_b32_e32 v4, s22
	s_mov_b32 s28, 0
.LBB56_52:                              ;   Parent Loop BB56_50 Depth=1
                                        ; =>  This Inner Loop Header: Depth=2
	s_delay_alu instid0(VALU_DEP_1) | instskip(NEXT) | instid1(VALU_DEP_1)
	v_add_nc_u32_e32 v3, v4, v8
	v_lshrrev_b32_e32 v5, 31, v3
	s_delay_alu instid0(VALU_DEP_1) | instskip(NEXT) | instid1(VALU_DEP_1)
	v_add_nc_u32_e32 v3, v3, v5
	v_ashrrev_i32_e32 v9, 1, v3
	s_delay_alu instid0(VALU_DEP_1) | instskip(NEXT) | instid1(VALU_DEP_1)
	v_ashrrev_i32_e32 v10, 31, v9
	v_lshlrev_b64_e32 v[10:11], 2, v[9:10]
	s_delay_alu instid0(VALU_DEP_1) | instskip(SKIP_1) | instid1(VALU_DEP_2)
	v_add_co_u32 v10, vcc_lo, s8, v10
	s_wait_alu 0xfffd
	v_add_co_ci_u32_e64 v11, null, s9, v11, vcc_lo
	global_load_b32 v3, v[10:11], off
	s_wait_loadcnt 0x0
	v_subrev_nc_u32_e32 v3, s20, v3
	s_delay_alu instid0(VALU_DEP_1) | instskip(SKIP_3) | instid1(VALU_DEP_2)
	v_cmp_lt_i32_e32 vcc_lo, v2, v3
	s_wait_alu 0xfffd
	v_cndmask_b32_e32 v4, v4, v9, vcc_lo
	v_cndmask_b32_e32 v8, v9, v8, vcc_lo
	v_add_nc_u32_e32 v3, -1, v4
	s_delay_alu instid0(VALU_DEP_2) | instskip(NEXT) | instid1(VALU_DEP_2)
	v_cmp_ge_i32_e32 vcc_lo, v8, v4
	v_cmp_eq_u32_e64 s0, v8, v3
	s_or_b32 s0, vcc_lo, s0
	s_wait_alu 0xfffe
	s_and_b32 s0, exec_lo, s0
	s_wait_alu 0xfffe
	s_or_b32 s28, s0, s28
	s_delay_alu instid0(SALU_CYCLE_1)
	s_and_not1_b32 exec_lo, exec_lo, s28
	s_cbranch_execnz .LBB56_52
; %bb.53:                               ;   in Loop: Header=BB56_50 Depth=1
	s_or_b32 exec_lo, exec_lo, s28
.LBB56_54:                              ;   in Loop: Header=BB56_50 Depth=1
	s_delay_alu instid0(VALU_DEP_1) | instskip(SKIP_2) | instid1(VALU_DEP_3)
	v_ashrrev_i32_e32 v5, 31, v4
	v_ashrrev_i32_e32 v3, 31, v2
	v_cmp_le_i32_e64 s0, s25, v2
	v_lshlrev_b64_e32 v[9:10], 2, v[4:5]
	s_delay_alu instid0(VALU_DEP_3) | instskip(NEXT) | instid1(VALU_DEP_2)
	v_lshlrev_b64_e32 v[11:12], 2, v[2:3]
	v_add_co_u32 v9, vcc_lo, s8, v9
	s_wait_alu 0xfffd
	s_delay_alu instid0(VALU_DEP_3) | instskip(NEXT) | instid1(VALU_DEP_3)
	v_add_co_ci_u32_e64 v10, null, s9, v10, vcc_lo
	v_add_co_u32 v11, vcc_lo, s10, v11
	s_wait_alu 0xfffd
	v_add_co_ci_u32_e64 v12, null, s11, v12, vcc_lo
	global_load_b32 v3, v[9:10], off
	global_load_b32 v5, v[11:12], off
	s_wait_loadcnt 0x1
	v_subrev_nc_u32_e32 v9, s20, v3
	s_wait_loadcnt 0x0
	v_subrev_nc_u32_e32 v3, s20, v5
                                        ; implicit-def: $vgpr5
	s_delay_alu instid0(VALU_DEP_2) | instskip(SKIP_3) | instid1(VALU_DEP_1)
	v_cmp_lt_i32_e32 vcc_lo, v2, v9
	v_lshl_add_u32 v2, s27, 2, v7
	s_wait_alu 0xfffd
	v_cndmask_b32_e32 v4, v4, v8, vcc_lo
	v_cmp_eq_u32_e32 vcc_lo, v3, v4
	s_or_b32 s0, vcc_lo, s0
	s_wait_alu 0xfffe
	s_and_saveexec_b32 s28, s0
	s_delay_alu instid0(SALU_CYCLE_1)
	s_xor_b32 s0, exec_lo, s28
; %bb.55:                               ;   in Loop: Header=BB56_50 Depth=1
	ds_load_b32 v5, v2
                                        ; implicit-def: $vgpr4
; %bb.56:                               ;   in Loop: Header=BB56_50 Depth=1
	s_wait_alu 0xfffe
	s_and_not1_saveexec_b32 s28, s0
	s_cbranch_execz .LBB56_49
; %bb.57:                               ;   in Loop: Header=BB56_50 Depth=1
	s_wait_dscnt 0x0
	v_ashrrev_i32_e32 v5, 31, v4
	v_add_co_u32 v4, vcc_lo, s14, v4
	v_cmp_le_i32_e64 s0, s19, v3
	s_wait_alu 0xfffd
	s_delay_alu instid0(VALU_DEP_3)
	v_add_co_ci_u32_e64 v5, null, s15, v5, vcc_lo
	v_cmp_gt_i32_e32 vcc_lo, s5, v3
	global_load_i8 v4, v[4:5], off
	ds_load_b32 v5, v2
	s_or_b32 s0, vcc_lo, s0
	s_wait_loadcnt 0x0
	v_cvt_f32_i32_e32 v4, v4
	s_wait_dscnt 0x0
	s_delay_alu instid0(VALU_DEP_1) | instskip(SKIP_2) | instid1(SALU_CYCLE_1)
	v_mul_f32_e32 v8, v5, v4
	s_wait_alu 0xfffe
	s_and_saveexec_b32 s29, s0
	s_xor_b32 s0, exec_lo, s29
	s_cbranch_execz .LBB56_59
; %bb.58:                               ;   in Loop: Header=BB56_50 Depth=1
	v_ashrrev_i32_e32 v4, 31, v3
	s_delay_alu instid0(VALU_DEP_1) | instskip(NEXT) | instid1(VALU_DEP_1)
	v_lshlrev_b64_e32 v[9:10], 2, v[3:4]
	v_add_co_u32 v9, vcc_lo, s16, v9
	s_wait_alu 0xfffd
	s_delay_alu instid0(VALU_DEP_2)
	v_add_co_ci_u32_e64 v10, null, s17, v10, vcc_lo
	global_atomic_add_f32 v[9:10], v8, off scope:SCOPE_DEV
                                        ; implicit-def: $vgpr8
.LBB56_59:                              ;   in Loop: Header=BB56_50 Depth=1
	s_wait_alu 0xfffe
	s_and_not1_saveexec_b32 s0, s0
	s_cbranch_execz .LBB56_48
; %bb.60:                               ;   in Loop: Header=BB56_50 Depth=1
	v_subrev_nc_u32_e32 v4, s5, v3
	s_delay_alu instid0(VALU_DEP_1)
	v_lshl_add_u32 v4, v4, 2, 0x1000
	ds_add_f32 v4, v8
	s_branch .LBB56_48
.LBB56_61:
	s_or_b32 exec_lo, exec_lo, s13
                                        ; implicit-def: $vgpr8
                                        ; implicit-def: $vgpr1
.LBB56_62:
	s_wait_alu 0xfffe
	s_and_not1_saveexec_b32 s6, s6
	s_cbranch_execz .LBB56_116
; %bb.63:
	s_add_co_i32 s12, s19, -1
	s_add_co_i32 s0, s19, -2
	s_wait_alu 0xfffe
	v_dual_mov_b32 v9, s18 :: v_dual_mov_b32 v4, s12
	s_cmp_lg_u32 s18, s0
	s_cselect_b32 s13, -1, 0
	s_cmp_eq_u32 s18, s0
	s_cbranch_scc1 .LBB56_67
; %bb.64:
	v_dual_mov_b32 v9, s18 :: v_dual_mov_b32 v4, s12
	s_mov_b32 s22, 0
.LBB56_65:                              ; =>This Inner Loop Header: Depth=1
	s_delay_alu instid0(VALU_DEP_1) | instskip(NEXT) | instid1(VALU_DEP_1)
	v_add_nc_u32_e32 v3, v4, v9
	v_lshrrev_b32_e32 v5, 31, v3
	s_delay_alu instid0(VALU_DEP_1) | instskip(NEXT) | instid1(VALU_DEP_1)
	v_add_nc_u32_e32 v3, v3, v5
	v_ashrrev_i32_e32 v10, 1, v3
	s_delay_alu instid0(VALU_DEP_1) | instskip(NEXT) | instid1(VALU_DEP_1)
	v_ashrrev_i32_e32 v11, 31, v10
	v_lshlrev_b64_e32 v[11:12], 2, v[10:11]
	s_delay_alu instid0(VALU_DEP_1) | instskip(SKIP_1) | instid1(VALU_DEP_2)
	v_add_co_u32 v11, vcc_lo, s8, v11
	s_wait_alu 0xfffd
	v_add_co_ci_u32_e64 v12, null, s9, v12, vcc_lo
	global_load_b32 v3, v[11:12], off
	s_wait_loadcnt 0x0
	v_subrev_nc_u32_e32 v3, s20, v3
	s_delay_alu instid0(VALU_DEP_1) | instskip(SKIP_2) | instid1(VALU_DEP_1)
	v_cmp_lt_i32_e32 vcc_lo, v1, v3
	s_wait_alu 0xfffd
	v_dual_cndmask_b32 v4, v4, v10 :: v_dual_cndmask_b32 v9, v10, v9
	v_add_nc_u32_e32 v3, -1, v4
	s_delay_alu instid0(VALU_DEP_2) | instskip(NEXT) | instid1(VALU_DEP_2)
	v_cmp_ge_i32_e32 vcc_lo, v9, v4
	v_cmp_eq_u32_e64 s0, v9, v3
	s_or_b32 s0, vcc_lo, s0
	s_wait_alu 0xfffe
	s_and_b32 s0, exec_lo, s0
	s_wait_alu 0xfffe
	s_or_b32 s22, s0, s22
	s_wait_alu 0xfffe
	s_and_not1_b32 exec_lo, exec_lo, s22
	s_cbranch_execnz .LBB56_65
; %bb.66:
	s_or_b32 exec_lo, exec_lo, s22
.LBB56_67:
	v_ashrrev_i32_e32 v5, 31, v4
	v_lshlrev_b64_e32 v[2:3], 2, v[1:2]
	s_mov_b32 s0, exec_lo
	s_delay_alu instid0(VALU_DEP_2) | instskip(NEXT) | instid1(VALU_DEP_1)
	v_lshlrev_b64_e32 v[10:11], 2, v[4:5]
	v_add_co_u32 v10, vcc_lo, s8, v10
	s_wait_alu 0xfffd
	s_delay_alu instid0(VALU_DEP_2)
	v_add_co_ci_u32_e64 v11, null, s9, v11, vcc_lo
	v_add_co_u32 v2, vcc_lo, s10, v2
	s_wait_alu 0xfffd
	v_add_co_ci_u32_e64 v3, null, s11, v3, vcc_lo
	global_load_b32 v5, v[10:11], off
	s_ashr_i32 s11, s19, 31
	s_mov_b32 s10, s19
	global_load_b32 v10, v[2:3], off
	s_wait_alu 0xfffe
	s_lshl_b64 s[10:11], s[10:11], 2
                                        ; implicit-def: $vgpr11
	s_wait_alu 0xfffe
	s_add_nc_u64 s[10:11], s[8:9], s[10:11]
	s_wait_loadcnt 0x1
	v_subrev_nc_u32_e32 v5, s20, v5
	s_delay_alu instid0(VALU_DEP_1) | instskip(SKIP_4) | instid1(VALU_DEP_1)
	v_cmp_lt_i32_e32 vcc_lo, v1, v5
	s_wait_alu 0xfffd
	v_cndmask_b32_e32 v5, v4, v9, vcc_lo
	s_wait_loadcnt 0x0
	v_subrev_nc_u32_e32 v4, s20, v10
	v_cmpx_ne_u32_e64 v4, v5
	s_xor_b32 s22, exec_lo, s0
	s_cbranch_execz .LBB56_74
; %bb.68:
	s_load_b32 s0, s[10:11], 0x0
	ds_load_b32 v11, v7
	s_mov_b32 s24, exec_lo
	s_wait_kmcnt 0x0
	s_sub_co_i32 s0, s0, s20
	s_wait_alu 0xfffe
	v_cmpx_gt_i32_e64 s0, v1
	s_cbranch_execz .LBB56_73
; %bb.69:
	v_ashrrev_i32_e32 v10, 31, v5
	v_add_co_u32 v9, vcc_lo, s14, v5
	v_cmp_le_i32_e64 s0, s19, v4
	s_wait_alu 0xfffd
	s_delay_alu instid0(VALU_DEP_3)
	v_add_co_ci_u32_e64 v10, null, s15, v10, vcc_lo
	v_cmp_gt_i32_e32 vcc_lo, s5, v4
	global_load_i8 v5, v[9:10], off
	s_or_b32 s0, vcc_lo, s0
	s_wait_loadcnt 0x0
	v_cvt_f32_i32_e32 v5, v5
	s_wait_dscnt 0x0
	s_delay_alu instid0(VALU_DEP_1)
	v_mul_f32_e32 v9, v11, v5
	s_wait_alu 0xfffe
	s_and_saveexec_b32 s25, s0
	s_wait_alu 0xfffe
	s_xor_b32 s0, exec_lo, s25
	s_cbranch_execz .LBB56_71
; %bb.70:
	v_ashrrev_i32_e32 v5, 31, v4
	s_delay_alu instid0(VALU_DEP_1) | instskip(NEXT) | instid1(VALU_DEP_1)
	v_lshlrev_b64_e32 v[12:13], 2, v[4:5]
	v_add_co_u32 v12, vcc_lo, s16, v12
	s_wait_alu 0xfffd
	s_delay_alu instid0(VALU_DEP_2)
	v_add_co_ci_u32_e64 v13, null, s17, v13, vcc_lo
	global_atomic_add_f32 v[12:13], v9, off scope:SCOPE_DEV
                                        ; implicit-def: $vgpr9
.LBB56_71:
	s_wait_alu 0xfffe
	s_and_not1_saveexec_b32 s0, s0
; %bb.72:
	v_subrev_nc_u32_e32 v5, s5, v4
	s_delay_alu instid0(VALU_DEP_1)
	v_lshl_add_u32 v5, v5, 2, 0x1000
	ds_add_f32 v5, v9
.LBB56_73:
	s_or_b32 exec_lo, exec_lo, s24
.LBB56_74:
	s_wait_alu 0xfffe
	s_and_not1_saveexec_b32 s0, s22
	s_cbranch_execz .LBB56_76
; %bb.75:
	s_wait_dscnt 0x0
	ds_load_b32 v11, v7
.LBB56_76:
	s_wait_alu 0xfffe
	s_or_b32 exec_lo, exec_lo, s0
	v_ashrrev_i32_e32 v5, 31, v4
	v_add_co_u32 v4, vcc_lo, s14, v4
	v_cndmask_b32_e64 v9, 0, 1, s13
	s_wait_alu 0xfffd
	s_delay_alu instid0(VALU_DEP_3)
	v_add_co_ci_u32_e64 v5, null, s15, v5, vcc_lo
	s_and_not1_b32 vcc_lo, exec_lo, s13
	global_load_i8 v4, v[4:5], off
	s_wait_loadcnt 0x0
	v_cvt_f32_i32_e32 v4, v4
	s_wait_dscnt 0x0
	s_delay_alu instid0(VALU_DEP_1)
	v_dual_mul_f32 v5, v11, v4 :: v_dual_add_nc_u32 v10, 0x100, v1
	v_dual_mov_b32 v11, s18 :: v_dual_mov_b32 v4, s12
	ds_store_b32 v7, v5
	s_wait_alu 0xfffe
	s_cbranch_vccnz .LBB56_80
; %bb.77:
	v_dual_mov_b32 v11, s18 :: v_dual_mov_b32 v4, s12
	s_mov_b32 s13, 0
.LBB56_78:                              ; =>This Inner Loop Header: Depth=1
	s_delay_alu instid0(VALU_DEP_1) | instskip(NEXT) | instid1(VALU_DEP_1)
	v_add_nc_u32_e32 v5, v4, v11
	v_lshrrev_b32_e32 v12, 31, v5
	s_delay_alu instid0(VALU_DEP_1) | instskip(NEXT) | instid1(VALU_DEP_1)
	v_add_nc_u32_e32 v5, v5, v12
	v_ashrrev_i32_e32 v12, 1, v5
	s_delay_alu instid0(VALU_DEP_1) | instskip(NEXT) | instid1(VALU_DEP_1)
	v_ashrrev_i32_e32 v13, 31, v12
	v_lshlrev_b64_e32 v[13:14], 2, v[12:13]
	s_delay_alu instid0(VALU_DEP_1) | instskip(SKIP_1) | instid1(VALU_DEP_2)
	v_add_co_u32 v13, vcc_lo, s8, v13
	s_wait_alu 0xfffd
	v_add_co_ci_u32_e64 v14, null, s9, v14, vcc_lo
	global_load_b32 v5, v[13:14], off
	s_wait_loadcnt 0x0
	v_subrev_nc_u32_e32 v5, s20, v5
	s_delay_alu instid0(VALU_DEP_1) | instskip(SKIP_3) | instid1(VALU_DEP_2)
	v_cmp_lt_i32_e32 vcc_lo, v10, v5
	s_wait_alu 0xfffd
	v_cndmask_b32_e32 v4, v4, v12, vcc_lo
	v_cndmask_b32_e32 v11, v12, v11, vcc_lo
	v_add_nc_u32_e32 v5, -1, v4
	s_delay_alu instid0(VALU_DEP_2) | instskip(NEXT) | instid1(VALU_DEP_2)
	v_cmp_ge_i32_e32 vcc_lo, v11, v4
	v_cmp_eq_u32_e64 s0, v11, v5
	s_or_b32 s0, vcc_lo, s0
	s_wait_alu 0xfffe
	s_and_b32 s0, exec_lo, s0
	s_wait_alu 0xfffe
	s_or_b32 s13, s0, s13
	s_wait_alu 0xfffe
	s_and_not1_b32 exec_lo, exec_lo, s13
	s_cbranch_execnz .LBB56_78
; %bb.79:
	s_or_b32 exec_lo, exec_lo, s13
.LBB56_80:
	v_ashrrev_i32_e32 v5, 31, v4
	s_mov_b32 s0, exec_lo
	s_delay_alu instid0(VALU_DEP_1) | instskip(NEXT) | instid1(VALU_DEP_1)
	v_lshlrev_b64_e32 v[12:13], 2, v[4:5]
	v_add_co_u32 v12, vcc_lo, s8, v12
	s_wait_alu 0xfffd
	s_delay_alu instid0(VALU_DEP_2) | instskip(SKIP_4) | instid1(VALU_DEP_1)
	v_add_co_ci_u32_e64 v13, null, s9, v13, vcc_lo
	global_load_b32 v5, v[12:13], off
	global_load_b32 v12, v[2:3], off offset:1024
	s_wait_loadcnt 0x1
	v_subrev_nc_u32_e32 v5, s20, v5
	v_cmp_lt_i32_e32 vcc_lo, v10, v5
	s_wait_alu 0xfffd
	v_cndmask_b32_e32 v5, v4, v11, vcc_lo
	s_wait_loadcnt 0x0
	v_subrev_nc_u32_e32 v4, s20, v12
                                        ; implicit-def: $vgpr11
	s_delay_alu instid0(VALU_DEP_1)
	v_cmpx_ne_u32_e64 v4, v5
	s_wait_alu 0xfffe
	s_xor_b32 s13, exec_lo, s0
	s_cbranch_execz .LBB56_87
; %bb.81:
	s_load_b32 s0, s[10:11], 0x0
	ds_load_b32 v11, v7 offset:1024
	s_mov_b32 s22, exec_lo
	s_wait_kmcnt 0x0
	s_sub_co_i32 s0, s0, s20
	s_wait_alu 0xfffe
	v_cmpx_gt_i32_e64 s0, v10
	s_cbranch_execz .LBB56_86
; %bb.82:
	v_ashrrev_i32_e32 v10, 31, v5
	v_add_co_u32 v12, vcc_lo, s14, v5
	v_cmp_le_i32_e64 s0, s19, v4
	s_wait_alu 0xfffd
	s_delay_alu instid0(VALU_DEP_3)
	v_add_co_ci_u32_e64 v13, null, s15, v10, vcc_lo
	v_cmp_gt_i32_e32 vcc_lo, s5, v4
	global_load_i8 v5, v[12:13], off
	s_or_b32 s0, vcc_lo, s0
	s_wait_loadcnt 0x0
	v_cvt_f32_i32_e32 v5, v5
	s_wait_dscnt 0x0
	s_delay_alu instid0(VALU_DEP_1)
	v_mul_f32_e32 v10, v11, v5
	s_wait_alu 0xfffe
	s_and_saveexec_b32 s24, s0
	s_wait_alu 0xfffe
	s_xor_b32 s0, exec_lo, s24
	s_cbranch_execz .LBB56_84
; %bb.83:
	v_ashrrev_i32_e32 v5, 31, v4
	s_delay_alu instid0(VALU_DEP_1) | instskip(NEXT) | instid1(VALU_DEP_1)
	v_lshlrev_b64_e32 v[12:13], 2, v[4:5]
	v_add_co_u32 v12, vcc_lo, s16, v12
	s_wait_alu 0xfffd
	s_delay_alu instid0(VALU_DEP_2)
	v_add_co_ci_u32_e64 v13, null, s17, v13, vcc_lo
	global_atomic_add_f32 v[12:13], v10, off scope:SCOPE_DEV
                                        ; implicit-def: $vgpr10
.LBB56_84:
	s_wait_alu 0xfffe
	s_and_not1_saveexec_b32 s0, s0
; %bb.85:
	v_subrev_nc_u32_e32 v5, s5, v4
	s_delay_alu instid0(VALU_DEP_1)
	v_lshl_add_u32 v5, v5, 2, 0x1000
	ds_add_f32 v5, v10
.LBB56_86:
	s_or_b32 exec_lo, exec_lo, s22
.LBB56_87:
	s_wait_alu 0xfffe
	s_and_not1_saveexec_b32 s0, s13
	s_cbranch_execz .LBB56_89
; %bb.88:
	s_wait_dscnt 0x0
	ds_load_b32 v11, v7 offset:1024
.LBB56_89:
	s_wait_alu 0xfffe
	s_or_b32 exec_lo, exec_lo, s0
	v_ashrrev_i32_e32 v5, 31, v4
	v_add_co_u32 v4, vcc_lo, s14, v4
	v_dual_mov_b32 v10, s18 :: v_dual_add_nc_u32 v1, 0x200, v1
	s_wait_alu 0xfffd
	s_delay_alu instid0(VALU_DEP_3)
	v_add_co_ci_u32_e64 v5, null, s15, v5, vcc_lo
	v_cmp_ne_u32_e32 vcc_lo, 1, v9
	global_load_i8 v4, v[4:5], off
	s_and_b32 vcc_lo, exec_lo, vcc_lo
	s_wait_loadcnt 0x0
	v_cvt_f32_i32_e32 v4, v4
	s_wait_dscnt 0x0
	s_delay_alu instid0(VALU_DEP_1)
	v_dual_mul_f32 v5, v11, v4 :: v_dual_mov_b32 v4, s12
	ds_store_b32 v7, v5 offset:1024
	s_wait_alu 0xfffe
	s_cbranch_vccnz .LBB56_93
; %bb.90:
	v_mov_b32_e32 v10, s18
	v_mov_b32_e32 v4, s12
	s_mov_b32 s13, 0
.LBB56_91:                              ; =>This Inner Loop Header: Depth=1
	s_delay_alu instid0(VALU_DEP_1) | instskip(NEXT) | instid1(VALU_DEP_1)
	v_add_nc_u32_e32 v5, v4, v10
	v_lshrrev_b32_e32 v11, 31, v5
	s_delay_alu instid0(VALU_DEP_1) | instskip(NEXT) | instid1(VALU_DEP_1)
	v_add_nc_u32_e32 v5, v5, v11
	v_ashrrev_i32_e32 v11, 1, v5
	s_delay_alu instid0(VALU_DEP_1) | instskip(NEXT) | instid1(VALU_DEP_1)
	v_ashrrev_i32_e32 v12, 31, v11
	v_lshlrev_b64_e32 v[12:13], 2, v[11:12]
	s_delay_alu instid0(VALU_DEP_1) | instskip(SKIP_1) | instid1(VALU_DEP_2)
	v_add_co_u32 v12, vcc_lo, s8, v12
	s_wait_alu 0xfffd
	v_add_co_ci_u32_e64 v13, null, s9, v13, vcc_lo
	global_load_b32 v5, v[12:13], off
	s_wait_loadcnt 0x0
	v_subrev_nc_u32_e32 v5, s20, v5
	s_delay_alu instid0(VALU_DEP_1) | instskip(SKIP_2) | instid1(VALU_DEP_1)
	v_cmp_lt_i32_e32 vcc_lo, v1, v5
	s_wait_alu 0xfffd
	v_cndmask_b32_e32 v4, v4, v11, vcc_lo
	v_dual_cndmask_b32 v10, v11, v10 :: v_dual_add_nc_u32 v5, -1, v4
	s_delay_alu instid0(VALU_DEP_1) | instskip(NEXT) | instid1(VALU_DEP_2)
	v_cmp_ge_i32_e32 vcc_lo, v10, v4
	v_cmp_eq_u32_e64 s0, v10, v5
	s_or_b32 s0, vcc_lo, s0
	s_wait_alu 0xfffe
	s_and_b32 s0, exec_lo, s0
	s_wait_alu 0xfffe
	s_or_b32 s13, s0, s13
	s_wait_alu 0xfffe
	s_and_not1_b32 exec_lo, exec_lo, s13
	s_cbranch_execnz .LBB56_91
; %bb.92:
	s_or_b32 exec_lo, exec_lo, s13
.LBB56_93:
	v_ashrrev_i32_e32 v5, 31, v4
	s_mov_b32 s0, exec_lo
	s_delay_alu instid0(VALU_DEP_1) | instskip(NEXT) | instid1(VALU_DEP_1)
	v_lshlrev_b64_e32 v[11:12], 2, v[4:5]
	v_add_co_u32 v11, vcc_lo, s8, v11
	s_wait_alu 0xfffd
	s_delay_alu instid0(VALU_DEP_2) | instskip(SKIP_4) | instid1(VALU_DEP_1)
	v_add_co_ci_u32_e64 v12, null, s9, v12, vcc_lo
	global_load_b32 v5, v[11:12], off
	global_load_b32 v11, v[2:3], off offset:2048
	s_wait_loadcnt 0x1
	v_subrev_nc_u32_e32 v5, s20, v5
	v_cmp_lt_i32_e32 vcc_lo, v1, v5
	s_wait_alu 0xfffd
	v_cndmask_b32_e32 v5, v4, v10, vcc_lo
	s_wait_loadcnt 0x0
	v_subrev_nc_u32_e32 v4, s20, v11
                                        ; implicit-def: $vgpr10
	s_delay_alu instid0(VALU_DEP_1)
	v_cmpx_ne_u32_e64 v4, v5
	s_wait_alu 0xfffe
	s_xor_b32 s13, exec_lo, s0
	s_cbranch_execz .LBB56_100
; %bb.94:
	s_load_b32 s0, s[10:11], 0x0
	ds_load_b32 v10, v7 offset:2048
	s_mov_b32 s22, exec_lo
	s_wait_kmcnt 0x0
	s_sub_co_i32 s0, s0, s20
	s_wait_alu 0xfffe
	v_cmpx_gt_i32_e64 s0, v1
	s_cbranch_execz .LBB56_99
; %bb.95:
	v_ashrrev_i32_e32 v1, 31, v5
	v_add_co_u32 v11, vcc_lo, s14, v5
	v_cmp_le_i32_e64 s0, s19, v4
	s_wait_alu 0xfffd
	s_delay_alu instid0(VALU_DEP_3)
	v_add_co_ci_u32_e64 v12, null, s15, v1, vcc_lo
	v_cmp_gt_i32_e32 vcc_lo, s5, v4
	global_load_i8 v1, v[11:12], off
	s_or_b32 s0, vcc_lo, s0
	s_wait_loadcnt 0x0
	v_cvt_f32_i32_e32 v1, v1
	s_wait_dscnt 0x0
	s_delay_alu instid0(VALU_DEP_1)
	v_mul_f32_e32 v1, v10, v1
	s_wait_alu 0xfffe
	s_and_saveexec_b32 s24, s0
	s_wait_alu 0xfffe
	s_xor_b32 s0, exec_lo, s24
	s_cbranch_execz .LBB56_97
; %bb.96:
	v_ashrrev_i32_e32 v5, 31, v4
	s_delay_alu instid0(VALU_DEP_1) | instskip(NEXT) | instid1(VALU_DEP_1)
	v_lshlrev_b64_e32 v[11:12], 2, v[4:5]
	v_add_co_u32 v11, vcc_lo, s16, v11
	s_wait_alu 0xfffd
	s_delay_alu instid0(VALU_DEP_2)
	v_add_co_ci_u32_e64 v12, null, s17, v12, vcc_lo
	global_atomic_add_f32 v[11:12], v1, off scope:SCOPE_DEV
                                        ; implicit-def: $vgpr1
.LBB56_97:
	s_wait_alu 0xfffe
	s_and_not1_saveexec_b32 s0, s0
; %bb.98:
	v_subrev_nc_u32_e32 v5, s5, v4
	s_delay_alu instid0(VALU_DEP_1)
	v_lshl_add_u32 v5, v5, 2, 0x1000
	ds_add_f32 v5, v1
.LBB56_99:
	s_or_b32 exec_lo, exec_lo, s22
.LBB56_100:
	s_wait_alu 0xfffe
	s_and_not1_saveexec_b32 s0, s13
	s_cbranch_execz .LBB56_102
; %bb.101:
	s_wait_dscnt 0x0
	ds_load_b32 v10, v7 offset:2048
.LBB56_102:
	s_wait_alu 0xfffe
	s_or_b32 exec_lo, exec_lo, s0
	v_ashrrev_i32_e32 v1, 31, v4
	v_add_co_u32 v4, vcc_lo, s14, v4
	s_wait_alu 0xfffd
	s_delay_alu instid0(VALU_DEP_2)
	v_add_co_ci_u32_e64 v5, null, s15, v1, vcc_lo
	v_cmp_ne_u32_e32 vcc_lo, 1, v9
	global_load_i8 v1, v[4:5], off
	v_mov_b32_e32 v4, s12
	s_and_b32 vcc_lo, exec_lo, vcc_lo
	s_wait_loadcnt 0x0
	v_cvt_f32_i32_e32 v1, v1
	s_wait_dscnt 0x0
	s_delay_alu instid0(VALU_DEP_1)
	v_mul_f32_e32 v5, v10, v1
	v_mov_b32_e32 v1, s18
	ds_store_b32 v7, v5 offset:2048
	s_wait_alu 0xfffe
	s_cbranch_vccnz .LBB56_106
; %bb.103:
	v_dual_mov_b32 v1, s18 :: v_dual_mov_b32 v4, s12
	s_mov_b32 s12, 0
.LBB56_104:                             ; =>This Inner Loop Header: Depth=1
	s_delay_alu instid0(VALU_DEP_1) | instskip(NEXT) | instid1(VALU_DEP_1)
	v_add_nc_u32_e32 v5, v4, v1
	v_lshrrev_b32_e32 v9, 31, v5
	s_delay_alu instid0(VALU_DEP_1) | instskip(NEXT) | instid1(VALU_DEP_1)
	v_add_nc_u32_e32 v5, v5, v9
	v_ashrrev_i32_e32 v9, 1, v5
	s_delay_alu instid0(VALU_DEP_1) | instskip(NEXT) | instid1(VALU_DEP_1)
	v_ashrrev_i32_e32 v10, 31, v9
	v_lshlrev_b64_e32 v[10:11], 2, v[9:10]
	s_delay_alu instid0(VALU_DEP_1) | instskip(SKIP_1) | instid1(VALU_DEP_2)
	v_add_co_u32 v10, vcc_lo, s8, v10
	s_wait_alu 0xfffd
	v_add_co_ci_u32_e64 v11, null, s9, v11, vcc_lo
	global_load_b32 v5, v[10:11], off
	s_wait_loadcnt 0x0
	v_subrev_nc_u32_e32 v5, s20, v5
	s_delay_alu instid0(VALU_DEP_1) | instskip(SKIP_3) | instid1(VALU_DEP_2)
	v_cmp_lt_i32_e32 vcc_lo, v8, v5
	s_wait_alu 0xfffd
	v_cndmask_b32_e32 v4, v4, v9, vcc_lo
	v_cndmask_b32_e32 v1, v9, v1, vcc_lo
	v_add_nc_u32_e32 v5, -1, v4
	s_delay_alu instid0(VALU_DEP_2) | instskip(NEXT) | instid1(VALU_DEP_2)
	v_cmp_ge_i32_e32 vcc_lo, v1, v4
	v_cmp_eq_u32_e64 s0, v1, v5
	s_or_b32 s0, vcc_lo, s0
	s_wait_alu 0xfffe
	s_and_b32 s0, exec_lo, s0
	s_wait_alu 0xfffe
	s_or_b32 s12, s0, s12
	s_wait_alu 0xfffe
	s_and_not1_b32 exec_lo, exec_lo, s12
	s_cbranch_execnz .LBB56_104
; %bb.105:
	s_or_b32 exec_lo, exec_lo, s12
.LBB56_106:
	v_ashrrev_i32_e32 v5, 31, v4
	s_mov_b32 s0, exec_lo
	s_delay_alu instid0(VALU_DEP_1) | instskip(NEXT) | instid1(VALU_DEP_1)
	v_lshlrev_b64_e32 v[9:10], 2, v[4:5]
	v_add_co_u32 v9, vcc_lo, s8, v9
	s_wait_alu 0xfffd
	s_delay_alu instid0(VALU_DEP_2) | instskip(SKIP_4) | instid1(VALU_DEP_1)
	v_add_co_ci_u32_e64 v10, null, s9, v10, vcc_lo
	global_load_b32 v5, v[9:10], off
	global_load_b32 v3, v[2:3], off offset:3072
	s_wait_loadcnt 0x1
	v_subrev_nc_u32_e32 v2, s20, v5
	v_cmp_lt_i32_e32 vcc_lo, v8, v2
	s_wait_alu 0xfffd
	v_cndmask_b32_e32 v2, v4, v1, vcc_lo
	s_wait_loadcnt 0x0
	v_subrev_nc_u32_e32 v1, s20, v3
                                        ; implicit-def: $vgpr3
	s_delay_alu instid0(VALU_DEP_1)
	v_cmpx_ne_u32_e64 v1, v2
	s_wait_alu 0xfffe
	s_xor_b32 s12, exec_lo, s0
	s_cbranch_execz .LBB56_113
; %bb.107:
	s_load_b32 s0, s[10:11], 0x0
	ds_load_b32 v3, v7 offset:3072
	s_mov_b32 s10, exec_lo
	s_wait_kmcnt 0x0
	s_sub_co_i32 s0, s0, s20
	s_wait_alu 0xfffe
	v_cmpx_gt_i32_e64 s0, v8
	s_cbranch_execz .LBB56_112
; %bb.108:
	v_ashrrev_i32_e32 v5, 31, v2
	v_add_co_u32 v4, vcc_lo, s14, v2
	v_cmp_le_i32_e64 s0, s19, v1
	s_wait_alu 0xfffd
	s_delay_alu instid0(VALU_DEP_3)
	v_add_co_ci_u32_e64 v5, null, s15, v5, vcc_lo
	v_cmp_gt_i32_e32 vcc_lo, s5, v1
	global_load_i8 v2, v[4:5], off
	s_or_b32 s0, vcc_lo, s0
	s_wait_loadcnt 0x0
	v_cvt_f32_i32_e32 v2, v2
	s_wait_dscnt 0x0
	s_delay_alu instid0(VALU_DEP_1)
	v_mul_f32_e32 v4, v3, v2
	s_wait_alu 0xfffe
	s_and_saveexec_b32 s11, s0
	s_wait_alu 0xfffe
	s_xor_b32 s0, exec_lo, s11
	s_cbranch_execz .LBB56_110
; %bb.109:
	v_ashrrev_i32_e32 v2, 31, v1
	s_delay_alu instid0(VALU_DEP_1) | instskip(NEXT) | instid1(VALU_DEP_1)
	v_lshlrev_b64_e32 v[8:9], 2, v[1:2]
	v_add_co_u32 v8, vcc_lo, s16, v8
	s_wait_alu 0xfffd
	s_delay_alu instid0(VALU_DEP_2)
	v_add_co_ci_u32_e64 v9, null, s17, v9, vcc_lo
	global_atomic_add_f32 v[8:9], v4, off scope:SCOPE_DEV
                                        ; implicit-def: $vgpr4
.LBB56_110:
	s_wait_alu 0xfffe
	s_and_not1_saveexec_b32 s0, s0
; %bb.111:
	v_subrev_nc_u32_e32 v2, s5, v1
	s_delay_alu instid0(VALU_DEP_1)
	v_lshl_add_u32 v2, v2, 2, 0x1000
	ds_add_f32 v2, v4
.LBB56_112:
	s_or_b32 exec_lo, exec_lo, s10
.LBB56_113:
	s_wait_alu 0xfffe
	s_and_not1_saveexec_b32 s0, s12
	s_cbranch_execz .LBB56_115
; %bb.114:
	s_wait_dscnt 0x0
	ds_load_b32 v3, v7 offset:3072
.LBB56_115:
	s_wait_alu 0xfffe
	s_or_b32 exec_lo, exec_lo, s0
	v_ashrrev_i32_e32 v2, 31, v1
	v_add_co_u32 v1, vcc_lo, s14, v1
	s_wait_alu 0xfffd
	s_delay_alu instid0(VALU_DEP_2) | instskip(SKIP_4) | instid1(VALU_DEP_1)
	v_add_co_ci_u32_e64 v2, null, s15, v2, vcc_lo
	global_load_i8 v1, v[1:2], off
	s_wait_loadcnt 0x0
	v_cvt_f32_i32_e32 v1, v1
	s_wait_dscnt 0x0
	v_mul_f32_e32 v1, v3, v1
	ds_store_b32 v7, v1 offset:3072
.LBB56_116:
	s_wait_alu 0xfffe
	s_or_b32 exec_lo, exec_lo, s6
	s_min_i32 s6, s19, s7
	s_mov_b32 s7, exec_lo
	s_wait_alu 0xfffe
	s_sub_co_i32 s0, s6, s21
	s_wait_storecnt 0x0
	s_wait_loadcnt_dscnt 0x0
	s_barrier_signal -1
	s_barrier_wait -1
	global_inv scope:SCOPE_SE
	s_wait_alu 0xfffe
	v_cmpx_gt_i32_e64 s0, v0
	s_cbranch_execz .LBB56_119
; %bb.117:
	v_mov_b32_e32 v1, v0
	s_mov_b32 s10, 0
.LBB56_118:                             ; =>This Inner Loop Header: Depth=1
	s_delay_alu instid0(VALU_DEP_1) | instskip(SKIP_4) | instid1(VALU_DEP_1)
	v_add_nc_u32_e32 v2, s5, v1
	ds_load_b32 v4, v6
	v_add_nc_u32_e32 v1, 0x100, v1
	v_add_nc_u32_e32 v6, 0x400, v6
	v_ashrrev_i32_e32 v3, 31, v2
	v_lshlrev_b64_e32 v[2:3], 2, v[2:3]
	s_delay_alu instid0(VALU_DEP_1) | instskip(SKIP_1) | instid1(VALU_DEP_2)
	v_add_co_u32 v2, vcc_lo, s16, v2
	s_wait_alu 0xfffd
	v_add_co_ci_u32_e64 v3, null, s17, v3, vcc_lo
	v_cmp_le_i32_e32 vcc_lo, s0, v1
	s_wait_dscnt 0x0
	global_atomic_add_f32 v[2:3], v4, off scope:SCOPE_DEV
	s_wait_alu 0xfffe
	s_or_b32 s10, vcc_lo, s10
	s_wait_alu 0xfffe
	s_and_not1_b32 exec_lo, exec_lo, s10
	s_cbranch_execnz .LBB56_118
.LBB56_119:
	s_or_b32 exec_lo, exec_lo, s7
	s_mul_i32 s5, s1, s21
	s_add_co_i32 s7, s1, 1
	s_wait_alu 0xfffe
	s_sub_co_i32 s5, s4, s5
	v_add_nc_u32_e32 v1, s18, v0
	s_wait_alu 0xfffe
	s_sub_co_i32 s10, s5, s21
	s_cmp_ge_u32 s5, s21
	s_wait_loadcnt 0x0
	s_wait_storecnt 0x0
	s_cselect_b32 s1, s7, s1
	s_wait_alu 0xfffe
	s_cselect_b32 s5, s10, s5
	s_add_co_i32 s7, s1, 1
	s_wait_alu 0xfffe
	s_cmp_ge_u32 s5, s21
	s_barrier_signal -1
	s_cselect_b32 s1, s7, s1
	s_barrier_wait -1
	s_wait_alu 0xfffe
	s_add_co_i32 s1, s1, -1
	global_inv scope:SCOPE_SE
	s_wait_alu 0xfffe
	s_ashr_i32 s5, s1, 1
	s_wait_alu 0xfffe
	s_or_b32 s1, s5, s1
	s_wait_alu 0xfffe
	s_ashr_i32 s5, s1, 2
	s_wait_alu 0xfffe
	s_or_b32 s1, s5, s1
	;; [unrolled: 4-line block ×5, first 2 shown]
	s_mov_b32 s5, -1
	s_wait_alu 0xfffe
	s_add_co_i32 s1, s1, 1
	s_wait_alu 0xfffe
	s_ashr_i32 s1, s1, 1
	s_wait_alu 0xfffe
	s_cmp_gt_i32 s1, 1
	s_cbranch_scc1 .LBB56_128
; %bb.120:
	s_mov_b32 s5, exec_lo
	v_cmpx_gt_i32_e64 s19, v1
	s_cbranch_execz .LBB56_127
; %bb.121:
	s_sub_co_i32 s6, s6, s19
	v_mov_b32_e32 v2, v1
	s_lshl_b32 s10, s23, 2
	s_wait_alu 0xfffe
	s_lshl_b32 s6, s6, 2
	s_mov_b32 s7, 0
	s_wait_alu 0xfffe
	s_addk_co_i32 s6, 0x1000
	s_sub_co_i32 s10, 0, s10
	s_branch .LBB56_123
.LBB56_122:                             ;   in Loop: Header=BB56_123 Depth=1
	s_wait_alu 0xfffe
	s_or_b32 exec_lo, exec_lo, s11
	v_lshl_add_u32 v5, v2, 2, s6
	v_add_co_u32 v3, vcc_lo, s16, v3
	s_wait_alu 0xfffd
	v_add_co_ci_u32_e64 v4, null, s17, v4, vcc_lo
	ds_load_b32 v5, v5
	v_add_nc_u32_e32 v2, s4, v2
	s_delay_alu instid0(VALU_DEP_1)
	v_cmp_le_i32_e32 vcc_lo, s19, v2
	s_or_b32 s7, vcc_lo, s7
	s_wait_dscnt 0x0
	v_add_f32_e32 v5, v8, v5
	global_atomic_add_f32 v[3:4], v5, off scope:SCOPE_DEV
	s_wait_alu 0xfffe
	s_and_not1_b32 exec_lo, exec_lo, s7
	s_cbranch_execz .LBB56_127
.LBB56_123:                             ; =>This Loop Header: Depth=1
                                        ;     Child Loop BB56_125 Depth 2
	v_ashrrev_i32_e32 v3, 31, v2
	v_mov_b32_e32 v8, 0
	s_mov_b32 s11, exec_lo
	s_delay_alu instid0(VALU_DEP_2) | instskip(NEXT) | instid1(VALU_DEP_1)
	v_lshlrev_b64_e32 v[3:4], 2, v[2:3]
	v_add_co_u32 v5, vcc_lo, s8, v3
	s_wait_alu 0xfffd
	s_delay_alu instid0(VALU_DEP_2)
	v_add_co_ci_u32_e64 v6, null, s9, v4, vcc_lo
	global_load_b64 v[5:6], v[5:6], off
	s_wait_loadcnt 0x0
	v_cmpx_lt_i32_e64 v5, v6
	s_cbranch_execz .LBB56_122
; %bb.124:                              ;   in Loop: Header=BB56_123 Depth=1
	v_subrev_nc_u32_e32 v6, s23, v6
	v_subrev_nc_u32_e32 v9, s23, v5
	s_wait_alu 0xfffe
	v_lshl_add_u32 v5, v5, 2, s10
	v_mov_b32_e32 v8, 0
	s_mov_b32 s12, 0
.LBB56_125:                             ;   Parent Loop BB56_123 Depth=1
                                        ; =>  This Inner Loop Header: Depth=2
	ds_load_b32 v10, v5
	v_add_nc_u32_e32 v9, 1, v9
	s_wait_dscnt 0x0
	v_dual_add_f32 v8, v8, v10 :: v_dual_add_nc_u32 v5, 4, v5
	s_delay_alu instid0(VALU_DEP_2)
	v_cmp_ge_i32_e32 vcc_lo, v9, v6
	s_wait_alu 0xfffe
	s_or_b32 s12, vcc_lo, s12
	s_wait_alu 0xfffe
	s_and_not1_b32 exec_lo, exec_lo, s12
	s_cbranch_execnz .LBB56_125
; %bb.126:                              ;   in Loop: Header=BB56_123 Depth=1
	s_or_b32 exec_lo, exec_lo, s12
	s_branch .LBB56_122
.LBB56_127:
	s_wait_alu 0xfffe
	s_or_b32 exec_lo, exec_lo, s5
	s_mov_b32 s5, 0
.LBB56_128:
	s_wait_alu 0xfffe
	s_and_not1_b32 vcc_lo, exec_lo, s5
	s_wait_alu 0xfffe
	s_cbranch_vccnz .LBB56_141
; %bb.129:
	s_cvt_f32_u32 s4, s1
	s_sub_co_i32 s5, 0, s1
	s_wait_alu 0xfffe
	s_delay_alu instid0(SALU_CYCLE_1) | instskip(NEXT) | instid1(TRANS32_DEP_1)
	v_rcp_iflag_f32_e32 v2, s4
	v_readfirstlane_b32 s4, v2
	s_mul_f32 s4, s4, 0x4f7ffffe
	s_wait_alu 0xfffe
	s_delay_alu instid0(SALU_CYCLE_2) | instskip(SKIP_1) | instid1(SALU_CYCLE_2)
	s_cvt_u32_f32 s4, s4
	s_wait_alu 0xfffe
	s_mul_i32 s5, s5, s4
	s_wait_alu 0xfffe
	s_mul_hi_u32 s5, s4, s5
	s_wait_alu 0xfffe
	s_add_co_i32 s4, s4, s5
	s_wait_alu 0xfffe
	v_mul_hi_u32 v2, v0, s4
	s_delay_alu instid0(VALU_DEP_1) | instskip(NEXT) | instid1(VALU_DEP_1)
	v_mul_lo_u32 v3, v2, s1
	v_sub_nc_u32_e32 v3, v0, v3
	s_delay_alu instid0(VALU_DEP_1) | instskip(SKIP_2) | instid1(VALU_DEP_2)
	v_subrev_nc_u32_e32 v5, s1, v3
	v_cmp_le_u32_e32 vcc_lo, s1, v3
	s_wait_alu 0xfffd
	v_dual_cndmask_b32 v3, v3, v5 :: v_dual_add_nc_u32 v4, 1, v2
	s_delay_alu instid0(VALU_DEP_1) | instskip(NEXT) | instid1(VALU_DEP_2)
	v_cndmask_b32_e32 v2, v2, v4, vcc_lo
	v_cmp_le_u32_e32 vcc_lo, s1, v3
	s_delay_alu instid0(VALU_DEP_2) | instskip(SKIP_1) | instid1(VALU_DEP_1)
	v_add_nc_u32_e32 v4, 1, v2
	s_wait_alu 0xfffd
	v_cndmask_b32_e32 v4, v2, v4, vcc_lo
	s_delay_alu instid0(VALU_DEP_1)
	v_lshlrev_b32_e32 v2, 2, v4
	global_load_b64 v[2:3], v2, s[2:3]
	s_abs_i32 s3, s1
	s_wait_alu 0xfffe
	s_cvt_f32_u32 s2, s3
	s_wait_alu 0xfffe
	s_delay_alu instid0(SALU_CYCLE_2) | instskip(SKIP_1) | instid1(TRANS32_DEP_1)
	v_rcp_iflag_f32_e32 v5, s2
	s_mov_b32 s2, exec_lo
	v_readfirstlane_b32 s4, v5
	v_mov_b32_e32 v5, 0
	v_cmpx_gt_i32_e64 s21, v4
	s_cbranch_execz .LBB56_137
; %bb.130:
	s_wait_loadcnt 0x0
	v_subrev_nc_u32_e32 v2, s23, v2
	v_subrev_nc_u32_e32 v4, s23, v3
	s_mul_f32 s4, s4, 0x4f7ffffe
	s_sub_co_i32 s5, 0, s3
	s_wait_alu 0xfffe
	s_delay_alu instid0(SALU_CYCLE_1) | instskip(SKIP_2) | instid1(SALU_CYCLE_1)
	s_cvt_u32_f32 s4, s4
	v_sub_nc_u32_e32 v3, v4, v2
	s_wait_alu 0xfffe
	s_mul_i32 s5, s5, s4
	s_delay_alu instid0(VALU_DEP_1)
	v_sub_nc_u32_e32 v5, 0, v3
	s_wait_alu 0xfffe
	s_mul_hi_u32 s5, s4, s5
	s_wait_alu 0xfffe
	s_add_co_i32 s4, s4, s5
	v_max_i32_e32 v8, v3, v5
	v_ashrrev_i32_e32 v3, 31, v3
	s_wait_alu 0xfffe
	s_delay_alu instid0(VALU_DEP_2) | instskip(SKIP_4) | instid1(VALU_DEP_1)
	v_mad_co_u64_u32 v[5:6], null, v8, s4, 0
	s_ashr_i32 s4, s1, 31
	s_wait_alu 0xfffe
	v_xor_b32_e32 v3, s4, v3
	v_mul_lo_u32 v5, v6, s3
	v_sub_nc_u32_e32 v5, v8, v5
	s_delay_alu instid0(VALU_DEP_1) | instskip(SKIP_2) | instid1(VALU_DEP_2)
	v_subrev_nc_u32_e32 v9, s3, v5
	v_cmp_le_u32_e32 vcc_lo, s3, v5
	s_wait_alu 0xfffd
	v_dual_cndmask_b32 v5, v5, v9 :: v_dual_add_nc_u32 v8, 1, v6
	s_delay_alu instid0(VALU_DEP_1) | instskip(NEXT) | instid1(VALU_DEP_2)
	v_cndmask_b32_e32 v6, v6, v8, vcc_lo
	v_cmp_le_u32_e32 vcc_lo, s3, v5
	s_delay_alu instid0(VALU_DEP_2) | instskip(SKIP_2) | instid1(VALU_DEP_1)
	v_add_nc_u32_e32 v8, 1, v6
	s_add_co_i32 s3, s1, -1
	s_wait_alu 0xfffd
	v_cndmask_b32_e32 v5, v6, v8, vcc_lo
	s_wait_alu 0xfffe
	v_and_b32_e32 v8, s3, v0
	s_mov_b32 s3, exec_lo
	s_delay_alu instid0(VALU_DEP_2) | instskip(NEXT) | instid1(VALU_DEP_2)
	v_xor_b32_e32 v5, v5, v3
	v_lshlrev_b32_e32 v6, 2, v8
	s_delay_alu instid0(VALU_DEP_2) | instskip(SKIP_1) | instid1(VALU_DEP_2)
	v_sub_nc_u32_e32 v3, v5, v3
	v_mov_b32_e32 v5, 0
	v_cmpx_lt_i32_e32 0, v3
	s_cbranch_execz .LBB56_134
; %bb.131:
	v_lshl_add_u32 v9, v2, 2, v6
	v_dual_mov_b32 v5, 0 :: v_dual_mov_b32 v10, v3
	s_lshl_b32 s5, s1, 2
	s_mov_b32 s4, 0
.LBB56_132:                             ; =>This Inner Loop Header: Depth=1
	ds_load_b32 v11, v9
	v_add_nc_u32_e32 v10, -1, v10
	s_wait_alu 0xfffe
	v_add_nc_u32_e32 v9, s5, v9
	s_wait_dscnt 0x0
	v_add_f32_e32 v5, v5, v11
	v_cmp_eq_u32_e32 vcc_lo, 0, v10
	s_or_b32 s4, vcc_lo, s4
	s_wait_alu 0xfffe
	s_and_not1_b32 exec_lo, exec_lo, s4
	s_cbranch_execnz .LBB56_132
; %bb.133:
	s_or_b32 exec_lo, exec_lo, s4
.LBB56_134:
	s_wait_alu 0xfffe
	s_or_b32 exec_lo, exec_lo, s3
	v_mad_co_u64_u32 v[2:3], null, v3, s1, v[2:3]
	s_mov_b32 s3, exec_lo
	v_sub_nc_u32_e32 v3, v4, v2
	s_delay_alu instid0(VALU_DEP_1)
	v_cmpx_lt_i32_e64 v8, v3
	s_cbranch_execz .LBB56_136
; %bb.135:
	v_lshl_add_u32 v2, v2, 2, v6
	ds_load_b32 v2, v2
	s_wait_dscnt 0x0
	v_add_f32_e32 v5, v5, v2
.LBB56_136:
	s_wait_alu 0xfffe
	s_or_b32 exec_lo, exec_lo, s3
.LBB56_137:
	s_wait_alu 0xfffe
	s_or_b32 exec_lo, exec_lo, s2
	s_wait_loadcnt 0x0
	s_wait_storecnt 0x0
	s_barrier_signal -1
	s_barrier_wait -1
	global_inv scope:SCOPE_SE
	ds_store_b32 v7, v5
	s_wait_loadcnt_dscnt 0x0
	s_barrier_signal -1
	s_barrier_wait -1
	global_inv scope:SCOPE_SE
	s_mov_b32 s2, exec_lo
	v_cmpx_gt_i32_e64 s21, v0
	s_cbranch_execz .LBB56_141
; %bb.138:
	v_mul_lo_u32 v2, s1, v0
	s_delay_alu instid0(VALU_DEP_1)
	v_dual_mov_b32 v3, 0 :: v_dual_lshlrev_b32 v2, 2, v2
.LBB56_139:                             ; =>This Inner Loop Header: Depth=1
	ds_load_b32 v4, v2
	v_add_nc_u32_e32 v2, 4, v2
	s_add_co_i32 s1, s1, -1
	s_wait_alu 0xfffe
	s_cmp_eq_u32 s1, 0
	s_wait_dscnt 0x0
	v_add_f32_e32 v3, v3, v4
	s_cbranch_scc0 .LBB56_139
; %bb.140:
	v_lshlrev_b32_e32 v0, 2, v0
	s_lshl_b32 s0, s0, 2
	v_ashrrev_i32_e32 v2, 31, v1
	s_wait_alu 0xfffe
	s_delay_alu instid0(VALU_DEP_2) | instskip(SKIP_2) | instid1(VALU_DEP_1)
	v_add3_u32 v0, 0x1000, s0, v0
	ds_load_b32 v4, v0
	v_lshlrev_b64_e32 v[0:1], 2, v[1:2]
	v_add_co_u32 v0, vcc_lo, s16, v0
	s_wait_alu 0xfffd
	s_delay_alu instid0(VALU_DEP_2)
	v_add_co_ci_u32_e64 v1, null, s17, v1, vcc_lo
	s_wait_dscnt 0x0
	v_add_f32_e32 v2, v3, v4
	global_atomic_add_f32 v[0:1], v2, off scope:SCOPE_DEV
.LBB56_141:
	s_endpgm
	.section	.rodata,"a",@progbits
	.p2align	6, 0x0
	.amdhsa_kernel _ZN9rocsparseL27csrmvn_symm_adaptive_kernelIiiaaffEEvbT_S1_PKS1_NS_24const_host_device_scalarIT4_EES3_PKT0_PKT1_PKT2_S6_PT3_21rocsparse_index_base_b
		.amdhsa_group_segment_fixed_size 4096
		.amdhsa_private_segment_fixed_size 0
		.amdhsa_kernarg_size 344
		.amdhsa_user_sgpr_count 2
		.amdhsa_user_sgpr_dispatch_ptr 0
		.amdhsa_user_sgpr_queue_ptr 0
		.amdhsa_user_sgpr_kernarg_segment_ptr 1
		.amdhsa_user_sgpr_dispatch_id 0
		.amdhsa_user_sgpr_private_segment_size 0
		.amdhsa_wavefront_size32 1
		.amdhsa_uses_dynamic_stack 0
		.amdhsa_enable_private_segment 0
		.amdhsa_system_sgpr_workgroup_id_x 1
		.amdhsa_system_sgpr_workgroup_id_y 0
		.amdhsa_system_sgpr_workgroup_id_z 0
		.amdhsa_system_sgpr_workgroup_info 0
		.amdhsa_system_vgpr_workitem_id 0
		.amdhsa_next_free_vgpr 15
		.amdhsa_next_free_sgpr 30
		.amdhsa_reserve_vcc 1
		.amdhsa_float_round_mode_32 0
		.amdhsa_float_round_mode_16_64 0
		.amdhsa_float_denorm_mode_32 3
		.amdhsa_float_denorm_mode_16_64 3
		.amdhsa_fp16_overflow 0
		.amdhsa_workgroup_processor_mode 1
		.amdhsa_memory_ordered 1
		.amdhsa_forward_progress 1
		.amdhsa_inst_pref_size 59
		.amdhsa_round_robin_scheduling 0
		.amdhsa_exception_fp_ieee_invalid_op 0
		.amdhsa_exception_fp_denorm_src 0
		.amdhsa_exception_fp_ieee_div_zero 0
		.amdhsa_exception_fp_ieee_overflow 0
		.amdhsa_exception_fp_ieee_underflow 0
		.amdhsa_exception_fp_ieee_inexact 0
		.amdhsa_exception_int_div_zero 0
	.end_amdhsa_kernel
	.section	.text._ZN9rocsparseL27csrmvn_symm_adaptive_kernelIiiaaffEEvbT_S1_PKS1_NS_24const_host_device_scalarIT4_EES3_PKT0_PKT1_PKT2_S6_PT3_21rocsparse_index_base_b,"axG",@progbits,_ZN9rocsparseL27csrmvn_symm_adaptive_kernelIiiaaffEEvbT_S1_PKS1_NS_24const_host_device_scalarIT4_EES3_PKT0_PKT1_PKT2_S6_PT3_21rocsparse_index_base_b,comdat
.Lfunc_end56:
	.size	_ZN9rocsparseL27csrmvn_symm_adaptive_kernelIiiaaffEEvbT_S1_PKS1_NS_24const_host_device_scalarIT4_EES3_PKT0_PKT1_PKT2_S6_PT3_21rocsparse_index_base_b, .Lfunc_end56-_ZN9rocsparseL27csrmvn_symm_adaptive_kernelIiiaaffEEvbT_S1_PKS1_NS_24const_host_device_scalarIT4_EES3_PKT0_PKT1_PKT2_S6_PT3_21rocsparse_index_base_b
                                        ; -- End function
	.set _ZN9rocsparseL27csrmvn_symm_adaptive_kernelIiiaaffEEvbT_S1_PKS1_NS_24const_host_device_scalarIT4_EES3_PKT0_PKT1_PKT2_S6_PT3_21rocsparse_index_base_b.num_vgpr, 15
	.set _ZN9rocsparseL27csrmvn_symm_adaptive_kernelIiiaaffEEvbT_S1_PKS1_NS_24const_host_device_scalarIT4_EES3_PKT0_PKT1_PKT2_S6_PT3_21rocsparse_index_base_b.num_agpr, 0
	.set _ZN9rocsparseL27csrmvn_symm_adaptive_kernelIiiaaffEEvbT_S1_PKS1_NS_24const_host_device_scalarIT4_EES3_PKT0_PKT1_PKT2_S6_PT3_21rocsparse_index_base_b.numbered_sgpr, 30
	.set _ZN9rocsparseL27csrmvn_symm_adaptive_kernelIiiaaffEEvbT_S1_PKS1_NS_24const_host_device_scalarIT4_EES3_PKT0_PKT1_PKT2_S6_PT3_21rocsparse_index_base_b.num_named_barrier, 0
	.set _ZN9rocsparseL27csrmvn_symm_adaptive_kernelIiiaaffEEvbT_S1_PKS1_NS_24const_host_device_scalarIT4_EES3_PKT0_PKT1_PKT2_S6_PT3_21rocsparse_index_base_b.private_seg_size, 0
	.set _ZN9rocsparseL27csrmvn_symm_adaptive_kernelIiiaaffEEvbT_S1_PKS1_NS_24const_host_device_scalarIT4_EES3_PKT0_PKT1_PKT2_S6_PT3_21rocsparse_index_base_b.uses_vcc, 1
	.set _ZN9rocsparseL27csrmvn_symm_adaptive_kernelIiiaaffEEvbT_S1_PKS1_NS_24const_host_device_scalarIT4_EES3_PKT0_PKT1_PKT2_S6_PT3_21rocsparse_index_base_b.uses_flat_scratch, 0
	.set _ZN9rocsparseL27csrmvn_symm_adaptive_kernelIiiaaffEEvbT_S1_PKS1_NS_24const_host_device_scalarIT4_EES3_PKT0_PKT1_PKT2_S6_PT3_21rocsparse_index_base_b.has_dyn_sized_stack, 0
	.set _ZN9rocsparseL27csrmvn_symm_adaptive_kernelIiiaaffEEvbT_S1_PKS1_NS_24const_host_device_scalarIT4_EES3_PKT0_PKT1_PKT2_S6_PT3_21rocsparse_index_base_b.has_recursion, 0
	.set _ZN9rocsparseL27csrmvn_symm_adaptive_kernelIiiaaffEEvbT_S1_PKS1_NS_24const_host_device_scalarIT4_EES3_PKT0_PKT1_PKT2_S6_PT3_21rocsparse_index_base_b.has_indirect_call, 0
	.section	.AMDGPU.csdata,"",@progbits
; Kernel info:
; codeLenInByte = 7508
; TotalNumSgprs: 32
; NumVgprs: 15
; ScratchSize: 0
; MemoryBound: 0
; FloatMode: 240
; IeeeMode: 1
; LDSByteSize: 4096 bytes/workgroup (compile time only)
; SGPRBlocks: 0
; VGPRBlocks: 1
; NumSGPRsForWavesPerEU: 32
; NumVGPRsForWavesPerEU: 15
; Occupancy: 16
; WaveLimiterHint : 1
; COMPUTE_PGM_RSRC2:SCRATCH_EN: 0
; COMPUTE_PGM_RSRC2:USER_SGPR: 2
; COMPUTE_PGM_RSRC2:TRAP_HANDLER: 0
; COMPUTE_PGM_RSRC2:TGID_X_EN: 1
; COMPUTE_PGM_RSRC2:TGID_Y_EN: 0
; COMPUTE_PGM_RSRC2:TGID_Z_EN: 0
; COMPUTE_PGM_RSRC2:TIDIG_COMP_CNT: 0
	.section	.text._ZL33csrmvn_symm_large_adaptive_kernelIiiaaffEvbT_PKS0_N9rocsparse24const_host_device_scalarIT4_EES2_PKT0_PKT1_PKT2_S6_PT3_21rocsparse_index_base_b,"axG",@progbits,_ZL33csrmvn_symm_large_adaptive_kernelIiiaaffEvbT_PKS0_N9rocsparse24const_host_device_scalarIT4_EES2_PKT0_PKT1_PKT2_S6_PT3_21rocsparse_index_base_b,comdat
	.globl	_ZL33csrmvn_symm_large_adaptive_kernelIiiaaffEvbT_PKS0_N9rocsparse24const_host_device_scalarIT4_EES2_PKT0_PKT1_PKT2_S6_PT3_21rocsparse_index_base_b ; -- Begin function _ZL33csrmvn_symm_large_adaptive_kernelIiiaaffEvbT_PKS0_N9rocsparse24const_host_device_scalarIT4_EES2_PKT0_PKT1_PKT2_S6_PT3_21rocsparse_index_base_b
	.p2align	8
	.type	_ZL33csrmvn_symm_large_adaptive_kernelIiiaaffEvbT_PKS0_N9rocsparse24const_host_device_scalarIT4_EES2_PKT0_PKT1_PKT2_S6_PT3_21rocsparse_index_base_b,@function
_ZL33csrmvn_symm_large_adaptive_kernelIiiaaffEvbT_PKS0_N9rocsparse24const_host_device_scalarIT4_EES2_PKT0_PKT1_PKT2_S6_PT3_21rocsparse_index_base_b: ; @_ZL33csrmvn_symm_large_adaptive_kernelIiiaaffEvbT_PKS0_N9rocsparse24const_host_device_scalarIT4_EES2_PKT0_PKT1_PKT2_S6_PT3_21rocsparse_index_base_b
; %bb.0:
	s_clause 0x2
	s_load_b64 s[6:7], s[0:1], 0x48
	s_load_b64 s[16:17], s[0:1], 0x10
	;; [unrolled: 1-line block ×3, first 2 shown]
	s_wait_kmcnt 0x0
	s_bitcmp1_b32 s7, 0
	s_cselect_b32 s4, -1, 0
	s_delay_alu instid0(SALU_CYCLE_1)
	s_and_b32 vcc_lo, exec_lo, s4
	s_xor_b32 s4, s4, -1
	s_cbranch_vccnz .LBB57_2
; %bb.1:
	s_load_b32 s16, s[16:17], 0x0
.LBB57_2:
	s_and_not1_b32 vcc_lo, exec_lo, s4
	s_cbranch_vccnz .LBB57_4
; %bb.3:
	s_load_b32 s2, s[2:3], 0x0
.LBB57_4:
	s_wait_kmcnt 0x0
	s_cmp_neq_f32 s16, 0
	s_cselect_b32 s3, -1, 0
	s_cmp_neq_f32 s2, 1.0
	s_cselect_b32 s2, -1, 0
	s_delay_alu instid0(SALU_CYCLE_1) | instskip(NEXT) | instid1(SALU_CYCLE_1)
	s_or_b32 s2, s3, s2
	s_and_not1_b32 vcc_lo, exec_lo, s2
	s_cbranch_vccnz .LBB57_32
; %bb.5:
	s_load_b64 s[4:5], s[0:1], 0x8
	s_mov_b32 s2, ttmp9
	s_ashr_i32 s3, ttmp9, 31
	v_dual_mov_b32 v7, 0 :: v_dual_lshlrev_b32 v6, 2, v0
	s_lshl_b64 s[2:3], s[2:3], 2
	ds_store_2addr_stride64_b32 v6, v7, v7 offset1:4
	ds_store_2addr_stride64_b32 v6, v7, v7 offset0:8 offset1:12
	s_wait_dscnt 0x0
	s_barrier_signal -1
	s_barrier_wait -1
	global_inv scope:SCOPE_SE
	v_subrev_nc_u32_e32 v8, s6, v0
	s_wait_kmcnt 0x0
	s_add_nc_u64 s[2:3], s[4:5], s[2:3]
	s_load_b64 s[18:19], s[2:3], 0x0
	s_clause 0x1
	s_load_b256 s[8:15], s[0:1], 0x18
	s_load_b64 s[20:21], s[0:1], 0x40
	s_wait_kmcnt 0x0
	s_cmp_ge_i32 s18, s19
	s_cbranch_scc1 .LBB57_23
; %bb.6:
	v_cmp_gt_u32_e64 s0, 16, v0
	v_cmp_gt_u32_e64 s1, 4, v0
	v_cmp_eq_u32_e64 s2, 0, v0
	s_mov_b32 s22, s18
	v_cmp_gt_u32_e32 vcc_lo, 64, v0
	s_branch .LBB57_8
.LBB57_7:                               ;   in Loop: Header=BB57_8 Depth=1
	s_wait_alu 0xfffe
	s_or_b32 exec_lo, exec_lo, s4
	s_add_co_i32 s22, s22, 1
	s_delay_alu instid0(SALU_CYCLE_1)
	s_cmp_ge_i32 s22, s19
	s_cbranch_scc1 .LBB57_23
.LBB57_8:                               ; =>This Loop Header: Depth=1
                                        ;     Child Loop BB57_10 Depth 2
	s_ashr_i32 s23, s22, 31
	v_mov_b32_e32 v1, 0
	s_lshl_b64 s[24:25], s[22:23], 2
	s_delay_alu instid0(SALU_CYCLE_1)
	s_add_nc_u64 s[4:5], s[8:9], s[24:25]
	s_load_b64 s[4:5], s[4:5], 0x0
	s_wait_kmcnt 0x0
	v_add_nc_u32_e32 v0, s4, v8
	s_sub_co_i32 s7, s5, s6
	s_mov_b32 s5, exec_lo
	s_wait_alu 0xfffe
	s_delay_alu instid0(VALU_DEP_1)
	v_cmpx_gt_i32_e64 s7, v0
	s_cbranch_execz .LBB57_12
; %bb.9:                                ;   in Loop: Header=BB57_8 Depth=1
	v_ashrrev_i32_e32 v1, 31, v0
	v_add_co_u32 v2, s3, s12, v0
	s_mov_b32 s17, 0
	v_lshlrev_b64_e32 v[4:5], 2, v[0:1]
	s_wait_alu 0xf1ff
	v_add_co_ci_u32_e64 v3, null, s13, v1, s3
	v_mov_b32_e32 v1, 0
	s_delay_alu instid0(VALU_DEP_3)
	v_add_co_u32 v4, s3, s10, v4
	s_wait_alu 0xf1ff
	v_add_co_ci_u32_e64 v5, null, s11, v5, s3
.LBB57_10:                              ;   Parent Loop BB57_8 Depth=1
                                        ; =>  This Inner Loop Header: Depth=2
	global_load_b32 v9, v[4:5], off
	s_wait_loadcnt 0x0
	v_subrev_nc_u32_e32 v9, s6, v9
	s_delay_alu instid0(VALU_DEP_1) | instskip(SKIP_2) | instid1(VALU_DEP_2)
	v_ashrrev_i32_e32 v10, 31, v9
	v_add_co_u32 v9, s3, s14, v9
	s_wait_alu 0xf1ff
	v_add_co_ci_u32_e64 v10, null, s15, v10, s3
	v_add_co_u32 v4, s3, 0x400, v4
	global_load_i8 v11, v[2:3], off
	global_load_i8 v9, v[9:10], off
	s_wait_alu 0xf1ff
	v_add_co_ci_u32_e64 v5, null, 0, v5, s3
	v_add_co_u32 v2, s3, 0x100, v2
	s_wait_alu 0xf1ff
	v_add_co_ci_u32_e64 v3, null, 0, v3, s3
	s_wait_loadcnt 0x1
	v_cvt_f32_i32_e32 v10, v11
	s_wait_loadcnt 0x0
	v_cvt_f32_i32_e32 v9, v9
	s_delay_alu instid0(VALU_DEP_1) | instskip(NEXT) | instid1(VALU_DEP_1)
	v_dual_fmac_f32 v1, v10, v9 :: v_dual_add_nc_u32 v0, 0x100, v0
	v_cmp_le_i32_e64 s4, s7, v0
	s_wait_alu 0xfffe
	s_or_b32 s17, s4, s17
	s_wait_alu 0xfffe
	s_and_not1_b32 exec_lo, exec_lo, s17
	s_cbranch_execnz .LBB57_10
; %bb.11:                               ;   in Loop: Header=BB57_8 Depth=1
	s_or_b32 exec_lo, exec_lo, s17
.LBB57_12:                              ;   in Loop: Header=BB57_8 Depth=1
	s_delay_alu instid0(SALU_CYCLE_1)
	s_or_b32 exec_lo, exec_lo, s5
	ds_store_b32 v6, v1
	s_wait_loadcnt_dscnt 0x0
	s_barrier_signal -1
	s_barrier_wait -1
	global_inv scope:SCOPE_SE
	ds_load_2addr_stride64_b32 v[0:1], v6 offset1:4
	ds_load_2addr_stride64_b32 v[2:3], v6 offset0:8 offset1:12
	s_wait_dscnt 0x0
	v_add_f32_e32 v1, v1, v2
	s_delay_alu instid0(VALU_DEP_1) | instskip(NEXT) | instid1(VALU_DEP_1)
	v_add_f32_e32 v1, v1, v3
	v_add_f32_e32 v0, v0, v1
	ds_store_b32 v6, v0
	s_wait_loadcnt_dscnt 0x0
	s_barrier_signal -1
	s_barrier_wait -1
	global_inv scope:SCOPE_SE
	s_and_saveexec_b32 s3, vcc_lo
	s_cbranch_execz .LBB57_14
; %bb.13:                               ;   in Loop: Header=BB57_8 Depth=1
	ds_load_2addr_stride64_b32 v[0:1], v6 offset1:1
	ds_load_2addr_stride64_b32 v[2:3], v6 offset0:2 offset1:3
	s_wait_dscnt 0x0
	v_add_f32_e32 v1, v1, v2
	s_delay_alu instid0(VALU_DEP_1) | instskip(NEXT) | instid1(VALU_DEP_1)
	v_add_f32_e32 v1, v1, v3
	v_add_f32_e32 v0, v0, v1
	ds_store_b32 v6, v0
.LBB57_14:                              ;   in Loop: Header=BB57_8 Depth=1
	s_wait_alu 0xfffe
	s_or_b32 exec_lo, exec_lo, s3
	s_wait_loadcnt_dscnt 0x0
	s_barrier_signal -1
	s_barrier_wait -1
	global_inv scope:SCOPE_SE
	s_and_saveexec_b32 s3, s0
	s_cbranch_execz .LBB57_16
; %bb.15:                               ;   in Loop: Header=BB57_8 Depth=1
	ds_load_2addr_b32 v[0:1], v6 offset1:16
	ds_load_2addr_b32 v[2:3], v6 offset0:32 offset1:48
	s_wait_dscnt 0x0
	v_add_f32_e32 v1, v1, v2
	s_delay_alu instid0(VALU_DEP_1) | instskip(NEXT) | instid1(VALU_DEP_1)
	v_add_f32_e32 v1, v1, v3
	v_add_f32_e32 v0, v0, v1
	ds_store_b32 v6, v0
.LBB57_16:                              ;   in Loop: Header=BB57_8 Depth=1
	s_wait_alu 0xfffe
	s_or_b32 exec_lo, exec_lo, s3
	s_wait_loadcnt_dscnt 0x0
	s_barrier_signal -1
	s_barrier_wait -1
	global_inv scope:SCOPE_SE
	s_and_saveexec_b32 s3, s1
	s_cbranch_execz .LBB57_18
; %bb.17:                               ;   in Loop: Header=BB57_8 Depth=1
	ds_load_2addr_b32 v[0:1], v6 offset1:4
	ds_load_2addr_b32 v[2:3], v6 offset0:8 offset1:12
	s_wait_dscnt 0x0
	v_add_f32_e32 v1, v1, v2
	s_delay_alu instid0(VALU_DEP_1) | instskip(NEXT) | instid1(VALU_DEP_1)
	v_add_f32_e32 v1, v1, v3
	v_add_f32_e32 v0, v0, v1
	ds_store_b32 v6, v0
.LBB57_18:                              ;   in Loop: Header=BB57_8 Depth=1
	s_wait_alu 0xfffe
	s_or_b32 exec_lo, exec_lo, s3
	s_wait_loadcnt_dscnt 0x0
	s_barrier_signal -1
	s_barrier_wait -1
	global_inv scope:SCOPE_SE
	s_and_saveexec_b32 s3, s2
	s_cbranch_execz .LBB57_20
; %bb.19:                               ;   in Loop: Header=BB57_8 Depth=1
	ds_load_2addr_b32 v[0:1], v7 offset0:1 offset1:2
	ds_load_b32 v2, v7 offset:12
	ds_load_b32 v3, v6
	s_wait_dscnt 0x2
	v_add_f32_e32 v0, v0, v1
	s_wait_dscnt 0x1
	s_delay_alu instid0(VALU_DEP_1) | instskip(SKIP_1) | instid1(VALU_DEP_1)
	v_add_f32_e32 v0, v0, v2
	s_wait_dscnt 0x0
	v_add_f32_e32 v0, v3, v0
	ds_store_b32 v6, v0
.LBB57_20:                              ;   in Loop: Header=BB57_8 Depth=1
	s_wait_alu 0xfffe
	s_or_b32 exec_lo, exec_lo, s3
	s_wait_loadcnt_dscnt 0x0
	s_barrier_signal -1
	s_barrier_wait -1
	global_inv scope:SCOPE_SE
	s_and_saveexec_b32 s4, s2
	s_cbranch_execz .LBB57_7
; %bb.21:                               ;   in Loop: Header=BB57_8 Depth=1
	s_mov_b32 s5, exec_lo
	s_wait_alu 0xfffe
	v_mbcnt_lo_u32_b32 v0, s5, 0
	s_delay_alu instid0(VALU_DEP_1)
	v_cmp_eq_u32_e64 s3, 0, v0
	s_and_b32 s3, exec_lo, s3
	s_wait_alu 0xfffe
	s_mov_b32 exec_lo, s3
	s_cbranch_execz .LBB57_7
; %bb.22:                               ;   in Loop: Header=BB57_8 Depth=1
	ds_load_b32 v0, v7
	s_bcnt1_i32_b32 s3, s5
	s_add_nc_u64 s[24:25], s[20:21], s[24:25]
	s_wait_alu 0xfffe
	v_cvt_f32_ubyte0_e32 v1, s3
	s_wait_dscnt 0x0
	v_mul_f32_e32 v0, s16, v0
	s_delay_alu instid0(VALU_DEP_1)
	v_mul_f32_e32 v0, v0, v1
	global_atomic_add_f32 v7, v0, s[24:25] scope:SCOPE_DEV
	s_branch .LBB57_7
.LBB57_23:
	s_ashr_i32 s1, s18, 31
	s_mov_b32 s0, s18
	s_ashr_i32 s3, s19, 31
	s_lshl_b64 s[0:1], s[0:1], 2
	s_mov_b32 s2, s19
	s_add_nc_u64 s[0:1], s[8:9], s[0:1]
	s_wait_alu 0xfffe
	s_lshl_b64 s[2:3], s[2:3], 2
	s_load_b32 s4, s[0:1], 0x0
	s_add_nc_u64 s[0:1], s[8:9], s[2:3]
	s_load_b32 s0, s[0:1], 0x0
	s_wait_kmcnt 0x0
	v_add_nc_u32_e32 v0, s4, v8
	s_sub_co_i32 s1, s0, s6
	s_mov_b32 s0, exec_lo
	s_delay_alu instid0(VALU_DEP_1)
	v_cmpx_gt_i32_e64 s1, v0
	s_cbranch_execz .LBB57_32
; %bb.24:
	s_add_co_i32 s2, s19, -1
	s_mov_b32 s4, 0
	s_wait_alu 0xfffe
	s_cmp_lt_i32 s18, s2
	s_cselect_b32 s0, -1, 0
	s_add_co_i32 s3, s19, -2
	s_wait_alu 0xfffe
	s_cmp_lg_u32 s18, s3
	s_cselect_b32 s3, -1, 0
	s_wait_alu 0xfffe
	s_and_b32 s3, s0, s3
	s_branch .LBB57_26
.LBB57_25:                              ;   in Loop: Header=BB57_26 Depth=1
	s_wait_alu 0xfffe
	s_or_b32 exec_lo, exec_lo, s0
	v_add_nc_u32_e32 v0, 0x100, v0
	s_delay_alu instid0(VALU_DEP_1)
	v_cmp_le_i32_e32 vcc_lo, s1, v0
	s_or_b32 s4, vcc_lo, s4
	s_wait_alu 0xfffe
	s_and_not1_b32 exec_lo, exec_lo, s4
	s_cbranch_execz .LBB57_32
.LBB57_26:                              ; =>This Loop Header: Depth=1
                                        ;     Child Loop BB57_28 Depth 2
	v_mov_b32_e32 v4, s18
	v_mov_b32_e32 v2, s2
	s_wait_alu 0xfffe
	s_and_not1_b32 vcc_lo, exec_lo, s3
	s_wait_alu 0xfffe
	s_cbranch_vccnz .LBB57_30
; %bb.27:                               ;   in Loop: Header=BB57_26 Depth=1
	v_mov_b32_e32 v4, s18
	v_mov_b32_e32 v2, s2
	s_mov_b32 s5, 0
.LBB57_28:                              ;   Parent Loop BB57_26 Depth=1
                                        ; =>  This Inner Loop Header: Depth=2
	s_delay_alu instid0(VALU_DEP_1) | instskip(NEXT) | instid1(VALU_DEP_1)
	v_add_nc_u32_e32 v1, v2, v4
	v_lshrrev_b32_e32 v3, 31, v1
	s_delay_alu instid0(VALU_DEP_1) | instskip(NEXT) | instid1(VALU_DEP_1)
	v_add_nc_u32_e32 v1, v1, v3
	v_ashrrev_i32_e32 v5, 1, v1
	s_delay_alu instid0(VALU_DEP_1) | instskip(NEXT) | instid1(VALU_DEP_1)
	v_ashrrev_i32_e32 v6, 31, v5
	v_lshlrev_b64_e32 v[6:7], 2, v[5:6]
	s_delay_alu instid0(VALU_DEP_1) | instskip(SKIP_1) | instid1(VALU_DEP_2)
	v_add_co_u32 v6, vcc_lo, s8, v6
	s_wait_alu 0xfffd
	v_add_co_ci_u32_e64 v7, null, s9, v7, vcc_lo
	global_load_b32 v1, v[6:7], off
	s_wait_loadcnt 0x0
	v_subrev_nc_u32_e32 v1, s6, v1
	s_delay_alu instid0(VALU_DEP_1) | instskip(SKIP_2) | instid1(VALU_DEP_1)
	v_cmp_lt_i32_e32 vcc_lo, v0, v1
	s_wait_alu 0xfffd
	v_cndmask_b32_e32 v2, v2, v5, vcc_lo
	v_dual_cndmask_b32 v4, v5, v4 :: v_dual_add_nc_u32 v1, -1, v2
	s_delay_alu instid0(VALU_DEP_1) | instskip(NEXT) | instid1(VALU_DEP_2)
	v_cmp_ge_i32_e32 vcc_lo, v4, v2
	v_cmp_eq_u32_e64 s0, v4, v1
	s_or_b32 s0, vcc_lo, s0
	s_wait_alu 0xfffe
	s_and_b32 s0, exec_lo, s0
	s_wait_alu 0xfffe
	s_or_b32 s5, s0, s5
	s_wait_alu 0xfffe
	s_and_not1_b32 exec_lo, exec_lo, s5
	s_cbranch_execnz .LBB57_28
; %bb.29:                               ;   in Loop: Header=BB57_26 Depth=1
	s_or_b32 exec_lo, exec_lo, s5
.LBB57_30:                              ;   in Loop: Header=BB57_26 Depth=1
	v_ashrrev_i32_e32 v3, 31, v2
	v_ashrrev_i32_e32 v1, 31, v0
	s_mov_b32 s0, exec_lo
	s_delay_alu instid0(VALU_DEP_2) | instskip(NEXT) | instid1(VALU_DEP_2)
	v_lshlrev_b64_e32 v[5:6], 2, v[2:3]
	v_lshlrev_b64_e32 v[7:8], 2, v[0:1]
	s_delay_alu instid0(VALU_DEP_2) | instskip(SKIP_1) | instid1(VALU_DEP_3)
	v_add_co_u32 v5, vcc_lo, s8, v5
	s_wait_alu 0xfffd
	v_add_co_ci_u32_e64 v6, null, s9, v6, vcc_lo
	global_load_b32 v3, v[5:6], off
	v_add_co_u32 v5, vcc_lo, s10, v7
	s_wait_alu 0xfffd
	v_add_co_ci_u32_e64 v6, null, s11, v8, vcc_lo
	global_load_b32 v5, v[5:6], off
	s_wait_loadcnt 0x1
	v_subrev_nc_u32_e32 v3, s6, v3
	s_delay_alu instid0(VALU_DEP_1) | instskip(SKIP_4) | instid1(VALU_DEP_1)
	v_cmp_lt_i32_e32 vcc_lo, v0, v3
	s_wait_alu 0xfffd
	v_cndmask_b32_e32 v3, v2, v4, vcc_lo
	s_wait_loadcnt 0x0
	v_subrev_nc_u32_e32 v2, s6, v5
	v_cmpx_ne_u32_e64 v2, v3
	s_cbranch_execz .LBB57_25
; %bb.31:                               ;   in Loop: Header=BB57_26 Depth=1
	v_add_co_u32 v4, vcc_lo, s12, v0
	s_wait_alu 0xfffd
	v_add_co_ci_u32_e64 v5, null, s13, v1, vcc_lo
	v_ashrrev_i32_e32 v1, 31, v3
	v_add_co_u32 v3, vcc_lo, s14, v3
	global_load_i8 v5, v[4:5], off
	s_wait_alu 0xfffd
	v_add_co_ci_u32_e64 v4, null, s15, v1, vcc_lo
	global_load_i8 v4, v[3:4], off
	v_ashrrev_i32_e32 v3, 31, v2
	s_delay_alu instid0(VALU_DEP_1) | instskip(NEXT) | instid1(VALU_DEP_1)
	v_lshlrev_b64_e32 v[1:2], 2, v[2:3]
	v_add_co_u32 v1, vcc_lo, s20, v1
	s_wait_alu 0xfffd
	s_delay_alu instid0(VALU_DEP_2) | instskip(SKIP_2) | instid1(VALU_DEP_1)
	v_add_co_ci_u32_e64 v2, null, s21, v2, vcc_lo
	s_wait_loadcnt 0x1
	v_cvt_f32_i32_e32 v5, v5
	v_mul_f32_e32 v3, s16, v5
	s_wait_loadcnt 0x0
	v_cvt_f32_i32_e32 v4, v4
	s_delay_alu instid0(VALU_DEP_1)
	v_mul_f32_e32 v3, v3, v4
	global_atomic_add_f32 v[1:2], v3, off scope:SCOPE_DEV
	s_branch .LBB57_25
.LBB57_32:
	s_endpgm
	.section	.rodata,"a",@progbits
	.p2align	6, 0x0
	.amdhsa_kernel _ZL33csrmvn_symm_large_adaptive_kernelIiiaaffEvbT_PKS0_N9rocsparse24const_host_device_scalarIT4_EES2_PKT0_PKT1_PKT2_S6_PT3_21rocsparse_index_base_b
		.amdhsa_group_segment_fixed_size 4096
		.amdhsa_private_segment_fixed_size 0
		.amdhsa_kernarg_size 80
		.amdhsa_user_sgpr_count 2
		.amdhsa_user_sgpr_dispatch_ptr 0
		.amdhsa_user_sgpr_queue_ptr 0
		.amdhsa_user_sgpr_kernarg_segment_ptr 1
		.amdhsa_user_sgpr_dispatch_id 0
		.amdhsa_user_sgpr_private_segment_size 0
		.amdhsa_wavefront_size32 1
		.amdhsa_uses_dynamic_stack 0
		.amdhsa_enable_private_segment 0
		.amdhsa_system_sgpr_workgroup_id_x 1
		.amdhsa_system_sgpr_workgroup_id_y 0
		.amdhsa_system_sgpr_workgroup_id_z 0
		.amdhsa_system_sgpr_workgroup_info 0
		.amdhsa_system_vgpr_workitem_id 0
		.amdhsa_next_free_vgpr 12
		.amdhsa_next_free_sgpr 26
		.amdhsa_reserve_vcc 1
		.amdhsa_float_round_mode_32 0
		.amdhsa_float_round_mode_16_64 0
		.amdhsa_float_denorm_mode_32 3
		.amdhsa_float_denorm_mode_16_64 3
		.amdhsa_fp16_overflow 0
		.amdhsa_workgroup_processor_mode 1
		.amdhsa_memory_ordered 1
		.amdhsa_forward_progress 1
		.amdhsa_inst_pref_size 15
		.amdhsa_round_robin_scheduling 0
		.amdhsa_exception_fp_ieee_invalid_op 0
		.amdhsa_exception_fp_denorm_src 0
		.amdhsa_exception_fp_ieee_div_zero 0
		.amdhsa_exception_fp_ieee_overflow 0
		.amdhsa_exception_fp_ieee_underflow 0
		.amdhsa_exception_fp_ieee_inexact 0
		.amdhsa_exception_int_div_zero 0
	.end_amdhsa_kernel
	.section	.text._ZL33csrmvn_symm_large_adaptive_kernelIiiaaffEvbT_PKS0_N9rocsparse24const_host_device_scalarIT4_EES2_PKT0_PKT1_PKT2_S6_PT3_21rocsparse_index_base_b,"axG",@progbits,_ZL33csrmvn_symm_large_adaptive_kernelIiiaaffEvbT_PKS0_N9rocsparse24const_host_device_scalarIT4_EES2_PKT0_PKT1_PKT2_S6_PT3_21rocsparse_index_base_b,comdat
.Lfunc_end57:
	.size	_ZL33csrmvn_symm_large_adaptive_kernelIiiaaffEvbT_PKS0_N9rocsparse24const_host_device_scalarIT4_EES2_PKT0_PKT1_PKT2_S6_PT3_21rocsparse_index_base_b, .Lfunc_end57-_ZL33csrmvn_symm_large_adaptive_kernelIiiaaffEvbT_PKS0_N9rocsparse24const_host_device_scalarIT4_EES2_PKT0_PKT1_PKT2_S6_PT3_21rocsparse_index_base_b
                                        ; -- End function
	.set _ZL33csrmvn_symm_large_adaptive_kernelIiiaaffEvbT_PKS0_N9rocsparse24const_host_device_scalarIT4_EES2_PKT0_PKT1_PKT2_S6_PT3_21rocsparse_index_base_b.num_vgpr, 12
	.set _ZL33csrmvn_symm_large_adaptive_kernelIiiaaffEvbT_PKS0_N9rocsparse24const_host_device_scalarIT4_EES2_PKT0_PKT1_PKT2_S6_PT3_21rocsparse_index_base_b.num_agpr, 0
	.set _ZL33csrmvn_symm_large_adaptive_kernelIiiaaffEvbT_PKS0_N9rocsparse24const_host_device_scalarIT4_EES2_PKT0_PKT1_PKT2_S6_PT3_21rocsparse_index_base_b.numbered_sgpr, 26
	.set _ZL33csrmvn_symm_large_adaptive_kernelIiiaaffEvbT_PKS0_N9rocsparse24const_host_device_scalarIT4_EES2_PKT0_PKT1_PKT2_S6_PT3_21rocsparse_index_base_b.num_named_barrier, 0
	.set _ZL33csrmvn_symm_large_adaptive_kernelIiiaaffEvbT_PKS0_N9rocsparse24const_host_device_scalarIT4_EES2_PKT0_PKT1_PKT2_S6_PT3_21rocsparse_index_base_b.private_seg_size, 0
	.set _ZL33csrmvn_symm_large_adaptive_kernelIiiaaffEvbT_PKS0_N9rocsparse24const_host_device_scalarIT4_EES2_PKT0_PKT1_PKT2_S6_PT3_21rocsparse_index_base_b.uses_vcc, 1
	.set _ZL33csrmvn_symm_large_adaptive_kernelIiiaaffEvbT_PKS0_N9rocsparse24const_host_device_scalarIT4_EES2_PKT0_PKT1_PKT2_S6_PT3_21rocsparse_index_base_b.uses_flat_scratch, 0
	.set _ZL33csrmvn_symm_large_adaptive_kernelIiiaaffEvbT_PKS0_N9rocsparse24const_host_device_scalarIT4_EES2_PKT0_PKT1_PKT2_S6_PT3_21rocsparse_index_base_b.has_dyn_sized_stack, 0
	.set _ZL33csrmvn_symm_large_adaptive_kernelIiiaaffEvbT_PKS0_N9rocsparse24const_host_device_scalarIT4_EES2_PKT0_PKT1_PKT2_S6_PT3_21rocsparse_index_base_b.has_recursion, 0
	.set _ZL33csrmvn_symm_large_adaptive_kernelIiiaaffEvbT_PKS0_N9rocsparse24const_host_device_scalarIT4_EES2_PKT0_PKT1_PKT2_S6_PT3_21rocsparse_index_base_b.has_indirect_call, 0
	.section	.AMDGPU.csdata,"",@progbits
; Kernel info:
; codeLenInByte = 1824
; TotalNumSgprs: 28
; NumVgprs: 12
; ScratchSize: 0
; MemoryBound: 0
; FloatMode: 240
; IeeeMode: 1
; LDSByteSize: 4096 bytes/workgroup (compile time only)
; SGPRBlocks: 0
; VGPRBlocks: 1
; NumSGPRsForWavesPerEU: 28
; NumVGPRsForWavesPerEU: 12
; Occupancy: 16
; WaveLimiterHint : 1
; COMPUTE_PGM_RSRC2:SCRATCH_EN: 0
; COMPUTE_PGM_RSRC2:USER_SGPR: 2
; COMPUTE_PGM_RSRC2:TRAP_HANDLER: 0
; COMPUTE_PGM_RSRC2:TGID_X_EN: 1
; COMPUTE_PGM_RSRC2:TGID_Y_EN: 0
; COMPUTE_PGM_RSRC2:TGID_Z_EN: 0
; COMPUTE_PGM_RSRC2:TIDIG_COMP_CNT: 0
	.section	.text._ZN9rocsparseL22csrmvn_adaptive_kernelIliaaffEEvbT_PKS1_PjPKT0_NS_24const_host_device_scalarIT4_EES3_S7_PKT1_PKT2_SA_PT3_21rocsparse_index_base_b,"axG",@progbits,_ZN9rocsparseL22csrmvn_adaptive_kernelIliaaffEEvbT_PKS1_PjPKT0_NS_24const_host_device_scalarIT4_EES3_S7_PKT1_PKT2_SA_PT3_21rocsparse_index_base_b,comdat
	.globl	_ZN9rocsparseL22csrmvn_adaptive_kernelIliaaffEEvbT_PKS1_PjPKT0_NS_24const_host_device_scalarIT4_EES3_S7_PKT1_PKT2_SA_PT3_21rocsparse_index_base_b ; -- Begin function _ZN9rocsparseL22csrmvn_adaptive_kernelIliaaffEEvbT_PKS1_PjPKT0_NS_24const_host_device_scalarIT4_EES3_S7_PKT1_PKT2_SA_PT3_21rocsparse_index_base_b
	.p2align	8
	.type	_ZN9rocsparseL22csrmvn_adaptive_kernelIliaaffEEvbT_PKS1_PjPKT0_NS_24const_host_device_scalarIT4_EES3_S7_PKT1_PKT2_SA_PT3_21rocsparse_index_base_b,@function
_ZN9rocsparseL22csrmvn_adaptive_kernelIliaaffEEvbT_PKS1_PjPKT0_NS_24const_host_device_scalarIT4_EES3_S7_PKT1_PKT2_SA_PT3_21rocsparse_index_base_b: ; @_ZN9rocsparseL22csrmvn_adaptive_kernelIliaaffEEvbT_PKS1_PjPKT0_NS_24const_host_device_scalarIT4_EES3_S7_PKT1_PKT2_SA_PT3_21rocsparse_index_base_b
; %bb.0:
	s_clause 0x2
	s_load_b64 s[38:39], s[0:1], 0x60
	s_load_b64 s[36:37], s[0:1], 0x28
	;; [unrolled: 1-line block ×3, first 2 shown]
	s_wait_kmcnt 0x0
	s_bitcmp1_b32 s39, 0
	s_cselect_b32 s2, -1, 0
	s_delay_alu instid0(SALU_CYCLE_1)
	s_and_b32 vcc_lo, exec_lo, s2
	s_xor_b32 s2, s2, -1
	s_cbranch_vccnz .LBB58_2
; %bb.1:
	s_load_b32 s36, s[36:37], 0x0
.LBB58_2:
	s_and_not1_b32 vcc_lo, exec_lo, s2
	s_cbranch_vccnz .LBB58_4
; %bb.3:
	s_load_b32 s24, s[24:25], 0x0
.LBB58_4:
	s_wait_kmcnt 0x0
	s_cmp_neq_f32 s36, 0
	s_cselect_b32 s2, -1, 0
	s_cmp_neq_f32 s24, 1.0
	s_cselect_b32 s3, -1, 0
	s_delay_alu instid0(SALU_CYCLE_1) | instskip(NEXT) | instid1(SALU_CYCLE_1)
	s_or_b32 s2, s2, s3
	s_and_not1_b32 vcc_lo, exec_lo, s2
	s_cbranch_vccnz .LBB58_115
; %bb.5:
	s_clause 0x1
	s_load_b64 s[2:3], s[0:1], 0x10
	s_load_b64 s[6:7], s[0:1], 0x20
	s_mov_b32 s40, ttmp9
	s_ashr_i32 s41, ttmp9, 31
	s_delay_alu instid0(SALU_CYCLE_1)
	s_lshl_b64 s[4:5], s[40:41], 3
	s_lshl_b64 s[42:43], s[40:41], 2
	s_wait_kmcnt 0x0
	s_add_nc_u64 s[2:3], s[2:3], s[4:5]
	s_add_nc_u64 s[4:5], s[6:7], s[42:43]
	s_load_b128 s[20:23], s[2:3], 0x0
	s_clause 0x1
	s_load_b256 s[12:19], s[0:1], 0x30
	s_load_b64 s[26:27], s[0:1], 0x58
	s_wait_kmcnt 0x0
	s_lshl_b64 s[2:3], s[20:21], 3
	s_delay_alu instid0(SALU_CYCLE_1)
	s_add_nc_u64 s[30:31], s[12:13], s[2:3]
	s_load_b32 s28, s[4:5], 0x0
	s_load_b64 s[34:35], s[30:31], 0x0
	s_sub_co_i32 s3, s22, s20
	s_mov_b32 s2, -1
	s_cmp_lt_i32 s3, 2
	s_cbranch_scc0 .LBB58_71
; %bb.6:
	s_cmp_lg_u32 s3, 1
	s_cselect_b32 s2, -1, 0
	s_wait_kmcnt 0x0
	s_cmp_lg_u32 s28, 0
	s_cselect_b32 s3, -1, 0
	s_delay_alu instid0(SALU_CYCLE_1) | instskip(NEXT) | instid1(SALU_CYCLE_1)
	s_or_b32 s2, s2, s3
	s_and_b32 vcc_lo, exec_lo, s2
	s_mov_b32 s2, -1
	s_cbranch_vccnz .LBB58_35
; %bb.7:
	v_cmp_le_i64_e64 s2, s[22:23], s[20:21]
	s_and_b32 vcc_lo, exec_lo, s2
	s_cbranch_vccnz .LBB58_34
; %bb.8:
	v_sub_co_u32 v6, s2, v0, s38
	s_cmp_neq_f32 s24, 0
	v_dual_mov_b32 v5, 0 :: v_dual_lshlrev_b32 v8, 2, v0
	v_sub_co_ci_u32_e64 v7, null, 0, 0, s2
	v_cmp_gt_u32_e64 s2, 0x80, v0
	v_cmp_gt_u32_e64 s3, 64, v0
	;; [unrolled: 1-line block ×7, first 2 shown]
	v_cmp_eq_u32_e64 s9, 0, v0
	s_cselect_b32 s11, -1, 0
	s_mov_b32 s39, 0
	s_mov_b64 s[44:45], s[20:21]
	s_branch .LBB58_11
.LBB58_9:                               ;   in Loop: Header=BB58_11 Depth=1
	s_lshl_b64 s[46:47], s[44:45], 2
	s_wait_alu 0xfffe
	s_add_nc_u64 s[46:47], s[26:27], s[46:47]
	s_wait_dscnt 0x0
	global_store_b32 v5, v1, s[46:47]
.LBB58_10:                              ;   in Loop: Header=BB58_11 Depth=1
	s_wait_alu 0xfffe
	s_or_b32 exec_lo, exec_lo, s10
	s_add_nc_u64 s[44:45], s[44:45], 1
	s_wait_alu 0xfffe
	v_cmp_ge_i64_e64 s10, s[44:45], s[22:23]
	s_and_b32 vcc_lo, exec_lo, s10
	s_wait_alu 0xfffe
	s_cbranch_vccnz .LBB58_34
.LBB58_11:                              ; =>This Loop Header: Depth=1
                                        ;     Child Loop BB58_13 Depth 2
	s_lshl_b64 s[46:47], s[44:45], 3
	v_mov_b32_e32 v9, 0
	s_wait_alu 0xfffe
	s_add_nc_u64 s[46:47], s[12:13], s[46:47]
	s_mov_b32 s25, exec_lo
	s_load_b128 s[48:51], s[46:47], 0x0
	s_wait_kmcnt 0x0
	v_add_co_u32 v1, vcc_lo, s48, v6
	s_wait_alu 0xfffd
	v_add_co_ci_u32_e64 v2, null, s49, v7, vcc_lo
	s_sub_nc_u64 s[46:47], s[50:51], s[38:39]
	s_wait_alu 0xfffe
	v_cmpx_gt_i64_e64 s[46:47], v[1:2]
	s_cbranch_execz .LBB58_15
; %bb.12:                               ;   in Loop: Header=BB58_11 Depth=1
	v_lshlrev_b64_e32 v[3:4], 2, v[1:2]
	v_mov_b32_e32 v9, 0
	s_mov_b32 s29, 0
	s_delay_alu instid0(VALU_DEP_2) | instskip(SKIP_1) | instid1(VALU_DEP_3)
	v_add_co_u32 v3, vcc_lo, s14, v3
	s_wait_alu 0xfffd
	v_add_co_ci_u32_e64 v4, null, s15, v4, vcc_lo
.LBB58_13:                              ;   Parent Loop BB58_11 Depth=1
                                        ; =>  This Inner Loop Header: Depth=2
	global_load_b32 v11, v[3:4], off
	v_add_co_u32 v10, vcc_lo, s16, v1
	v_add_co_u32 v3, s10, 0x400, v3
	s_wait_alu 0xf1ff
	v_add_co_ci_u32_e64 v4, null, 0, v4, s10
	s_wait_loadcnt 0x0
	v_subrev_nc_u32_e32 v12, s38, v11
	s_wait_alu 0xfffd
	v_add_co_ci_u32_e64 v11, null, s17, v2, vcc_lo
	s_delay_alu instid0(VALU_DEP_2)
	v_ashrrev_i32_e32 v13, 31, v12
	global_load_i8 v14, v[10:11], off
	v_add_co_u32 v10, vcc_lo, s18, v12
	s_wait_alu 0xfffd
	v_add_co_ci_u32_e64 v11, null, s19, v13, vcc_lo
	v_add_co_u32 v1, vcc_lo, 0x100, v1
	s_wait_alu 0xfffd
	v_add_co_ci_u32_e64 v2, null, 0, v2, vcc_lo
	global_load_i8 v10, v[10:11], off
	v_cmp_le_i64_e32 vcc_lo, s[46:47], v[1:2]
	s_or_b32 s29, vcc_lo, s29
	s_wait_loadcnt 0x1
	v_cvt_f32_i32_e32 v11, v14
	s_delay_alu instid0(VALU_DEP_1) | instskip(SKIP_2) | instid1(VALU_DEP_1)
	v_mul_f32_e32 v11, s36, v11
	s_wait_loadcnt 0x0
	v_cvt_f32_i32_e32 v10, v10
	v_fmac_f32_e32 v9, v11, v10
	s_and_not1_b32 exec_lo, exec_lo, s29
	s_cbranch_execnz .LBB58_13
; %bb.14:                               ;   in Loop: Header=BB58_11 Depth=1
	s_or_b32 exec_lo, exec_lo, s29
.LBB58_15:                              ;   in Loop: Header=BB58_11 Depth=1
	s_delay_alu instid0(SALU_CYCLE_1)
	s_or_b32 exec_lo, exec_lo, s25
	ds_store_b32 v8, v9
	s_wait_dscnt 0x0
	s_barrier_signal -1
	s_barrier_wait -1
	global_inv scope:SCOPE_SE
	s_and_saveexec_b32 s10, s2
	s_cbranch_execz .LBB58_17
; %bb.16:                               ;   in Loop: Header=BB58_11 Depth=1
	ds_load_2addr_stride64_b32 v[1:2], v8 offset1:2
	s_wait_dscnt 0x0
	v_add_f32_e32 v1, v1, v2
	ds_store_b32 v8, v1
.LBB58_17:                              ;   in Loop: Header=BB58_11 Depth=1
	s_wait_alu 0xfffe
	s_or_b32 exec_lo, exec_lo, s10
	s_wait_loadcnt_dscnt 0x0
	s_barrier_signal -1
	s_barrier_wait -1
	global_inv scope:SCOPE_SE
	s_and_saveexec_b32 s10, s3
	s_cbranch_execz .LBB58_19
; %bb.18:                               ;   in Loop: Header=BB58_11 Depth=1
	ds_load_2addr_stride64_b32 v[1:2], v8 offset1:1
	s_wait_dscnt 0x0
	v_add_f32_e32 v1, v1, v2
	ds_store_b32 v8, v1
.LBB58_19:                              ;   in Loop: Header=BB58_11 Depth=1
	s_wait_alu 0xfffe
	s_or_b32 exec_lo, exec_lo, s10
	s_wait_loadcnt_dscnt 0x0
	s_barrier_signal -1
	s_barrier_wait -1
	global_inv scope:SCOPE_SE
	s_and_saveexec_b32 s10, s4
	s_cbranch_execz .LBB58_21
; %bb.20:                               ;   in Loop: Header=BB58_11 Depth=1
	ds_load_2addr_b32 v[1:2], v8 offset1:32
	s_wait_dscnt 0x0
	v_add_f32_e32 v1, v1, v2
	ds_store_b32 v8, v1
.LBB58_21:                              ;   in Loop: Header=BB58_11 Depth=1
	s_wait_alu 0xfffe
	s_or_b32 exec_lo, exec_lo, s10
	s_wait_loadcnt_dscnt 0x0
	s_barrier_signal -1
	s_barrier_wait -1
	global_inv scope:SCOPE_SE
	s_and_saveexec_b32 s10, s5
	s_cbranch_execz .LBB58_23
; %bb.22:                               ;   in Loop: Header=BB58_11 Depth=1
	ds_load_2addr_b32 v[1:2], v8 offset1:16
	s_wait_dscnt 0x0
	v_add_f32_e32 v1, v1, v2
	ds_store_b32 v8, v1
.LBB58_23:                              ;   in Loop: Header=BB58_11 Depth=1
	;; [unrolled: 14-line block ×5, first 2 shown]
	s_wait_alu 0xfffe
	s_or_b32 exec_lo, exec_lo, s10
	s_wait_loadcnt_dscnt 0x0
	s_barrier_signal -1
	s_barrier_wait -1
	global_inv scope:SCOPE_SE
	s_and_saveexec_b32 s10, s9
	s_cbranch_execz .LBB58_31
; %bb.30:                               ;   in Loop: Header=BB58_11 Depth=1
	ds_load_b64 v[1:2], v5
	s_wait_dscnt 0x0
	v_add_f32_e32 v1, v1, v2
	ds_store_b32 v5, v1
.LBB58_31:                              ;   in Loop: Header=BB58_11 Depth=1
	s_wait_alu 0xfffe
	s_or_b32 exec_lo, exec_lo, s10
	s_wait_loadcnt_dscnt 0x0
	s_barrier_signal -1
	s_barrier_wait -1
	global_inv scope:SCOPE_SE
	s_and_saveexec_b32 s10, s9
	s_cbranch_execz .LBB58_10
; %bb.32:                               ;   in Loop: Header=BB58_11 Depth=1
	ds_load_b32 v1, v5
	s_and_not1_b32 vcc_lo, exec_lo, s11
	s_wait_alu 0xfffe
	s_cbranch_vccnz .LBB58_9
; %bb.33:                               ;   in Loop: Header=BB58_11 Depth=1
	s_lshl_b64 s[46:47], s[44:45], 2
	s_wait_alu 0xfffe
	s_add_nc_u64 s[46:47], s[26:27], s[46:47]
	global_load_b32 v2, v5, s[46:47]
	s_wait_loadcnt_dscnt 0x0
	v_fmac_f32_e32 v1, s24, v2
	s_branch .LBB58_9
.LBB58_34:
	s_mov_b32 s2, 0
.LBB58_35:
	s_wait_alu 0xfffe
	s_and_not1_b32 vcc_lo, exec_lo, s2
	s_wait_alu 0xfffe
	s_cbranch_vccnz .LBB58_70
; %bb.36:
	s_load_b64 s[6:7], s[0:1], 0x18
	v_mov_b32_e32 v6, 0
	v_or_b32_e32 v1, s28, v0
	s_sub_co_i32 s8, s40, s28
	s_mov_b32 s39, 0
	s_mov_b32 s2, exec_lo
	s_wait_kmcnt 0x0
	s_add_nc_u64 s[4:5], s[6:7], s[42:43]
	global_load_b32 v5, v6, s[4:5]
	v_cmpx_eq_u32_e32 0, v1
	s_cbranch_execz .LBB58_40
; %bb.37:
	v_mov_b32_e32 v1, 0
	s_lshl_b64 s[10:11], s[20:21], 2
	s_mov_b32 s3, exec_lo
	s_wait_alu 0xfffe
	s_add_nc_u64 s[10:11], s[26:27], s[10:11]
	v_mbcnt_lo_u32_b32 v3, s3, 0
	global_load_b32 v2, v1, s[10:11]
	s_add_f32 s10, s24, -1.0
	s_mov_b32 s11, exec_lo
	s_wait_loadcnt 0x0
	s_wait_storecnt 0x0
	global_inv scope:SCOPE_DEV
	v_cmpx_eq_u32_e32 0, v3
	s_cbranch_execz .LBB58_39
; %bb.38:
	s_bcnt1_i32_b32 s3, s3
	s_ashr_i32 s9, s8, 31
	s_wait_alu 0xfffe
	s_and_b32 s3, s3, 1
	s_lshl_b64 s[40:41], s[8:9], 2
	s_wait_alu 0xfffe
	v_mov_b32_e32 v3, s3
	s_add_nc_u64 s[40:41], s[6:7], s[40:41]
	global_atomic_xor_b32 v1, v3, s[40:41] scope:SCOPE_DEV
.LBB58_39:
	s_wait_alu 0xfffe
	s_or_b32 exec_lo, exec_lo, s11
	v_mul_f32_e32 v6, s10, v2
.LBB58_40:
	s_wait_alu 0xfffe
	s_or_b32 exec_lo, exec_lo, s2
	s_load_b64 s[2:3], s[30:31], 0x8
	s_ashr_i32 s29, s28, 31
	s_sub_nc_u64 s[40:41], s[34:35], s[38:39]
	s_wait_alu 0xfffe
	s_mul_u64 s[10:11], s[28:29], 0xc00
	s_wait_alu 0xfffe
	s_add_nc_u64 s[10:11], s[40:41], s[10:11]
	s_wait_alu 0xfffe
	v_add_co_u32 v1, s9, s10, v0
	s_delay_alu instid0(VALU_DEP_1)
	v_add_co_ci_u32_e64 v2, null, s11, 0, s9
	s_mov_b32 s9, exec_lo
	s_wait_kmcnt 0x0
	s_sub_nc_u64 s[2:3], s[2:3], s[38:39]
	s_wait_alu 0xfffe
	v_cmpx_gt_i64_e64 s[2:3], v[1:2]
	s_cbranch_execz .LBB58_44
; %bb.41:
	v_lshlrev_b64_e32 v[3:4], 2, v[1:2]
	s_add_nc_u64 s[10:11], s[10:11], 0xc00
	s_wait_alu 0xfffe
	v_cmp_lt_i64_e64 s25, s[10:11], s[2:3]
	s_delay_alu instid0(VALU_DEP_2)
	v_add_co_u32 v3, vcc_lo, s14, v3
	s_wait_alu 0xfffd
	v_add_co_ci_u32_e64 v4, null, s15, v4, vcc_lo
	s_and_b32 s25, s25, exec_lo
	s_cselect_b32 s11, s11, s3
	s_cselect_b32 s10, s10, s2
	s_mov_b32 s3, 0
.LBB58_42:                              ; =>This Inner Loop Header: Depth=1
	global_load_b32 v8, v[3:4], off
	v_add_co_u32 v7, vcc_lo, s16, v1
	v_add_co_u32 v3, s2, 0x400, v3
	s_wait_alu 0xf1ff
	v_add_co_ci_u32_e64 v4, null, 0, v4, s2
	s_wait_loadcnt 0x0
	v_subrev_nc_u32_e32 v9, s38, v8
	s_wait_alu 0xfffd
	v_add_co_ci_u32_e64 v8, null, s17, v2, vcc_lo
	s_delay_alu instid0(VALU_DEP_2)
	v_ashrrev_i32_e32 v10, 31, v9
	global_load_i8 v11, v[7:8], off
	v_add_co_u32 v7, vcc_lo, s18, v9
	s_wait_alu 0xfffd
	v_add_co_ci_u32_e64 v8, null, s19, v10, vcc_lo
	v_add_co_u32 v1, vcc_lo, 0x100, v1
	s_wait_alu 0xfffd
	v_add_co_ci_u32_e64 v2, null, 0, v2, vcc_lo
	global_load_i8 v7, v[7:8], off
	s_wait_alu 0xfffe
	v_cmp_le_i64_e32 vcc_lo, s[10:11], v[1:2]
	s_or_b32 s3, vcc_lo, s3
	s_wait_loadcnt 0x1
	v_cvt_f32_i32_e32 v8, v11
	s_delay_alu instid0(VALU_DEP_1) | instskip(SKIP_2) | instid1(VALU_DEP_1)
	v_mul_f32_e32 v8, s36, v8
	s_wait_loadcnt 0x0
	v_cvt_f32_i32_e32 v7, v7
	v_fmac_f32_e32 v6, v8, v7
	s_wait_alu 0xfffe
	s_and_not1_b32 exec_lo, exec_lo, s3
	s_cbranch_execnz .LBB58_42
; %bb.43:
	s_or_b32 exec_lo, exec_lo, s3
.LBB58_44:
	s_delay_alu instid0(SALU_CYCLE_1)
	s_or_b32 exec_lo, exec_lo, s9
	v_lshlrev_b32_e32 v1, 2, v0
	s_mov_b32 s2, exec_lo
	ds_store_b32 v1, v6
	s_wait_storecnt 0x0
	s_wait_loadcnt_dscnt 0x0
	s_barrier_signal -1
	s_barrier_wait -1
	global_inv scope:SCOPE_SE
	v_cmpx_gt_u32_e32 0x80, v0
	s_cbranch_execz .LBB58_46
; %bb.45:
	ds_load_2addr_stride64_b32 v[2:3], v1 offset1:2
	s_wait_dscnt 0x0
	v_add_f32_e32 v2, v2, v3
	ds_store_b32 v1, v2
.LBB58_46:
	s_wait_alu 0xfffe
	s_or_b32 exec_lo, exec_lo, s2
	s_delay_alu instid0(SALU_CYCLE_1)
	s_mov_b32 s2, exec_lo
	s_wait_loadcnt_dscnt 0x0
	s_barrier_signal -1
	s_barrier_wait -1
	global_inv scope:SCOPE_SE
	v_cmpx_gt_u32_e32 64, v0
	s_cbranch_execz .LBB58_48
; %bb.47:
	ds_load_2addr_stride64_b32 v[2:3], v1 offset1:1
	s_wait_dscnt 0x0
	v_add_f32_e32 v2, v2, v3
	ds_store_b32 v1, v2
.LBB58_48:
	s_wait_alu 0xfffe
	s_or_b32 exec_lo, exec_lo, s2
	s_delay_alu instid0(SALU_CYCLE_1)
	s_mov_b32 s2, exec_lo
	s_wait_loadcnt_dscnt 0x0
	s_barrier_signal -1
	s_barrier_wait -1
	global_inv scope:SCOPE_SE
	v_cmpx_gt_u32_e32 32, v0
	s_cbranch_execz .LBB58_50
; %bb.49:
	ds_load_2addr_b32 v[2:3], v1 offset1:32
	s_wait_dscnt 0x0
	v_add_f32_e32 v2, v2, v3
	ds_store_b32 v1, v2
.LBB58_50:
	s_wait_alu 0xfffe
	s_or_b32 exec_lo, exec_lo, s2
	s_delay_alu instid0(SALU_CYCLE_1)
	s_mov_b32 s2, exec_lo
	s_wait_loadcnt_dscnt 0x0
	s_barrier_signal -1
	s_barrier_wait -1
	global_inv scope:SCOPE_SE
	v_cmpx_gt_u32_e32 16, v0
	s_cbranch_execz .LBB58_52
; %bb.51:
	ds_load_2addr_b32 v[2:3], v1 offset1:16
	s_wait_dscnt 0x0
	v_add_f32_e32 v2, v2, v3
	ds_store_b32 v1, v2
.LBB58_52:
	;; [unrolled: 16-line block ×5, first 2 shown]
	s_wait_alu 0xfffe
	s_or_b32 exec_lo, exec_lo, s2
	v_cmp_eq_u32_e32 vcc_lo, 0, v0
	s_wait_loadcnt_dscnt 0x0
	s_barrier_signal -1
	s_barrier_wait -1
	global_inv scope:SCOPE_SE
	s_and_saveexec_b32 s2, vcc_lo
	s_cbranch_execz .LBB58_60
; %bb.59:
	v_mov_b32_e32 v3, 0
	ds_load_b64 v[1:2], v3
	s_wait_dscnt 0x0
	v_add_f32_e32 v1, v1, v2
	ds_store_b32 v3, v1
.LBB58_60:
	s_wait_alu 0xfffe
	s_or_b32 exec_lo, exec_lo, s2
	s_wait_loadcnt_dscnt 0x0
	s_barrier_signal -1
	s_barrier_wait -1
	global_inv scope:SCOPE_SE
	s_and_saveexec_b32 s10, vcc_lo
	s_cbranch_execz .LBB58_69
; %bb.61:
	s_cmp_eq_u32 s28, 0
	s_cbranch_scc1 .LBB58_67
; %bb.62:
	s_ashr_i32 s9, s8, 31
	v_mov_b32_e32 v1, 0
	s_wait_alu 0xfffe
	s_lshl_b64 s[2:3], s[8:9], 2
	s_wait_alu 0xfffe
	s_add_nc_u64 s[2:3], s[6:7], s[2:3]
	s_branch .LBB58_64
.LBB58_63:                              ;   in Loop: Header=BB58_64 Depth=1
	s_wait_alu 0xfffe
	s_or_b32 exec_lo, exec_lo, s6
	s_wait_loadcnt 0x0
	v_readfirstlane_b32 s6, v2
	s_wait_alu 0xf1ff
	s_delay_alu instid0(VALU_DEP_1)
	v_cmp_eq_u32_e32 vcc_lo, s6, v5
	s_cbranch_vccz .LBB58_66
.LBB58_64:                              ; =>This Inner Loop Header: Depth=1
	v_mbcnt_lo_u32_b32 v2, exec_lo, 0
	s_delay_alu instid0(VALU_DEP_1)
	v_cmp_eq_u32_e32 vcc_lo, 0, v2
                                        ; implicit-def: $vgpr2
	s_and_saveexec_b32 s6, vcc_lo
	s_cbranch_execz .LBB58_63
; %bb.65:                               ;   in Loop: Header=BB58_64 Depth=1
	global_load_b32 v2, v1, s[2:3] scope:SCOPE_DEV
	s_branch .LBB58_63
.LBB58_66:
	v_mov_b32_e32 v1, 0
	global_load_u16 v2, v1, s[4:5]
	s_wait_loadcnt 0x0
	v_xor_b32_e32 v2, 1, v2
	global_store_b16 v1, v2, s[4:5]
.LBB58_67:
	s_mov_b32 s2, exec_lo
	s_wait_alu 0xfffe
	v_mbcnt_lo_u32_b32 v1, s2, 0
	s_delay_alu instid0(VALU_DEP_1)
	v_cmp_eq_u32_e32 vcc_lo, 0, v1
	s_and_b32 s3, exec_lo, vcc_lo
	s_wait_alu 0xfffe
	s_mov_b32 exec_lo, s3
	s_cbranch_execz .LBB58_69
; %bb.68:
	s_bcnt1_i32_b32 s2, s2
	s_wait_alu 0xfffe
	v_cvt_f32_ubyte0_e32 v3, s2
	v_mov_b32_e32 v1, 0
	s_lshl_b64 s[2:3], s[20:21], 2
	s_wait_alu 0xfffe
	s_add_nc_u64 s[2:3], s[26:27], s[2:3]
	ds_load_b32 v2, v1
	s_wait_dscnt 0x0
	v_mul_f32_e32 v2, v2, v3
	global_atomic_add_f32 v1, v2, s[2:3] scope:SCOPE_DEV
.LBB58_69:
	s_wait_alu 0xfffe
	s_or_b32 exec_lo, exec_lo, s10
.LBB58_70:
	s_mov_b32 s2, 0
.LBB58_71:
	s_wait_alu 0xfffe
	s_and_not1_b32 vcc_lo, exec_lo, s2
	s_wait_alu 0xfffe
	s_cbranch_vccnz .LBB58_115
; %bb.72:
	s_load_b64 s[0:1], s[0:1], 0x8
	v_sub_co_u32 v1, s2, v0, s38
	s_wait_alu 0xf1ff
	v_sub_co_ci_u32_e64 v2, null, 0, 0, s2
	s_mov_b32 s39, 0
	s_wait_kmcnt 0x0
	v_add_co_u32 v1, vcc_lo, s34, v1
	s_wait_alu 0xfffd
	v_add_co_ci_u32_e64 v2, null, s35, v2, vcc_lo
	s_delay_alu instid0(VALU_DEP_2) | instskip(SKIP_1) | instid1(VALU_DEP_2)
	v_add_co_u32 v3, vcc_lo, 0x300, v1
	s_wait_alu 0xfffd
	v_add_co_ci_u32_e64 v4, null, 0, v2, vcc_lo
	s_delay_alu instid0(VALU_DEP_1)
	v_cmp_le_i64_e32 vcc_lo, s[0:1], v[3:4]
	s_and_saveexec_b32 s0, vcc_lo
	s_wait_alu 0xfffe
	s_xor_b32 s1, exec_lo, s0
	s_cbranch_execz .LBB58_77
; %bb.73:
	s_lshl_b64 s[2:3], s[22:23], 3
	s_mov_b32 s4, exec_lo
	s_wait_alu 0xfffe
	s_add_nc_u64 s[2:3], s[12:13], s[2:3]
	s_load_b64 s[2:3], s[2:3], 0x0
	s_wait_kmcnt 0x0
	s_sub_nc_u64 s[2:3], s[2:3], s[38:39]
	s_wait_alu 0xfffe
	v_cmpx_gt_i64_e64 s[2:3], v[1:2]
	s_cbranch_execz .LBB58_76
; %bb.74:
	v_lshlrev_b64_e32 v[3:4], 2, v[1:2]
	v_lshlrev_b32_e32 v5, 2, v0
	s_mov_b32 s5, 0
	s_delay_alu instid0(VALU_DEP_2) | instskip(SKIP_1) | instid1(VALU_DEP_3)
	v_add_co_u32 v3, vcc_lo, s14, v3
	s_wait_alu 0xfffd
	v_add_co_ci_u32_e64 v4, null, s15, v4, vcc_lo
.LBB58_75:                              ; =>This Inner Loop Header: Depth=1
	global_load_b32 v7, v[3:4], off
	v_add_co_u32 v6, vcc_lo, s16, v1
	s_wait_loadcnt 0x0
	v_subrev_nc_u32_e32 v8, s38, v7
	s_wait_alu 0xfffd
	v_add_co_ci_u32_e64 v7, null, s17, v2, vcc_lo
	global_load_i8 v9, v[6:7], off
	v_ashrrev_i32_e32 v7, 31, v8
	v_add_co_u32 v6, vcc_lo, s18, v8
	s_wait_alu 0xfffd
	s_delay_alu instid0(VALU_DEP_2)
	v_add_co_ci_u32_e64 v7, null, s19, v7, vcc_lo
	v_add_co_u32 v1, vcc_lo, 0x100, v1
	s_wait_alu 0xfffd
	v_add_co_ci_u32_e64 v2, null, 0, v2, vcc_lo
	global_load_i8 v6, v[6:7], off
	v_add_co_u32 v3, vcc_lo, 0x400, v3
	v_cmp_le_i64_e64 s0, s[2:3], v[1:2]
	s_wait_alu 0xfffd
	v_add_co_ci_u32_e64 v4, null, 0, v4, vcc_lo
	s_or_b32 s5, s0, s5
	s_wait_loadcnt 0x1
	v_cvt_f32_i32_e32 v7, v9
	s_delay_alu instid0(VALU_DEP_1) | instskip(SKIP_2) | instid1(VALU_DEP_1)
	v_mul_f32_e32 v7, s36, v7
	s_wait_loadcnt 0x0
	v_cvt_f32_i32_e32 v6, v6
	v_mul_f32_e32 v6, v7, v6
	ds_store_b32 v5, v6
	v_add_nc_u32_e32 v5, 0x400, v5
	s_and_not1_b32 exec_lo, exec_lo, s5
	s_cbranch_execnz .LBB58_75
.LBB58_76:
	s_or_b32 exec_lo, exec_lo, s4
                                        ; implicit-def: $vgpr1
.LBB58_77:
	s_wait_alu 0xfffe
	s_or_saveexec_b32 s0, s1
	v_lshlrev_b32_e32 v7, 2, v0
	s_wait_alu 0xfffe
	s_xor_b32 exec_lo, exec_lo, s0
	s_cbranch_execz .LBB58_79
; %bb.78:
	v_lshlrev_b64_e32 v[3:4], 2, v[1:2]
	s_delay_alu instid0(VALU_DEP_1) | instskip(SKIP_1) | instid1(VALU_DEP_2)
	v_add_co_u32 v3, vcc_lo, s14, v3
	s_wait_alu 0xfffd
	v_add_co_ci_u32_e64 v4, null, s15, v4, vcc_lo
	v_add_co_u32 v1, vcc_lo, s16, v1
	s_wait_alu 0xfffd
	v_add_co_ci_u32_e64 v2, null, s17, v2, vcc_lo
	s_clause 0x3
	global_load_b32 v5, v[3:4], off
	global_load_b32 v6, v[3:4], off offset:1024
	global_load_b32 v8, v[3:4], off offset:2048
	;; [unrolled: 1-line block ×3, first 2 shown]
	s_clause 0x3
	global_load_i8 v10, v[1:2], off
	global_load_i8 v11, v[1:2], off offset:256
	global_load_i8 v12, v[1:2], off offset:512
	;; [unrolled: 1-line block ×3, first 2 shown]
	s_wait_loadcnt 0x7
	v_subrev_nc_u32_e32 v4, s38, v5
	s_wait_loadcnt 0x6
	v_subrev_nc_u32_e32 v5, s38, v6
	;; [unrolled: 2-line block ×4, first 2 shown]
	v_ashrrev_i32_e32 v2, 31, v4
	v_ashrrev_i32_e32 v9, 31, v5
	v_add_co_u32 v1, vcc_lo, s18, v4
	v_ashrrev_i32_e32 v14, 31, v6
	s_wait_alu 0xfffd
	v_add_co_ci_u32_e64 v2, null, s19, v2, vcc_lo
	v_add_co_u32 v3, vcc_lo, s18, v5
	v_ashrrev_i32_e32 v15, 31, v8
	s_wait_alu 0xfffd
	v_add_co_ci_u32_e64 v4, null, s19, v9, vcc_lo
	v_add_co_u32 v5, vcc_lo, s18, v6
	s_wait_alu 0xfffd
	v_add_co_ci_u32_e64 v6, null, s19, v14, vcc_lo
	v_add_co_u32 v8, vcc_lo, s18, v8
	s_wait_alu 0xfffd
	v_add_co_ci_u32_e64 v9, null, s19, v15, vcc_lo
	s_clause 0x3
	global_load_i8 v1, v[1:2], off
	global_load_i8 v2, v[3:4], off
	global_load_i8 v3, v[5:6], off
	global_load_i8 v4, v[8:9], off
	s_wait_loadcnt 0x7
	v_cvt_f32_i32_e32 v5, v10
	s_wait_loadcnt 0x6
	v_cvt_f32_i32_e32 v6, v11
	;; [unrolled: 2-line block ×4, first 2 shown]
	v_dual_mul_f32 v5, s36, v5 :: v_dual_mul_f32 v6, s36, v6
	s_delay_alu instid0(VALU_DEP_2)
	v_dual_mul_f32 v8, s36, v8 :: v_dual_mul_f32 v9, s36, v9
	s_wait_loadcnt 0x3
	v_cvt_f32_i32_e32 v1, v1
	s_wait_loadcnt 0x2
	v_cvt_f32_i32_e32 v2, v2
	s_wait_loadcnt 0x1
	v_cvt_f32_i32_e32 v3, v3
	s_wait_loadcnt 0x0
	v_cvt_f32_i32_e32 v4, v4
	v_dual_mul_f32 v1, v5, v1 :: v_dual_mul_f32 v2, v6, v2
	s_delay_alu instid0(VALU_DEP_2)
	v_dual_mul_f32 v3, v8, v3 :: v_dual_mul_f32 v4, v9, v4
	ds_store_2addr_stride64_b32 v7, v1, v2 offset1:4
	ds_store_2addr_stride64_b32 v7, v3, v4 offset0:8 offset1:12
.LBB58_79:
	s_or_b32 exec_lo, exec_lo, s0
	s_cmp_lt_i32 s28, 2
	s_mov_b32 s0, -1
	s_wait_storecnt 0x0
	s_wait_loadcnt_dscnt 0x0
	s_barrier_signal -1
	s_barrier_wait -1
	global_inv scope:SCOPE_SE
	s_cbranch_scc0 .LBB58_90
; %bb.80:
	v_add_co_u32 v5, s0, s20, v0
	s_wait_alu 0xf1fe
	v_add_co_ci_u32_e64 v6, null, s21, 0, s0
	s_mov_b32 s1, exec_lo
	v_cmpx_gt_i64_e64 s[22:23], v[5:6]
	s_cbranch_execz .LBB58_89
; %bb.81:
	s_cmp_neq_f32 s24, 0
	s_mov_b32 s3, 0
	s_cselect_b32 s2, -1, 0
	s_lshl_b32 s0, s34, 2
	s_wait_alu 0xfffe
	s_sub_co_i32 s4, 0, s0
	s_branch .LBB58_83
.LBB58_82:                              ;   in Loop: Header=BB58_83 Depth=1
	v_add_co_u32 v5, vcc_lo, 0x100, v5
	s_wait_alu 0xfffd
	v_add_co_ci_u32_e64 v6, null, 0, v6, vcc_lo
	v_add_co_u32 v1, s0, s26, v1
	s_wait_alu 0xf1ff
	v_add_co_ci_u32_e64 v2, null, s27, v2, s0
	s_delay_alu instid0(VALU_DEP_3)
	v_cmp_le_i64_e32 vcc_lo, s[22:23], v[5:6]
	global_store_b32 v[1:2], v3, off
	s_or_b32 s3, vcc_lo, s3
	s_wait_alu 0xfffe
	s_and_not1_b32 exec_lo, exec_lo, s3
	s_cbranch_execz .LBB58_89
.LBB58_83:                              ; =>This Loop Header: Depth=1
                                        ;     Child Loop BB58_85 Depth 2
	v_lshlrev_b64_e32 v[1:2], 3, v[5:6]
	s_mov_b32 s0, exec_lo
	s_delay_alu instid0(VALU_DEP_1) | instskip(SKIP_1) | instid1(VALU_DEP_2)
	v_add_co_u32 v1, vcc_lo, s12, v1
	s_wait_alu 0xfffd
	v_add_co_ci_u32_e64 v2, null, s13, v2, vcc_lo
	global_load_b128 v[1:4], v[1:2], off
	s_wait_loadcnt 0x0
	v_subrev_nc_u32_e32 v2, s34, v1
	v_subrev_nc_u32_e32 v4, s34, v3
	v_mov_b32_e32 v3, 0
	s_delay_alu instid0(VALU_DEP_2)
	v_cmpx_lt_i32_e64 v2, v4
	s_cbranch_execz .LBB58_87
; %bb.84:                               ;   in Loop: Header=BB58_83 Depth=1
	v_lshl_add_u32 v1, v1, 2, s4
	v_mov_b32_e32 v3, 0
	s_mov_b32 s5, 0
.LBB58_85:                              ;   Parent Loop BB58_83 Depth=1
                                        ; =>  This Inner Loop Header: Depth=2
	ds_load_b32 v8, v1
	v_add_nc_u32_e32 v2, 1, v2
	v_add_nc_u32_e32 v1, 4, v1
	s_wait_dscnt 0x0
	v_add_f32_e32 v3, v3, v8
	s_delay_alu instid0(VALU_DEP_3)
	v_cmp_ge_i32_e32 vcc_lo, v2, v4
	s_wait_alu 0xfffe
	s_or_b32 s5, vcc_lo, s5
	s_wait_alu 0xfffe
	s_and_not1_b32 exec_lo, exec_lo, s5
	s_cbranch_execnz .LBB58_85
; %bb.86:                               ;   in Loop: Header=BB58_83 Depth=1
	s_or_b32 exec_lo, exec_lo, s5
.LBB58_87:                              ;   in Loop: Header=BB58_83 Depth=1
	s_wait_alu 0xfffe
	s_or_b32 exec_lo, exec_lo, s0
	v_lshlrev_b64_e32 v[1:2], 2, v[5:6]
	s_and_b32 vcc_lo, exec_lo, s2
	s_wait_alu 0xfffe
	s_cbranch_vccz .LBB58_82
; %bb.88:                               ;   in Loop: Header=BB58_83 Depth=1
	s_delay_alu instid0(VALU_DEP_1)
	v_add_co_u32 v8, vcc_lo, s26, v1
	s_wait_alu 0xfffd
	v_add_co_ci_u32_e64 v9, null, s27, v2, vcc_lo
	global_load_b32 v4, v[8:9], off
	s_wait_loadcnt 0x0
	v_fmac_f32_e32 v3, s24, v4
	s_branch .LBB58_82
.LBB58_89:
	s_wait_alu 0xfffe
	s_or_b32 exec_lo, exec_lo, s1
	s_mov_b32 s0, 0
.LBB58_90:
	s_wait_alu 0xfffe
	s_and_not1_b32 vcc_lo, exec_lo, s0
	s_wait_alu 0xfffe
	s_cbranch_vccnz .LBB58_115
; %bb.91:
	s_clz_i32_u32 s0, s28
	s_add_co_i32 s1, s28, -1
	s_wait_alu 0xfffe
	s_xor_b32 s0, s0, 31
	v_mov_b32_e32 v3, 0
	s_wait_alu 0xfffe
	v_lshrrev_b32_e32 v4, s0, v0
	v_and_b32_e32 v0, s1, v0
	s_mov_b32 s1, exec_lo
	s_delay_alu instid0(VALU_DEP_2) | instskip(SKIP_2) | instid1(VALU_DEP_1)
	v_add_co_u32 v1, s0, s20, v4
	s_wait_alu 0xf1ff
	v_add_co_ci_u32_e64 v2, null, s21, 0, s0
	v_cmp_le_i64_e32 vcc_lo, s[22:23], v[1:2]
	v_cmpx_gt_i64_e64 s[22:23], v[1:2]
	s_cbranch_execz .LBB58_97
; %bb.92:
	v_lshlrev_b32_e32 v3, 3, v4
	s_mov_b32 s2, exec_lo
	s_clause 0x1
	global_load_b32 v4, v3, s[30:31]
	global_load_b32 v3, v3, s[30:31] offset:8
	s_wait_loadcnt 0x1
	v_subrev_nc_u32_e32 v5, s34, v4
	s_wait_loadcnt 0x0
	v_subrev_nc_u32_e32 v4, s34, v3
	v_mov_b32_e32 v3, 0
	s_delay_alu instid0(VALU_DEP_3) | instskip(NEXT) | instid1(VALU_DEP_1)
	v_add_nc_u32_e32 v5, v0, v5
	v_cmpx_lt_i32_e64 v5, v4
	s_cbranch_execz .LBB58_96
; %bb.93:
	v_dual_mov_b32 v3, 0 :: v_dual_lshlrev_b32 v6, 2, v5
	s_lshl_b32 s4, s28, 2
	s_mov_b32 s3, 0
.LBB58_94:                              ; =>This Inner Loop Header: Depth=1
	ds_load_b32 v8, v6
	v_add_nc_u32_e32 v5, s28, v5
	s_wait_alu 0xfffe
	v_add_nc_u32_e32 v6, s4, v6
	s_delay_alu instid0(VALU_DEP_2)
	v_cmp_ge_i32_e64 s0, v5, v4
	s_or_b32 s3, s0, s3
	s_wait_dscnt 0x0
	v_add_f32_e32 v3, v3, v8
	s_wait_alu 0xfffe
	s_and_not1_b32 exec_lo, exec_lo, s3
	s_cbranch_execnz .LBB58_94
; %bb.95:
	s_or_b32 exec_lo, exec_lo, s3
.LBB58_96:
	s_wait_alu 0xfffe
	s_or_b32 exec_lo, exec_lo, s2
.LBB58_97:
	s_wait_alu 0xfffe
	s_or_b32 exec_lo, exec_lo, s1
	s_cmp_lt_u32 s28, 0x81
	s_wait_loadcnt 0x0
	s_wait_storecnt 0x0
	s_barrier_signal -1
	s_barrier_wait -1
	global_inv scope:SCOPE_SE
	ds_store_b32 v7, v3
	s_wait_loadcnt_dscnt 0x0
	s_barrier_signal -1
	s_barrier_wait -1
	global_inv scope:SCOPE_SE
	s_cbranch_scc1 .LBB58_99
; %bb.98:
	ds_load_b32 v4, v7 offset:512
	s_wait_loadcnt_dscnt 0x0
	s_barrier_signal -1
	s_barrier_wait -1
	global_inv scope:SCOPE_SE
	v_add_f32_e32 v3, v3, v4
	ds_store_b32 v7, v3
.LBB58_99:
	s_cmp_lt_u32 s28, 0x41
	s_wait_loadcnt_dscnt 0x0
	s_barrier_signal -1
	s_barrier_wait -1
	global_inv scope:SCOPE_SE
	s_cbranch_scc1 .LBB58_101
; %bb.100:
	ds_load_b32 v4, v7 offset:256
	s_wait_loadcnt_dscnt 0x0
	s_barrier_signal -1
	s_barrier_wait -1
	global_inv scope:SCOPE_SE
	v_add_f32_e32 v3, v3, v4
	ds_store_b32 v7, v3
.LBB58_101:
	s_cmp_lt_u32 s28, 33
	;; [unrolled: 15-line block ×5, first 2 shown]
	s_wait_loadcnt_dscnt 0x0
	s_barrier_signal -1
	s_barrier_wait -1
	global_inv scope:SCOPE_SE
	s_cbranch_scc1 .LBB58_109
; %bb.108:
	ds_load_b32 v4, v7 offset:16
	s_wait_loadcnt_dscnt 0x0
	s_barrier_signal -1
	s_barrier_wait -1
	global_inv scope:SCOPE_SE
	v_add_f32_e32 v3, v3, v4
	ds_store_b32 v7, v3
.LBB58_109:
	s_cmp_eq_u32 s28, 2
	s_wait_loadcnt_dscnt 0x0
	s_barrier_signal -1
	s_barrier_wait -1
	global_inv scope:SCOPE_SE
	s_cbranch_scc1 .LBB58_111
; %bb.110:
	ds_load_b32 v4, v7 offset:8
	s_wait_loadcnt_dscnt 0x0
	s_barrier_signal -1
	s_barrier_wait -1
	global_inv scope:SCOPE_SE
	v_add_f32_e32 v3, v3, v4
	ds_store_b32 v7, v3
.LBB58_111:
	s_wait_loadcnt_dscnt 0x0
	s_barrier_signal -1
	s_barrier_wait -1
	global_inv scope:SCOPE_SE
	ds_load_b32 v4, v7 offset:4
	v_cmp_eq_u32_e64 s0, 0, v0
	s_xor_b32 s1, vcc_lo, -1
	s_wait_loadcnt_dscnt 0x0
	s_barrier_signal -1
	s_barrier_wait -1
	s_wait_alu 0xfffe
	s_and_b32 s0, s0, s1
	global_inv scope:SCOPE_SE
	v_add_f32_e32 v3, v3, v4
	ds_store_b32 v7, v3
	s_wait_alu 0xfffe
	s_and_saveexec_b32 s1, s0
	s_cbranch_execz .LBB58_115
; %bb.112:
	v_lshlrev_b64_e32 v[0:1], 2, v[1:2]
	s_cmp_eq_f32 s24, 0
	s_cbranch_scc1 .LBB58_114
; %bb.113:
	s_delay_alu instid0(VALU_DEP_1) | instskip(SKIP_1) | instid1(VALU_DEP_2)
	v_add_co_u32 v4, vcc_lo, s26, v0
	s_wait_alu 0xfffd
	v_add_co_ci_u32_e64 v5, null, s27, v1, vcc_lo
	global_load_b32 v2, v[4:5], off
	s_wait_loadcnt 0x0
	v_fmac_f32_e32 v3, s24, v2
.LBB58_114:
	s_delay_alu instid0(VALU_DEP_1) | instskip(SKIP_1) | instid1(VALU_DEP_2)
	v_add_co_u32 v0, vcc_lo, s26, v0
	s_wait_alu 0xfffd
	v_add_co_ci_u32_e64 v1, null, s27, v1, vcc_lo
	global_store_b32 v[0:1], v3, off
.LBB58_115:
	s_endpgm
	.section	.rodata,"a",@progbits
	.p2align	6, 0x0
	.amdhsa_kernel _ZN9rocsparseL22csrmvn_adaptive_kernelIliaaffEEvbT_PKS1_PjPKT0_NS_24const_host_device_scalarIT4_EES3_S7_PKT1_PKT2_SA_PT3_21rocsparse_index_base_b
		.amdhsa_group_segment_fixed_size 4096
		.amdhsa_private_segment_fixed_size 0
		.amdhsa_kernarg_size 104
		.amdhsa_user_sgpr_count 2
		.amdhsa_user_sgpr_dispatch_ptr 0
		.amdhsa_user_sgpr_queue_ptr 0
		.amdhsa_user_sgpr_kernarg_segment_ptr 1
		.amdhsa_user_sgpr_dispatch_id 0
		.amdhsa_user_sgpr_private_segment_size 0
		.amdhsa_wavefront_size32 1
		.amdhsa_uses_dynamic_stack 0
		.amdhsa_enable_private_segment 0
		.amdhsa_system_sgpr_workgroup_id_x 1
		.amdhsa_system_sgpr_workgroup_id_y 0
		.amdhsa_system_sgpr_workgroup_id_z 0
		.amdhsa_system_sgpr_workgroup_info 0
		.amdhsa_system_vgpr_workitem_id 0
		.amdhsa_next_free_vgpr 16
		.amdhsa_next_free_sgpr 52
		.amdhsa_reserve_vcc 1
		.amdhsa_float_round_mode_32 0
		.amdhsa_float_round_mode_16_64 0
		.amdhsa_float_denorm_mode_32 3
		.amdhsa_float_denorm_mode_16_64 3
		.amdhsa_fp16_overflow 0
		.amdhsa_workgroup_processor_mode 1
		.amdhsa_memory_ordered 1
		.amdhsa_forward_progress 1
		.amdhsa_inst_pref_size 41
		.amdhsa_round_robin_scheduling 0
		.amdhsa_exception_fp_ieee_invalid_op 0
		.amdhsa_exception_fp_denorm_src 0
		.amdhsa_exception_fp_ieee_div_zero 0
		.amdhsa_exception_fp_ieee_overflow 0
		.amdhsa_exception_fp_ieee_underflow 0
		.amdhsa_exception_fp_ieee_inexact 0
		.amdhsa_exception_int_div_zero 0
	.end_amdhsa_kernel
	.section	.text._ZN9rocsparseL22csrmvn_adaptive_kernelIliaaffEEvbT_PKS1_PjPKT0_NS_24const_host_device_scalarIT4_EES3_S7_PKT1_PKT2_SA_PT3_21rocsparse_index_base_b,"axG",@progbits,_ZN9rocsparseL22csrmvn_adaptive_kernelIliaaffEEvbT_PKS1_PjPKT0_NS_24const_host_device_scalarIT4_EES3_S7_PKT1_PKT2_SA_PT3_21rocsparse_index_base_b,comdat
.Lfunc_end58:
	.size	_ZN9rocsparseL22csrmvn_adaptive_kernelIliaaffEEvbT_PKS1_PjPKT0_NS_24const_host_device_scalarIT4_EES3_S7_PKT1_PKT2_SA_PT3_21rocsparse_index_base_b, .Lfunc_end58-_ZN9rocsparseL22csrmvn_adaptive_kernelIliaaffEEvbT_PKS1_PjPKT0_NS_24const_host_device_scalarIT4_EES3_S7_PKT1_PKT2_SA_PT3_21rocsparse_index_base_b
                                        ; -- End function
	.set _ZN9rocsparseL22csrmvn_adaptive_kernelIliaaffEEvbT_PKS1_PjPKT0_NS_24const_host_device_scalarIT4_EES3_S7_PKT1_PKT2_SA_PT3_21rocsparse_index_base_b.num_vgpr, 16
	.set _ZN9rocsparseL22csrmvn_adaptive_kernelIliaaffEEvbT_PKS1_PjPKT0_NS_24const_host_device_scalarIT4_EES3_S7_PKT1_PKT2_SA_PT3_21rocsparse_index_base_b.num_agpr, 0
	.set _ZN9rocsparseL22csrmvn_adaptive_kernelIliaaffEEvbT_PKS1_PjPKT0_NS_24const_host_device_scalarIT4_EES3_S7_PKT1_PKT2_SA_PT3_21rocsparse_index_base_b.numbered_sgpr, 52
	.set _ZN9rocsparseL22csrmvn_adaptive_kernelIliaaffEEvbT_PKS1_PjPKT0_NS_24const_host_device_scalarIT4_EES3_S7_PKT1_PKT2_SA_PT3_21rocsparse_index_base_b.num_named_barrier, 0
	.set _ZN9rocsparseL22csrmvn_adaptive_kernelIliaaffEEvbT_PKS1_PjPKT0_NS_24const_host_device_scalarIT4_EES3_S7_PKT1_PKT2_SA_PT3_21rocsparse_index_base_b.private_seg_size, 0
	.set _ZN9rocsparseL22csrmvn_adaptive_kernelIliaaffEEvbT_PKS1_PjPKT0_NS_24const_host_device_scalarIT4_EES3_S7_PKT1_PKT2_SA_PT3_21rocsparse_index_base_b.uses_vcc, 1
	.set _ZN9rocsparseL22csrmvn_adaptive_kernelIliaaffEEvbT_PKS1_PjPKT0_NS_24const_host_device_scalarIT4_EES3_S7_PKT1_PKT2_SA_PT3_21rocsparse_index_base_b.uses_flat_scratch, 0
	.set _ZN9rocsparseL22csrmvn_adaptive_kernelIliaaffEEvbT_PKS1_PjPKT0_NS_24const_host_device_scalarIT4_EES3_S7_PKT1_PKT2_SA_PT3_21rocsparse_index_base_b.has_dyn_sized_stack, 0
	.set _ZN9rocsparseL22csrmvn_adaptive_kernelIliaaffEEvbT_PKS1_PjPKT0_NS_24const_host_device_scalarIT4_EES3_S7_PKT1_PKT2_SA_PT3_21rocsparse_index_base_b.has_recursion, 0
	.set _ZN9rocsparseL22csrmvn_adaptive_kernelIliaaffEEvbT_PKS1_PjPKT0_NS_24const_host_device_scalarIT4_EES3_S7_PKT1_PKT2_SA_PT3_21rocsparse_index_base_b.has_indirect_call, 0
	.section	.AMDGPU.csdata,"",@progbits
; Kernel info:
; codeLenInByte = 5180
; TotalNumSgprs: 54
; NumVgprs: 16
; ScratchSize: 0
; MemoryBound: 0
; FloatMode: 240
; IeeeMode: 1
; LDSByteSize: 4096 bytes/workgroup (compile time only)
; SGPRBlocks: 0
; VGPRBlocks: 1
; NumSGPRsForWavesPerEU: 54
; NumVGPRsForWavesPerEU: 16
; Occupancy: 16
; WaveLimiterHint : 1
; COMPUTE_PGM_RSRC2:SCRATCH_EN: 0
; COMPUTE_PGM_RSRC2:USER_SGPR: 2
; COMPUTE_PGM_RSRC2:TRAP_HANDLER: 0
; COMPUTE_PGM_RSRC2:TGID_X_EN: 1
; COMPUTE_PGM_RSRC2:TGID_Y_EN: 0
; COMPUTE_PGM_RSRC2:TGID_Z_EN: 0
; COMPUTE_PGM_RSRC2:TIDIG_COMP_CNT: 0
	.section	.text._ZN9rocsparseL27csrmvn_symm_adaptive_kernelIliaaffEEvbT_S1_PKS1_NS_24const_host_device_scalarIT4_EES3_PKT0_PKT1_PKT2_S6_PT3_21rocsparse_index_base_b,"axG",@progbits,_ZN9rocsparseL27csrmvn_symm_adaptive_kernelIliaaffEEvbT_S1_PKS1_NS_24const_host_device_scalarIT4_EES3_PKT0_PKT1_PKT2_S6_PT3_21rocsparse_index_base_b,comdat
	.globl	_ZN9rocsparseL27csrmvn_symm_adaptive_kernelIliaaffEEvbT_S1_PKS1_NS_24const_host_device_scalarIT4_EES3_PKT0_PKT1_PKT2_S6_PT3_21rocsparse_index_base_b ; -- Begin function _ZN9rocsparseL27csrmvn_symm_adaptive_kernelIliaaffEEvbT_S1_PKS1_NS_24const_host_device_scalarIT4_EES3_PKT0_PKT1_PKT2_S6_PT3_21rocsparse_index_base_b
	.p2align	8
	.type	_ZN9rocsparseL27csrmvn_symm_adaptive_kernelIliaaffEEvbT_S1_PKS1_NS_24const_host_device_scalarIT4_EES3_PKT0_PKT1_PKT2_S6_PT3_21rocsparse_index_base_b,@function
_ZN9rocsparseL27csrmvn_symm_adaptive_kernelIliaaffEEvbT_S1_PKS1_NS_24const_host_device_scalarIT4_EES3_PKT0_PKT1_PKT2_S6_PT3_21rocsparse_index_base_b: ; @_ZN9rocsparseL27csrmvn_symm_adaptive_kernelIliaaffEEvbT_S1_PKS1_NS_24const_host_device_scalarIT4_EES3_PKT0_PKT1_PKT2_S6_PT3_21rocsparse_index_base_b
; %bb.0:
	s_clause 0x2
	s_load_b64 s[24:25], s[0:1], 0x58
	s_load_b64 s[30:31], s[0:1], 0x20
	;; [unrolled: 1-line block ×3, first 2 shown]
	s_wait_kmcnt 0x0
	s_bitcmp1_b32 s25, 0
	s_cselect_b32 s4, -1, 0
	s_delay_alu instid0(SALU_CYCLE_1)
	s_and_b32 vcc_lo, exec_lo, s4
	s_xor_b32 s4, s4, -1
	s_cbranch_vccnz .LBB59_2
; %bb.1:
	s_load_b32 s30, s[30:31], 0x0
.LBB59_2:
	s_and_not1_b32 vcc_lo, exec_lo, s4
	s_cbranch_vccnz .LBB59_4
; %bb.3:
	s_load_b32 s2, s[2:3], 0x0
.LBB59_4:
	s_wait_kmcnt 0x0
	s_cmp_neq_f32 s30, 0
	s_cselect_b32 s3, -1, 0
	s_cmp_neq_f32 s2, 1.0
	s_cselect_b32 s2, -1, 0
	s_delay_alu instid0(SALU_CYCLE_1) | instskip(NEXT) | instid1(SALU_CYCLE_1)
	s_or_b32 s2, s3, s2
	s_and_not1_b32 vcc_lo, exec_lo, s2
	s_cbranch_vccnz .LBB59_137
; %bb.5:
	s_load_b64 s[4:5], s[0:1], 0x18
	s_mov_b32 s2, ttmp9
	s_ashr_i32 s3, ttmp9, 31
	v_dual_mov_b32 v1, 0 :: v_dual_lshlrev_b32 v16, 2, v0
	s_lshl_b64 s[2:3], s[2:3], 3
	ds_store_2addr_stride64_b32 v16, v1, v1 offset1:4
	ds_store_2addr_stride64_b32 v16, v1, v1 offset0:8 offset1:12
	s_wait_dscnt 0x0
	s_barrier_signal -1
	s_barrier_wait -1
	global_inv scope:SCOPE_SE
	s_wait_kmcnt 0x0
	s_add_nc_u64 s[2:3], s[4:5], s[2:3]
	s_load_b128 s[16:19], s[2:3], 0x0
	s_clause 0x1
	s_load_b256 s[8:15], s[0:1], 0x28
	s_load_b64 s[20:21], s[0:1], 0x50
	s_wait_kmcnt 0x0
	s_sub_nc_u64 s[22:23], s[18:19], s[16:17]
	s_delay_alu instid0(SALU_CYCLE_1)
	v_cmp_gt_i64_e64 s2, s[22:23], 2
	s_and_b32 vcc_lo, exec_lo, s2
	s_mov_b32 s2, -1
	s_cbranch_vccnz .LBB59_36
; %bb.6:
	v_cmp_le_i64_e64 s2, s[18:19], s[16:17]
	v_sub_co_u32 v5, s3, v0, s24
	s_delay_alu instid0(VALU_DEP_1)
	v_sub_co_ci_u32_e64 v6, null, 0, 0, s3
	s_mov_b32 s25, 0
	s_and_b32 vcc_lo, exec_lo, s2
	s_cbranch_vccnz .LBB59_26
; %bb.7:
	v_cmp_gt_u32_e64 s2, 0x100, v0
	v_cmp_gt_u32_e64 s3, 64, v0
	;; [unrolled: 1-line block ×4, first 2 shown]
	v_cmp_eq_u32_e64 s6, 0, v0
	v_mov_b32_e32 v7, 0
	s_mov_b64 s[26:27], s[16:17]
	s_branch .LBB59_9
.LBB59_8:                               ;   in Loop: Header=BB59_9 Depth=1
	s_wait_alu 0xfffe
	s_or_b32 exec_lo, exec_lo, s7
	s_add_nc_u64 s[26:27], s[26:27], 1
	s_wait_alu 0xfffe
	v_cmp_ge_i64_e64 s7, s[26:27], s[18:19]
	s_and_b32 vcc_lo, exec_lo, s7
	s_wait_alu 0xfffe
	s_cbranch_vccnz .LBB59_26
.LBB59_9:                               ; =>This Loop Header: Depth=1
                                        ;     Child Loop BB59_11 Depth 2
	s_lshl_b64 s[28:29], s[26:27], 3
	v_mov_b32_e32 v8, 0
	s_wait_alu 0xfffe
	s_add_nc_u64 s[28:29], s[8:9], s[28:29]
	s_mov_b32 s31, exec_lo
	s_load_b128 s[36:39], s[28:29], 0x0
	s_wait_kmcnt 0x0
	v_add_co_u32 v1, vcc_lo, s36, v5
	s_wait_alu 0xfffd
	v_add_co_ci_u32_e64 v2, null, s37, v6, vcc_lo
	s_sub_nc_u64 s[28:29], s[38:39], s[24:25]
	s_wait_alu 0xfffe
	v_cmpx_gt_i64_e64 s[28:29], v[1:2]
	s_cbranch_execz .LBB59_13
; %bb.10:                               ;   in Loop: Header=BB59_9 Depth=1
	v_lshlrev_b64_e32 v[3:4], 2, v[1:2]
	v_mov_b32_e32 v8, 0
	s_mov_b32 s33, 0
	s_delay_alu instid0(VALU_DEP_2) | instskip(SKIP_1) | instid1(VALU_DEP_3)
	v_add_co_u32 v3, vcc_lo, s10, v3
	s_wait_alu 0xfffd
	v_add_co_ci_u32_e64 v4, null, s11, v4, vcc_lo
.LBB59_11:                              ;   Parent Loop BB59_9 Depth=1
                                        ; =>  This Inner Loop Header: Depth=2
	global_load_b32 v9, v[3:4], off
	v_add_co_u32 v3, s7, 0x400, v3
	s_wait_alu 0xf1ff
	v_add_co_ci_u32_e64 v4, null, 0, v4, s7
	s_wait_loadcnt 0x0
	v_subrev_nc_u32_e32 v11, s24, v9
	v_add_co_u32 v9, vcc_lo, s12, v1
	s_wait_alu 0xfffd
	v_add_co_ci_u32_e64 v10, null, s13, v2, vcc_lo
	s_delay_alu instid0(VALU_DEP_3) | instskip(SKIP_2) | instid1(VALU_DEP_2)
	v_ashrrev_i32_e32 v12, 31, v11
	v_add_co_u32 v11, vcc_lo, s14, v11
	s_wait_alu 0xfffd
	v_add_co_ci_u32_e64 v12, null, s15, v12, vcc_lo
	v_add_co_u32 v1, vcc_lo, 0x100, v1
	global_load_i8 v9, v[9:10], off
	global_load_i8 v10, v[11:12], off
	s_wait_alu 0xfffd
	v_add_co_ci_u32_e64 v2, null, 0, v2, vcc_lo
	s_delay_alu instid0(VALU_DEP_1)
	v_cmp_le_i64_e32 vcc_lo, s[28:29], v[1:2]
	s_or_b32 s33, vcc_lo, s33
	s_wait_loadcnt 0x1
	v_cvt_f32_i32_e32 v9, v9
	s_wait_loadcnt 0x0
	v_cvt_f32_i32_e32 v10, v10
	s_delay_alu instid0(VALU_DEP_1)
	v_fmac_f32_e32 v8, v9, v10
	s_and_not1_b32 exec_lo, exec_lo, s33
	s_cbranch_execnz .LBB59_11
; %bb.12:                               ;   in Loop: Header=BB59_9 Depth=1
	s_or_b32 exec_lo, exec_lo, s33
.LBB59_13:                              ;   in Loop: Header=BB59_9 Depth=1
	s_delay_alu instid0(SALU_CYCLE_1)
	s_or_b32 exec_lo, exec_lo, s31
	ds_store_b32 v16, v8
	s_wait_loadcnt_dscnt 0x0
	s_barrier_signal -1
	s_barrier_wait -1
	global_inv scope:SCOPE_SE
	s_and_saveexec_b32 s7, s2
	s_cbranch_execz .LBB59_15
; %bb.14:                               ;   in Loop: Header=BB59_9 Depth=1
	ds_load_2addr_stride64_b32 v[1:2], v16 offset1:4
	ds_load_2addr_stride64_b32 v[3:4], v16 offset0:8 offset1:12
	s_wait_dscnt 0x0
	v_add_f32_e32 v2, v2, v3
	s_delay_alu instid0(VALU_DEP_1) | instskip(NEXT) | instid1(VALU_DEP_1)
	v_add_f32_e32 v2, v2, v4
	v_add_f32_e32 v1, v1, v2
	ds_store_b32 v16, v1
.LBB59_15:                              ;   in Loop: Header=BB59_9 Depth=1
	s_wait_alu 0xfffe
	s_or_b32 exec_lo, exec_lo, s7
	s_wait_loadcnt_dscnt 0x0
	s_barrier_signal -1
	s_barrier_wait -1
	global_inv scope:SCOPE_SE
	s_and_saveexec_b32 s7, s3
	s_cbranch_execz .LBB59_17
; %bb.16:                               ;   in Loop: Header=BB59_9 Depth=1
	ds_load_2addr_stride64_b32 v[1:2], v16 offset1:1
	ds_load_2addr_stride64_b32 v[3:4], v16 offset0:2 offset1:3
	s_wait_dscnt 0x0
	v_add_f32_e32 v2, v2, v3
	s_delay_alu instid0(VALU_DEP_1) | instskip(NEXT) | instid1(VALU_DEP_1)
	v_add_f32_e32 v2, v2, v4
	v_add_f32_e32 v1, v1, v2
	ds_store_b32 v16, v1
.LBB59_17:                              ;   in Loop: Header=BB59_9 Depth=1
	s_wait_alu 0xfffe
	s_or_b32 exec_lo, exec_lo, s7
	s_wait_loadcnt_dscnt 0x0
	s_barrier_signal -1
	s_barrier_wait -1
	global_inv scope:SCOPE_SE
	s_and_saveexec_b32 s7, s4
	s_cbranch_execz .LBB59_19
; %bb.18:                               ;   in Loop: Header=BB59_9 Depth=1
	ds_load_2addr_b32 v[1:2], v16 offset1:16
	ds_load_2addr_b32 v[3:4], v16 offset0:32 offset1:48
	s_wait_dscnt 0x0
	v_add_f32_e32 v2, v2, v3
	s_delay_alu instid0(VALU_DEP_1) | instskip(NEXT) | instid1(VALU_DEP_1)
	v_add_f32_e32 v2, v2, v4
	v_add_f32_e32 v1, v1, v2
	ds_store_b32 v16, v1
.LBB59_19:                              ;   in Loop: Header=BB59_9 Depth=1
	s_wait_alu 0xfffe
	s_or_b32 exec_lo, exec_lo, s7
	s_wait_loadcnt_dscnt 0x0
	s_barrier_signal -1
	s_barrier_wait -1
	global_inv scope:SCOPE_SE
	s_and_saveexec_b32 s7, s5
	s_cbranch_execz .LBB59_21
; %bb.20:                               ;   in Loop: Header=BB59_9 Depth=1
	ds_load_2addr_b32 v[1:2], v16 offset1:4
	ds_load_2addr_b32 v[3:4], v16 offset0:8 offset1:12
	s_wait_dscnt 0x0
	v_add_f32_e32 v2, v2, v3
	s_delay_alu instid0(VALU_DEP_1) | instskip(NEXT) | instid1(VALU_DEP_1)
	v_add_f32_e32 v2, v2, v4
	v_add_f32_e32 v1, v1, v2
	ds_store_b32 v16, v1
.LBB59_21:                              ;   in Loop: Header=BB59_9 Depth=1
	s_wait_alu 0xfffe
	s_or_b32 exec_lo, exec_lo, s7
	s_wait_loadcnt_dscnt 0x0
	s_barrier_signal -1
	s_barrier_wait -1
	global_inv scope:SCOPE_SE
	s_and_saveexec_b32 s7, s6
	s_cbranch_execz .LBB59_23
; %bb.22:                               ;   in Loop: Header=BB59_9 Depth=1
	ds_load_2addr_b32 v[1:2], v7 offset0:1 offset1:2
	ds_load_b32 v3, v7 offset:12
	ds_load_b32 v4, v16
	s_wait_dscnt 0x2
	v_add_f32_e32 v1, v1, v2
	s_wait_dscnt 0x1
	s_delay_alu instid0(VALU_DEP_1) | instskip(SKIP_1) | instid1(VALU_DEP_1)
	v_add_f32_e32 v1, v1, v3
	s_wait_dscnt 0x0
	v_add_f32_e32 v1, v4, v1
	ds_store_b32 v16, v1
.LBB59_23:                              ;   in Loop: Header=BB59_9 Depth=1
	s_wait_alu 0xfffe
	s_or_b32 exec_lo, exec_lo, s7
	s_wait_loadcnt_dscnt 0x0
	s_barrier_signal -1
	s_barrier_wait -1
	global_inv scope:SCOPE_SE
	s_and_saveexec_b32 s7, s6
	s_cbranch_execz .LBB59_8
; %bb.24:                               ;   in Loop: Header=BB59_9 Depth=1
	s_mov_b32 s28, exec_lo
	s_wait_alu 0xfffe
	v_mbcnt_lo_u32_b32 v1, s28, 0
	s_delay_alu instid0(VALU_DEP_1)
	v_cmp_eq_u32_e32 vcc_lo, 0, v1
	s_and_b32 s29, exec_lo, vcc_lo
	s_wait_alu 0xfffe
	s_mov_b32 exec_lo, s29
	s_cbranch_execz .LBB59_8
; %bb.25:                               ;   in Loop: Header=BB59_9 Depth=1
	ds_load_b32 v1, v7
	s_bcnt1_i32_b32 s28, s28
	s_wait_alu 0xfffe
	v_cvt_f32_ubyte0_e32 v2, s28
	s_lshl_b64 s[28:29], s[26:27], 2
	s_wait_alu 0xfffe
	s_add_nc_u64 s[28:29], s[20:21], s[28:29]
	s_wait_dscnt 0x0
	v_mul_f32_e32 v1, s30, v1
	s_delay_alu instid0(VALU_DEP_1)
	v_mul_f32_e32 v1, v1, v2
	global_atomic_add_f32 v7, v1, s[28:29] scope:SCOPE_DEV
	s_branch .LBB59_8
.LBB59_26:
	s_lshl_b64 s[2:3], s[16:17], 3
	s_lshl_b64 s[4:5], s[18:19], 3
	s_wait_alu 0xfffe
	s_add_nc_u64 s[2:3], s[8:9], s[2:3]
	s_add_nc_u64 s[4:5], s[8:9], s[4:5]
	s_clause 0x1
	s_load_b64 s[2:3], s[2:3], 0x0
	s_load_b64 s[4:5], s[4:5], 0x0
	s_wait_kmcnt 0x0
	v_add_co_u32 v1, vcc_lo, s2, v5
	s_wait_alu 0xfffd
	v_add_co_ci_u32_e64 v2, null, s3, v6, vcc_lo
	s_sub_nc_u64 s[4:5], s[4:5], s[24:25]
	s_mov_b32 s3, exec_lo
	v_cmpx_gt_i64_e64 s[4:5], v[1:2]
	s_cbranch_execz .LBB59_35
; %bb.27:
	s_add_nc_u64 s[6:7], s[18:19], -1
	s_add_nc_u64 s[26:27], s[18:19], -2
	s_wait_alu 0xfffe
	v_cmp_lt_i64_e64 s2, s[16:17], s[6:7]
	s_cmp_lg_u64 s[16:17], s[26:27]
	s_mov_b32 s26, 0
	s_cselect_b32 s25, -1, 0
	s_wait_alu 0xfffe
	s_and_b32 s25, s2, s25
	s_branch .LBB59_29
.LBB59_28:                              ;   in Loop: Header=BB59_29 Depth=1
	s_wait_alu 0xfffe
	s_or_b32 exec_lo, exec_lo, s2
	v_add_co_u32 v1, vcc_lo, 0x100, v1
	s_wait_alu 0xfffd
	v_add_co_ci_u32_e64 v2, null, 0, v2, vcc_lo
	s_delay_alu instid0(VALU_DEP_1)
	v_cmp_le_i64_e32 vcc_lo, s[4:5], v[1:2]
	s_or_b32 s26, vcc_lo, s26
	s_wait_alu 0xfffe
	s_and_not1_b32 exec_lo, exec_lo, s26
	s_cbranch_execz .LBB59_35
.LBB59_29:                              ; =>This Loop Header: Depth=1
                                        ;     Child Loop BB59_31 Depth 2
	v_dual_mov_b32 v3, s16 :: v_dual_mov_b32 v4, s17
	v_dual_mov_b32 v5, s6 :: v_dual_mov_b32 v6, s7
	s_wait_alu 0xfffe
	s_and_not1_b32 vcc_lo, exec_lo, s25
	s_wait_alu 0xfffe
	s_cbranch_vccnz .LBB59_33
; %bb.30:                               ;   in Loop: Header=BB59_29 Depth=1
	v_dual_mov_b32 v3, s16 :: v_dual_mov_b32 v4, s17
	v_dual_mov_b32 v5, s6 :: v_dual_mov_b32 v6, s7
	s_mov_b32 s27, 0
.LBB59_31:                              ;   Parent Loop BB59_29 Depth=1
                                        ; =>  This Inner Loop Header: Depth=2
	s_delay_alu instid0(VALU_DEP_1) | instskip(SKIP_1) | instid1(VALU_DEP_2)
	v_add_co_u32 v7, vcc_lo, v5, v3
	s_wait_alu 0xfffd
	v_add_co_ci_u32_e64 v8, null, v6, v4, vcc_lo
	s_delay_alu instid0(VALU_DEP_1) | instskip(NEXT) | instid1(VALU_DEP_1)
	v_lshrrev_b32_e32 v9, 31, v8
	v_add_co_u32 v7, vcc_lo, v7, v9
	s_wait_alu 0xfffd
	v_add_co_ci_u32_e64 v8, null, 0, v8, vcc_lo
	s_delay_alu instid0(VALU_DEP_1) | instskip(NEXT) | instid1(VALU_DEP_1)
	v_ashrrev_i64 v[7:8], 1, v[7:8]
	v_lshlrev_b64_e32 v[9:10], 3, v[7:8]
	s_delay_alu instid0(VALU_DEP_1) | instskip(SKIP_1) | instid1(VALU_DEP_2)
	v_add_co_u32 v9, vcc_lo, s8, v9
	s_wait_alu 0xfffd
	v_add_co_ci_u32_e64 v10, null, s9, v10, vcc_lo
	global_load_b64 v[9:10], v[9:10], off
	s_wait_loadcnt 0x0
	v_sub_co_u32 v9, vcc_lo, v9, s24
	s_wait_alu 0xfffd
	v_subrev_co_ci_u32_e64 v10, null, 0, v10, vcc_lo
	s_delay_alu instid0(VALU_DEP_1) | instskip(SKIP_3) | instid1(VALU_DEP_2)
	v_cmp_lt_i64_e32 vcc_lo, v[1:2], v[9:10]
	s_wait_alu 0xfffd
	v_dual_cndmask_b32 v6, v6, v8 :: v_dual_cndmask_b32 v5, v5, v7
	v_dual_cndmask_b32 v4, v8, v4 :: v_dual_cndmask_b32 v3, v7, v3
	v_add_co_u32 v7, vcc_lo, v5, -1
	s_wait_alu 0xfffd
	s_delay_alu instid0(VALU_DEP_3) | instskip(NEXT) | instid1(VALU_DEP_3)
	v_add_co_ci_u32_e64 v8, null, -1, v6, vcc_lo
	v_cmp_ge_i64_e32 vcc_lo, v[3:4], v[5:6]
	s_delay_alu instid0(VALU_DEP_2)
	v_cmp_eq_u64_e64 s2, v[3:4], v[7:8]
	s_or_b32 s2, vcc_lo, s2
	s_wait_alu 0xfffe
	s_and_b32 s2, exec_lo, s2
	s_wait_alu 0xfffe
	s_or_b32 s27, s2, s27
	s_wait_alu 0xfffe
	s_and_not1_b32 exec_lo, exec_lo, s27
	s_cbranch_execnz .LBB59_31
; %bb.32:                               ;   in Loop: Header=BB59_29 Depth=1
	s_or_b32 exec_lo, exec_lo, s27
.LBB59_33:                              ;   in Loop: Header=BB59_29 Depth=1
	v_lshlrev_b64_e32 v[7:8], 3, v[5:6]
	v_lshlrev_b64_e32 v[9:10], 2, v[1:2]
	s_mov_b32 s2, exec_lo
	s_delay_alu instid0(VALU_DEP_2) | instskip(SKIP_1) | instid1(VALU_DEP_3)
	v_add_co_u32 v7, vcc_lo, s8, v7
	s_wait_alu 0xfffd
	v_add_co_ci_u32_e64 v8, null, s9, v8, vcc_lo
	s_delay_alu instid0(VALU_DEP_3)
	v_add_co_u32 v9, vcc_lo, s10, v9
	s_wait_alu 0xfffd
	v_add_co_ci_u32_e64 v10, null, s11, v10, vcc_lo
	global_load_b64 v[7:8], v[7:8], off
	global_load_b32 v9, v[9:10], off
	s_wait_loadcnt 0x1
	v_sub_co_u32 v7, vcc_lo, v7, s24
	s_wait_alu 0xfffd
	v_subrev_co_ci_u32_e64 v8, null, 0, v8, vcc_lo
	s_delay_alu instid0(VALU_DEP_1) | instskip(SKIP_2) | instid1(VALU_DEP_1)
	v_cmp_lt_i64_e32 vcc_lo, v[1:2], v[7:8]
	s_wait_loadcnt 0x0
	v_subrev_nc_u32_e32 v7, s24, v9
	v_ashrrev_i32_e32 v8, 31, v7
	s_wait_alu 0xfffd
	v_dual_cndmask_b32 v4, v6, v4 :: v_dual_cndmask_b32 v3, v5, v3
	s_delay_alu instid0(VALU_DEP_1)
	v_cmpx_ne_u64_e64 v[3:4], v[7:8]
	s_cbranch_execz .LBB59_28
; %bb.34:                               ;   in Loop: Header=BB59_29 Depth=1
	v_add_co_u32 v5, vcc_lo, s12, v1
	s_wait_alu 0xfffd
	v_add_co_ci_u32_e64 v6, null, s13, v2, vcc_lo
	v_add_co_u32 v3, vcc_lo, s14, v3
	s_wait_alu 0xfffd
	v_add_co_ci_u32_e64 v4, null, s15, v4, vcc_lo
	global_load_i8 v5, v[5:6], off
	global_load_i8 v6, v[3:4], off
	v_lshlrev_b64_e32 v[3:4], 2, v[7:8]
	s_delay_alu instid0(VALU_DEP_1) | instskip(SKIP_1) | instid1(VALU_DEP_2)
	v_add_co_u32 v3, vcc_lo, s20, v3
	s_wait_alu 0xfffd
	v_add_co_ci_u32_e64 v4, null, s21, v4, vcc_lo
	s_wait_loadcnt 0x1
	v_cvt_f32_i32_e32 v5, v5
	s_wait_loadcnt 0x0
	v_cvt_f32_i32_e32 v6, v6
	s_delay_alu instid0(VALU_DEP_2) | instskip(NEXT) | instid1(VALU_DEP_1)
	v_mul_f32_e32 v5, s30, v5
	v_mul_f32_e32 v5, v5, v6
	global_atomic_add_f32 v[3:4], v5, off scope:SCOPE_DEV
	s_branch .LBB59_28
.LBB59_35:
	s_wait_alu 0xfffe
	s_or_b32 exec_lo, exec_lo, s3
	s_mov_b32 s2, 0
.LBB59_36:
	s_wait_alu 0xfffe
	s_and_b32 vcc_lo, exec_lo, s2
	s_wait_alu 0xfffe
	s_cbranch_vccz .LBB59_137
; %bb.37:
	s_load_b32 s2, s[0:1], 0x6c
	s_mov_b32 s25, 0
	s_mov_b64 s[28:29], 0
	s_wait_alu 0xfffe
	s_mov_b32 s7, s25
	s_wait_kmcnt 0x0
	s_and_b32 s6, s2, 0xffff
	s_wait_alu 0xfffe
	v_cmp_lt_u64_e64 s2, s[6:7], s[22:23]
	s_and_b32 vcc_lo, exec_lo, s2
	s_wait_alu 0xfffe
	s_cbranch_vccnz .LBB59_39
; %bb.38:
	v_cvt_f32_u32_e32 v1, s22
	s_sub_co_i32 s3, 0, s22
	s_delay_alu instid0(VALU_DEP_1) | instskip(NEXT) | instid1(TRANS32_DEP_1)
	v_rcp_iflag_f32_e32 v1, v1
	v_mul_f32_e32 v1, 0x4f7ffffe, v1
	s_delay_alu instid0(VALU_DEP_1) | instskip(NEXT) | instid1(VALU_DEP_1)
	v_cvt_u32_f32_e32 v1, v1
	v_readfirstlane_b32 s2, v1
	s_wait_alu 0xfffe
	s_mul_i32 s3, s3, s2
	s_wait_alu 0xfffe
	s_mul_hi_u32 s3, s2, s3
	s_wait_alu 0xfffe
	s_add_co_i32 s2, s2, s3
	s_wait_alu 0xfffe
	s_mul_hi_u32 s2, s6, s2
	s_wait_alu 0xfffe
	s_mul_i32 s3, s2, s22
	s_add_co_i32 s4, s2, 1
	s_wait_alu 0xfffe
	s_sub_co_i32 s3, s6, s3
	s_wait_alu 0xfffe
	s_sub_co_i32 s5, s3, s22
	s_cmp_ge_u32 s3, s22
	s_cselect_b32 s2, s4, s2
	s_wait_alu 0xfffe
	s_cselect_b32 s3, s5, s3
	s_add_co_i32 s4, s2, 1
	s_wait_alu 0xfffe
	s_cmp_ge_u32 s3, s22
	s_cselect_b32 s28, s4, s2
.LBB59_39:
	s_lshl_b64 s[2:3], s[16:17], 3
	v_sub_co_u32 v1, s7, v0, s24
	s_wait_alu 0xfffe
	s_add_nc_u64 s[26:27], s[8:9], s[2:3]
	s_load_b64 s[4:5], s[26:27], 0x0
	s_load_b128 s[0:3], s[0:1], 0x8
	v_sub_co_ci_u32_e64 v2, null, 0, 0, s7
	s_wait_kmcnt 0x0
	v_add_co_u32 v4, vcc_lo, s4, v1
	s_wait_alu 0xfffd
	s_delay_alu instid0(VALU_DEP_2) | instskip(SKIP_1) | instid1(VALU_DEP_3)
	v_add_co_ci_u32_e64 v5, null, s5, v2, vcc_lo
	v_mov_b32_e32 v1, 0
	v_add_co_u32 v2, vcc_lo, 0x300, v4
	s_wait_alu 0xfffd
	s_delay_alu instid0(VALU_DEP_3) | instskip(NEXT) | instid1(VALU_DEP_1)
	v_add_co_ci_u32_e64 v3, null, 0, v5, vcc_lo
	v_cmp_le_i64_e32 vcc_lo, s[0:1], v[2:3]
	s_and_saveexec_b32 s0, vcc_lo
	s_wait_alu 0xfffe
	s_xor_b32 s1, exec_lo, s0
	s_cbranch_execz .LBB59_44
; %bb.40:
	s_lshl_b64 s[34:35], s[18:19], 3
	s_mov_b32 s7, exec_lo
	s_add_nc_u64 s[34:35], s[8:9], s[34:35]
	s_load_b64 s[34:35], s[34:35], 0x0
	s_wait_kmcnt 0x0
	s_sub_nc_u64 s[34:35], s[34:35], s[4:5]
	s_delay_alu instid0(SALU_CYCLE_1)
	v_cmpx_gt_i64_e64 s[34:35], v[0:1]
	s_cbranch_execz .LBB59_43
; %bb.41:
	v_dual_mov_b32 v8, v16 :: v_dual_mov_b32 v7, v1
	v_mov_b32_e32 v6, v0
	s_sub_nc_u64 s[36:37], s[4:5], s[24:25]
	s_mov_b32 s29, 0
	s_wait_alu 0xfffe
	s_add_nc_u64 s[36:37], s[12:13], s[36:37]
.LBB59_42:                              ; =>This Inner Loop Header: Depth=1
	s_wait_alu 0xfffe
	v_add_co_u32 v9, s0, s36, v6
	s_wait_alu 0xf1ff
	v_add_co_ci_u32_e64 v10, null, s37, v7, s0
	v_add_co_u32 v6, s0, 0x100, v6
	s_wait_alu 0xf1ff
	v_add_co_ci_u32_e64 v7, null, 0, v7, s0
	global_load_i8 v9, v[9:10], off
	v_cmp_le_i64_e64 s0, s[34:35], v[6:7]
	s_or_b32 s29, s0, s29
	s_wait_loadcnt 0x0
	v_cvt_f32_i32_e32 v9, v9
	s_delay_alu instid0(VALU_DEP_1)
	v_mul_f32_e32 v9, s30, v9
	ds_store_b32 v8, v9
	v_add_nc_u32_e32 v8, 0x400, v8
	s_wait_alu 0xfffe
	s_and_not1_b32 exec_lo, exec_lo, s29
	s_cbranch_execnz .LBB59_42
.LBB59_43:
	s_or_b32 exec_lo, exec_lo, s7
.LBB59_44:
	s_wait_alu 0xfffe
	s_and_not1_saveexec_b32 s1, s1
	s_cbranch_execz .LBB59_46
; %bb.45:
	v_add_co_u32 v6, s0, s12, v4
	s_wait_alu 0xf1ff
	v_add_co_ci_u32_e64 v7, null, s13, v5, s0
	s_clause 0x3
	global_load_i8 v8, v[6:7], off
	global_load_i8 v9, v[6:7], off offset:256
	global_load_i8 v10, v[6:7], off offset:512
	;; [unrolled: 1-line block ×3, first 2 shown]
	s_wait_loadcnt 0x3
	v_cvt_f32_i32_e32 v7, v8
	s_wait_loadcnt 0x2
	v_cvt_f32_i32_e32 v8, v9
	;; [unrolled: 2-line block ×4, first 2 shown]
	v_dual_mul_f32 v7, s30, v7 :: v_dual_mul_f32 v8, s30, v8
	s_delay_alu instid0(VALU_DEP_2)
	v_dual_mul_f32 v9, s30, v9 :: v_dual_mul_f32 v6, s30, v6
	ds_store_2addr_stride64_b32 v16, v7, v8 offset1:4
	ds_store_2addr_stride64_b32 v16, v9, v6 offset0:8 offset1:12
.LBB59_46:
	s_wait_alu 0xfffe
	s_or_b32 exec_lo, exec_lo, s1
	v_lshl_add_u32 v17, v0, 2, 0x1000
	s_mov_b32 s1, exec_lo
	v_cmpx_gt_i64_e64 s[2:3], v[0:1]
	s_cbranch_execz .LBB59_49
; %bb.47:
	v_mov_b32_e32 v7, v1
	v_lshl_add_u32 v8, v0, 2, 0x1000
	v_dual_mov_b32 v9, 0 :: v_dual_mov_b32 v6, v0
	s_mov_b32 s7, 0
.LBB59_48:                              ; =>This Inner Loop Header: Depth=1
	s_delay_alu instid0(VALU_DEP_1)
	v_add_co_u32 v6, s0, 0x100, v6
	s_wait_alu 0xf1ff
	v_add_co_ci_u32_e64 v7, null, 0, v7, s0
	ds_store_b32 v8, v9
	v_add_nc_u32_e32 v8, 0x400, v8
	v_cmp_le_i64_e64 s0, s[2:3], v[6:7]
	s_wait_alu 0xfffe
	s_or_b32 s7, s0, s7
	s_wait_alu 0xfffe
	s_and_not1_b32 exec_lo, exec_lo, s7
	s_cbranch_execnz .LBB59_48
.LBB59_49:
	s_wait_alu 0xfffe
	s_or_b32 exec_lo, exec_lo, s1
	v_cmp_ge_i64_e64 s7, s[18:19], s[2:3]
	s_sub_nc_u64 s[0:1], s[18:19], s[2:3]
	s_wait_storecnt 0x0
	s_wait_loadcnt_dscnt 0x0
	s_barrier_signal -1
	s_barrier_wait -1
	global_inv scope:SCOPE_SE
	s_and_b32 s7, s7, exec_lo
	s_wait_alu 0xfffe
	s_cselect_b32 s13, s1, 0
	s_cselect_b32 s12, s0, 0
	s_and_saveexec_b32 s0, vcc_lo
	s_wait_alu 0xfffe
	s_xor_b32 s7, exec_lo, s0
	s_cbranch_execz .LBB59_66
; %bb.50:
	s_lshl_b64 s[0:1], s[18:19], 3
	s_mov_b32 s29, exec_lo
	s_wait_alu 0xfffe
	s_add_nc_u64 s[0:1], s[8:9], s[0:1]
	s_load_b64 s[0:1], s[0:1], 0x0
	s_wait_kmcnt 0x0
	s_sub_nc_u64 s[30:31], s[0:1], s[4:5]
	s_wait_alu 0xfffe
	v_cmpx_gt_i64_e64 s[30:31], v[0:1]
	s_cbranch_execz .LBB59_65
; %bb.51:
	s_add_nc_u64 s[34:35], s[18:19], -2
	s_sub_nc_u64 s[36:37], s[0:1], s[24:25]
	s_wait_alu 0xfffe
	s_cmp_lg_u64 s[16:17], s[34:35]
	s_add_nc_u64 s[34:35], s[18:19], -1
	s_cselect_b32 s33, -1, 0
	s_mov_b64 s[38:39], 0
	s_mov_b32 s1, 0
	s_branch .LBB59_54
.LBB59_52:                              ;   in Loop: Header=BB59_54 Depth=1
	s_wait_alu 0xfffe
	s_or_b32 exec_lo, exec_lo, s0
.LBB59_53:                              ;   in Loop: Header=BB59_54 Depth=1
	s_delay_alu instid0(SALU_CYCLE_1)
	s_or_b32 exec_lo, exec_lo, s40
	v_add_co_u32 v2, vcc_lo, s14, v2
	s_wait_alu 0xfffd
	v_add_co_ci_u32_e64 v3, null, s15, v3, vcc_lo
	s_add_nc_u64 s[38:39], s[38:39], 0x100
	global_load_i8 v7, v[2:3], off
	s_wait_alu 0xfffe
	v_add_co_u32 v2, s0, s38, v0
	s_wait_alu 0xf1ff
	v_add_co_ci_u32_e64 v3, null, s39, 0, s0
	s_delay_alu instid0(VALU_DEP_1) | instskip(SKIP_4) | instid1(VALU_DEP_1)
	v_cmp_le_i64_e32 vcc_lo, s[30:31], v[2:3]
	s_or_b32 s1, vcc_lo, s1
	s_wait_loadcnt 0x0
	v_cvt_f32_i32_e32 v7, v7
	s_wait_dscnt 0x0
	v_dual_mul_f32 v3, v6, v7 :: v_dual_lshlrev_b32 v2, 2, v10
	ds_store_b32 v2, v3
	s_wait_alu 0xfffe
	s_and_not1_b32 exec_lo, exec_lo, s1
	s_cbranch_execz .LBB59_65
.LBB59_54:                              ; =>This Loop Header: Depth=1
                                        ;     Child Loop BB59_56 Depth 2
	v_add_co_u32 v6, vcc_lo, s38, v4
	s_wait_alu 0xfffd
	v_add_co_ci_u32_e64 v7, null, s39, v5, vcc_lo
	v_dual_mov_b32 v8, s16 :: v_dual_mov_b32 v9, s17
	s_wait_alu 0xfffe
	v_dual_mov_b32 v10, s34 :: v_dual_mov_b32 v11, s35
	s_and_not1_b32 vcc_lo, exec_lo, s33
	s_wait_alu 0xfffe
	s_cbranch_vccnz .LBB59_58
; %bb.55:                               ;   in Loop: Header=BB59_54 Depth=1
	v_dual_mov_b32 v8, s16 :: v_dual_mov_b32 v9, s17
	v_dual_mov_b32 v10, s34 :: v_dual_mov_b32 v11, s35
	s_mov_b32 s40, 0
.LBB59_56:                              ;   Parent Loop BB59_54 Depth=1
                                        ; =>  This Inner Loop Header: Depth=2
	s_delay_alu instid0(VALU_DEP_1) | instskip(SKIP_1) | instid1(VALU_DEP_2)
	v_add_co_u32 v2, vcc_lo, v10, v8
	s_wait_alu 0xfffd
	v_add_co_ci_u32_e64 v3, null, v11, v9, vcc_lo
	s_delay_alu instid0(VALU_DEP_1) | instskip(NEXT) | instid1(VALU_DEP_1)
	v_lshrrev_b32_e32 v12, 31, v3
	v_add_co_u32 v2, vcc_lo, v2, v12
	s_wait_alu 0xfffd
	v_add_co_ci_u32_e64 v3, null, 0, v3, vcc_lo
	s_delay_alu instid0(VALU_DEP_1) | instskip(NEXT) | instid1(VALU_DEP_1)
	v_ashrrev_i64 v[2:3], 1, v[2:3]
	v_lshlrev_b64_e32 v[12:13], 3, v[2:3]
	s_delay_alu instid0(VALU_DEP_1) | instskip(SKIP_1) | instid1(VALU_DEP_2)
	v_add_co_u32 v12, vcc_lo, s8, v12
	s_wait_alu 0xfffd
	v_add_co_ci_u32_e64 v13, null, s9, v13, vcc_lo
	global_load_b64 v[12:13], v[12:13], off
	s_wait_loadcnt 0x0
	v_sub_co_u32 v12, vcc_lo, v12, s24
	s_wait_alu 0xfffd
	v_subrev_co_ci_u32_e64 v13, null, 0, v13, vcc_lo
	s_delay_alu instid0(VALU_DEP_1) | instskip(SKIP_3) | instid1(VALU_DEP_2)
	v_cmp_lt_i64_e32 vcc_lo, v[6:7], v[12:13]
	s_wait_alu 0xfffd
	v_dual_cndmask_b32 v11, v11, v3 :: v_dual_cndmask_b32 v10, v10, v2
	v_dual_cndmask_b32 v9, v3, v9 :: v_dual_cndmask_b32 v8, v2, v8
	v_add_co_u32 v2, vcc_lo, v10, -1
	s_wait_alu 0xfffd
	s_delay_alu instid0(VALU_DEP_3) | instskip(NEXT) | instid1(VALU_DEP_3)
	v_add_co_ci_u32_e64 v3, null, -1, v11, vcc_lo
	v_cmp_ge_i64_e32 vcc_lo, v[8:9], v[10:11]
	s_delay_alu instid0(VALU_DEP_2)
	v_cmp_eq_u64_e64 s0, v[8:9], v[2:3]
	s_or_b32 s0, vcc_lo, s0
	s_wait_alu 0xfffe
	s_and_b32 s0, exec_lo, s0
	s_wait_alu 0xfffe
	s_or_b32 s40, s0, s40
	s_delay_alu instid0(SALU_CYCLE_1)
	s_and_not1_b32 exec_lo, exec_lo, s40
	s_cbranch_execnz .LBB59_56
; %bb.57:                               ;   in Loop: Header=BB59_54 Depth=1
	s_or_b32 exec_lo, exec_lo, s40
.LBB59_58:                              ;   in Loop: Header=BB59_54 Depth=1
	s_delay_alu instid0(VALU_DEP_1) | instskip(SKIP_2) | instid1(VALU_DEP_3)
	v_lshlrev_b64_e32 v[2:3], 3, v[10:11]
	v_lshlrev_b64_e32 v[12:13], 2, v[6:7]
	v_cmp_le_i64_e64 s0, s[36:37], v[6:7]
	v_add_co_u32 v2, vcc_lo, s8, v2
	s_wait_alu 0xfffd
	s_delay_alu instid0(VALU_DEP_4) | instskip(NEXT) | instid1(VALU_DEP_4)
	v_add_co_ci_u32_e64 v3, null, s9, v3, vcc_lo
	v_add_co_u32 v12, vcc_lo, s10, v12
	s_wait_alu 0xfffd
	v_add_co_ci_u32_e64 v13, null, s11, v13, vcc_lo
	global_load_b64 v[2:3], v[2:3], off
	global_load_b32 v14, v[12:13], off
	s_wait_loadcnt 0x1
	v_sub_co_u32 v12, vcc_lo, v2, s24
	s_wait_alu 0xfffd
	v_subrev_co_ci_u32_e64 v13, null, 0, v3, vcc_lo
	s_wait_loadcnt 0x0
	v_subrev_nc_u32_e32 v2, s24, v14
	s_delay_alu instid0(VALU_DEP_2) | instskip(NEXT) | instid1(VALU_DEP_2)
	v_cmp_lt_i64_e32 vcc_lo, v[6:7], v[12:13]
                                        ; implicit-def: $vgpr6
	v_ashrrev_i32_e32 v3, 31, v2
	s_wait_alu 0xfffd
	v_dual_cndmask_b32 v9, v11, v9 :: v_dual_cndmask_b32 v8, v10, v8
	v_add_co_u32 v10, null, s38, v0
	s_delay_alu instid0(VALU_DEP_2) | instskip(NEXT) | instid1(VALU_DEP_2)
	v_cmp_eq_u64_e32 vcc_lo, v[8:9], v[2:3]
	v_lshlrev_b32_e32 v7, 2, v10
	s_or_b32 s0, vcc_lo, s0
	s_wait_alu 0xfffe
	s_and_saveexec_b32 s40, s0
	s_delay_alu instid0(SALU_CYCLE_1)
	s_xor_b32 s0, exec_lo, s40
; %bb.59:                               ;   in Loop: Header=BB59_54 Depth=1
	ds_load_b32 v6, v7
                                        ; implicit-def: $vgpr7
                                        ; implicit-def: $vgpr8_vgpr9
; %bb.60:                               ;   in Loop: Header=BB59_54 Depth=1
	s_wait_alu 0xfffe
	s_and_not1_saveexec_b32 s40, s0
	s_cbranch_execz .LBB59_53
; %bb.61:                               ;   in Loop: Header=BB59_54 Depth=1
	v_cmp_gt_i64_e32 vcc_lo, s[12:13], v[2:3]
	v_cmp_le_i64_e64 s0, s[18:19], v[2:3]
                                        ; implicit-def: $vgpr6
	s_or_b32 s0, vcc_lo, s0
	s_wait_alu 0xfffe
	s_and_saveexec_b32 s41, s0
	s_delay_alu instid0(SALU_CYCLE_1)
	s_xor_b32 s0, exec_lo, s41
	s_cbranch_execz .LBB59_63
; %bb.62:                               ;   in Loop: Header=BB59_54 Depth=1
	v_add_co_u32 v8, vcc_lo, s14, v8
	s_wait_alu 0xfffd
	v_add_co_ci_u32_e64 v9, null, s15, v9, vcc_lo
	s_wait_dscnt 0x0
	ds_load_b32 v6, v7
	global_load_i8 v9, v[8:9], off
	v_lshlrev_b64_e32 v[7:8], 2, v[2:3]
	s_delay_alu instid0(VALU_DEP_1) | instskip(SKIP_1) | instid1(VALU_DEP_2)
	v_add_co_u32 v7, vcc_lo, s20, v7
	s_wait_alu 0xfffd
	v_add_co_ci_u32_e64 v8, null, s21, v8, vcc_lo
	s_wait_loadcnt 0x0
	v_cvt_f32_i32_e32 v9, v9
	s_wait_dscnt 0x0
	s_delay_alu instid0(VALU_DEP_1)
	v_mul_f32_e32 v9, v6, v9
	global_atomic_add_f32 v[7:8], v9, off scope:SCOPE_DEV
                                        ; implicit-def: $vgpr7
                                        ; implicit-def: $vgpr8_vgpr9
.LBB59_63:                              ;   in Loop: Header=BB59_54 Depth=1
	s_wait_alu 0xfffe
	s_and_not1_saveexec_b32 s0, s0
	s_cbranch_execz .LBB59_52
; %bb.64:                               ;   in Loop: Header=BB59_54 Depth=1
	v_add_co_u32 v8, vcc_lo, s14, v8
	s_wait_alu 0xfffd
	v_add_co_ci_u32_e64 v9, null, s15, v9, vcc_lo
	s_wait_dscnt 0x0
	ds_load_b32 v6, v7
	v_subrev_nc_u32_e32 v7, s12, v2
	global_load_i8 v8, v[8:9], off
	v_lshl_add_u32 v7, v7, 2, 0x1000
	s_wait_loadcnt 0x0
	v_cvt_f32_i32_e32 v8, v8
	s_wait_dscnt 0x0
	s_delay_alu instid0(VALU_DEP_1)
	v_mul_f32_e32 v8, v6, v8
	ds_add_f32 v7, v8
	s_branch .LBB59_52
.LBB59_65:
	s_or_b32 exec_lo, exec_lo, s29
                                        ; implicit-def: $vgpr2_vgpr3
                                        ; implicit-def: $vgpr4
.LBB59_66:
	s_wait_alu 0xfffe
	s_and_not1_saveexec_b32 s1, s7
	s_cbranch_execz .LBB59_108
; %bb.67:
	s_add_nc_u64 s[30:31], s[18:19], -1
	s_add_nc_u64 s[34:35], s[18:19], -2
	v_dual_mov_b32 v8, s16 :: v_dual_mov_b32 v9, s17
	s_wait_alu 0xfffe
	v_dual_mov_b32 v10, s30 :: v_dual_mov_b32 v11, s31
	s_cmp_lg_u64 s[16:17], s[34:35]
	s_cselect_b32 s7, -1, 0
	s_cmp_eq_u64 s[16:17], s[34:35]
	s_cbranch_scc1 .LBB59_71
; %bb.68:
	v_dual_mov_b32 v8, s16 :: v_dual_mov_b32 v9, s17
	v_dual_mov_b32 v10, s30 :: v_dual_mov_b32 v11, s31
	s_mov_b32 s29, 0
.LBB59_69:                              ; =>This Inner Loop Header: Depth=1
	s_delay_alu instid0(VALU_DEP_1) | instskip(SKIP_1) | instid1(VALU_DEP_2)
	v_add_co_u32 v6, vcc_lo, v10, v8
	s_wait_alu 0xfffd
	v_add_co_ci_u32_e64 v7, null, v11, v9, vcc_lo
	s_delay_alu instid0(VALU_DEP_1) | instskip(NEXT) | instid1(VALU_DEP_1)
	v_lshrrev_b32_e32 v12, 31, v7
	v_add_co_u32 v6, vcc_lo, v6, v12
	s_wait_alu 0xfffd
	v_add_co_ci_u32_e64 v7, null, 0, v7, vcc_lo
	s_delay_alu instid0(VALU_DEP_1) | instskip(NEXT) | instid1(VALU_DEP_1)
	v_ashrrev_i64 v[6:7], 1, v[6:7]
	v_lshlrev_b64_e32 v[12:13], 3, v[6:7]
	s_delay_alu instid0(VALU_DEP_1) | instskip(SKIP_1) | instid1(VALU_DEP_2)
	v_add_co_u32 v12, vcc_lo, s8, v12
	s_wait_alu 0xfffd
	v_add_co_ci_u32_e64 v13, null, s9, v13, vcc_lo
	global_load_b64 v[12:13], v[12:13], off
	s_wait_loadcnt 0x0
	v_sub_co_u32 v12, vcc_lo, v12, s24
	s_wait_alu 0xfffd
	v_subrev_co_ci_u32_e64 v13, null, 0, v13, vcc_lo
	s_delay_alu instid0(VALU_DEP_1) | instskip(SKIP_3) | instid1(VALU_DEP_2)
	v_cmp_lt_i64_e32 vcc_lo, v[4:5], v[12:13]
	s_wait_alu 0xfffd
	v_dual_cndmask_b32 v11, v11, v7 :: v_dual_cndmask_b32 v10, v10, v6
	v_dual_cndmask_b32 v9, v7, v9 :: v_dual_cndmask_b32 v8, v6, v8
	v_add_co_u32 v6, vcc_lo, v10, -1
	s_wait_alu 0xfffd
	s_delay_alu instid0(VALU_DEP_3) | instskip(NEXT) | instid1(VALU_DEP_3)
	v_add_co_ci_u32_e64 v7, null, -1, v11, vcc_lo
	v_cmp_ge_i64_e32 vcc_lo, v[8:9], v[10:11]
	s_delay_alu instid0(VALU_DEP_2)
	v_cmp_eq_u64_e64 s0, v[8:9], v[6:7]
	s_or_b32 s0, vcc_lo, s0
	s_wait_alu 0xfffe
	s_and_b32 s0, exec_lo, s0
	s_wait_alu 0xfffe
	s_or_b32 s29, s0, s29
	s_wait_alu 0xfffe
	s_and_not1_b32 exec_lo, exec_lo, s29
	s_cbranch_execnz .LBB59_69
; %bb.70:
	s_or_b32 exec_lo, exec_lo, s29
.LBB59_71:
	v_lshlrev_b64_e32 v[6:7], 3, v[10:11]
	v_lshlrev_b64_e32 v[12:13], 2, v[4:5]
	s_mov_b32 s29, exec_lo
	s_delay_alu instid0(VALU_DEP_2) | instskip(SKIP_1) | instid1(VALU_DEP_3)
	v_add_co_u32 v6, vcc_lo, s8, v6
	s_wait_alu 0xfffd
	v_add_co_ci_u32_e64 v7, null, s9, v7, vcc_lo
	global_load_b64 v[14:15], v[6:7], off
	v_add_co_u32 v6, vcc_lo, s10, v12
	s_wait_alu 0xfffd
	v_add_co_ci_u32_e64 v7, null, s11, v13, vcc_lo
	s_lshl_b64 s[10:11], s[18:19], 3
	s_wait_alu 0xfffe
	s_add_nc_u64 s[10:11], s[8:9], s[10:11]
	global_load_b32 v18, v[6:7], off
	s_wait_loadcnt 0x1
	v_sub_co_u32 v12, vcc_lo, v14, s24
	s_wait_alu 0xfffd
	v_subrev_co_ci_u32_e64 v13, null, 0, v15, vcc_lo
	s_delay_alu instid0(VALU_DEP_1) | instskip(SKIP_2) | instid1(VALU_DEP_1)
	v_cmp_lt_i64_e32 vcc_lo, v[4:5], v[12:13]
	s_wait_loadcnt 0x0
	v_subrev_nc_u32_e32 v12, s24, v18
	v_ashrrev_i32_e32 v13, 31, v12
	s_wait_alu 0xfffd
	v_dual_cndmask_b32 v9, v11, v9 :: v_dual_cndmask_b32 v8, v10, v8
	s_delay_alu instid0(VALU_DEP_1)
	v_cmpx_ne_u64_e64 v[8:9], v[12:13]
	s_cbranch_execz .LBB59_77
; %bb.72:
	s_load_b64 s[34:35], s[10:11], 0x0
	s_wait_kmcnt 0x0
	s_sub_nc_u64 s[34:35], s[34:35], s[24:25]
	s_wait_alu 0xfffe
	v_cmp_gt_i64_e32 vcc_lo, s[34:35], v[4:5]
	s_and_b32 exec_lo, exec_lo, vcc_lo
	s_cbranch_execz .LBB59_77
; %bb.73:
	v_cmp_gt_i64_e32 vcc_lo, s[12:13], v[12:13]
	v_cmp_le_i64_e64 s0, s[18:19], v[12:13]
	s_or_b32 s0, vcc_lo, s0
	s_wait_alu 0xfffe
	s_and_saveexec_b32 s33, s0
	s_delay_alu instid0(SALU_CYCLE_1)
	s_xor_b32 s0, exec_lo, s33
	s_cbranch_execz .LBB59_75
; %bb.74:
	v_add_co_u32 v8, vcc_lo, s14, v8
	s_wait_alu 0xfffd
	v_add_co_ci_u32_e64 v9, null, s15, v9, vcc_lo
	ds_load_b32 v11, v16
	global_load_i8 v10, v[8:9], off
	v_lshlrev_b64_e32 v[8:9], 2, v[12:13]
	s_delay_alu instid0(VALU_DEP_1) | instskip(SKIP_1) | instid1(VALU_DEP_2)
	v_add_co_u32 v8, vcc_lo, s20, v8
	s_wait_alu 0xfffd
	v_add_co_ci_u32_e64 v9, null, s21, v9, vcc_lo
	s_wait_loadcnt 0x0
	v_cvt_f32_i32_e32 v10, v10
	s_wait_dscnt 0x0
	s_delay_alu instid0(VALU_DEP_1)
	v_mul_f32_e32 v10, v11, v10
	global_atomic_add_f32 v[8:9], v10, off scope:SCOPE_DEV
                                        ; implicit-def: $vgpr8_vgpr9
.LBB59_75:
	s_wait_alu 0xfffe
	s_and_not1_saveexec_b32 s0, s0
	s_cbranch_execz .LBB59_77
; %bb.76:
	v_add_co_u32 v8, vcc_lo, s14, v8
	s_wait_alu 0xfffd
	v_add_co_ci_u32_e64 v9, null, s15, v9, vcc_lo
	v_subrev_nc_u32_e32 v10, s12, v12
	global_load_i8 v8, v[8:9], off
	ds_load_b32 v9, v16
	v_lshl_add_u32 v10, v10, 2, 0x1000
	s_wait_loadcnt 0x0
	v_cvt_f32_i32_e32 v8, v8
	s_wait_dscnt 0x0
	s_delay_alu instid0(VALU_DEP_1)
	v_mul_f32_e32 v8, v9, v8
	ds_add_f32 v10, v8
.LBB59_77:
	s_or_b32 exec_lo, exec_lo, s29
	v_add_co_u32 v8, vcc_lo, s14, v12
	s_wait_alu 0xfffd
	v_add_co_ci_u32_e64 v9, null, s15, v13, vcc_lo
	ds_load_b32 v10, v16
	v_mov_b32_e32 v12, s30
	v_cndmask_b32_e64 v18, 0, 1, s7
	global_load_i8 v8, v[8:9], off
	v_mov_b32_e32 v13, s31
	s_wait_loadcnt 0x0
	v_cvt_f32_i32_e32 v11, v8
	v_add_co_u32 v8, vcc_lo, 0x100, v4
	s_wait_alu 0xfffd
	v_add_co_ci_u32_e64 v9, null, 0, v5, vcc_lo
	s_wait_dscnt 0x0
	v_mul_f32_e32 v14, v10, v11
	v_dual_mov_b32 v10, s16 :: v_dual_mov_b32 v11, s17
	s_and_not1_b32 vcc_lo, exec_lo, s7
	ds_store_b32 v16, v14
	s_wait_alu 0xfffe
	s_cbranch_vccnz .LBB59_81
; %bb.78:
	v_dual_mov_b32 v10, s16 :: v_dual_mov_b32 v11, s17
	v_dual_mov_b32 v12, s30 :: v_dual_mov_b32 v13, s31
	s_mov_b32 s7, 0
.LBB59_79:                              ; =>This Inner Loop Header: Depth=1
	s_delay_alu instid0(VALU_DEP_1) | instskip(SKIP_1) | instid1(VALU_DEP_2)
	v_add_co_u32 v14, vcc_lo, v12, v10
	s_wait_alu 0xfffd
	v_add_co_ci_u32_e64 v15, null, v13, v11, vcc_lo
	s_delay_alu instid0(VALU_DEP_1) | instskip(NEXT) | instid1(VALU_DEP_1)
	v_lshrrev_b32_e32 v19, 31, v15
	v_add_co_u32 v14, vcc_lo, v14, v19
	s_wait_alu 0xfffd
	v_add_co_ci_u32_e64 v15, null, 0, v15, vcc_lo
	s_delay_alu instid0(VALU_DEP_1) | instskip(NEXT) | instid1(VALU_DEP_1)
	v_ashrrev_i64 v[14:15], 1, v[14:15]
	v_lshlrev_b64_e32 v[19:20], 3, v[14:15]
	s_delay_alu instid0(VALU_DEP_1) | instskip(SKIP_1) | instid1(VALU_DEP_2)
	v_add_co_u32 v19, vcc_lo, s8, v19
	s_wait_alu 0xfffd
	v_add_co_ci_u32_e64 v20, null, s9, v20, vcc_lo
	global_load_b64 v[19:20], v[19:20], off
	s_wait_loadcnt 0x0
	v_sub_co_u32 v19, vcc_lo, v19, s24
	s_wait_alu 0xfffd
	v_subrev_co_ci_u32_e64 v20, null, 0, v20, vcc_lo
	s_delay_alu instid0(VALU_DEP_1) | instskip(SKIP_3) | instid1(VALU_DEP_2)
	v_cmp_lt_i64_e32 vcc_lo, v[8:9], v[19:20]
	s_wait_alu 0xfffd
	v_dual_cndmask_b32 v13, v13, v15 :: v_dual_cndmask_b32 v12, v12, v14
	v_dual_cndmask_b32 v11, v15, v11 :: v_dual_cndmask_b32 v10, v14, v10
	v_add_co_u32 v14, vcc_lo, v12, -1
	s_wait_alu 0xfffd
	s_delay_alu instid0(VALU_DEP_3) | instskip(NEXT) | instid1(VALU_DEP_3)
	v_add_co_ci_u32_e64 v15, null, -1, v13, vcc_lo
	v_cmp_ge_i64_e32 vcc_lo, v[10:11], v[12:13]
	s_delay_alu instid0(VALU_DEP_2)
	v_cmp_eq_u64_e64 s0, v[10:11], v[14:15]
	s_or_b32 s0, vcc_lo, s0
	s_wait_alu 0xfffe
	s_and_b32 s0, exec_lo, s0
	s_wait_alu 0xfffe
	s_or_b32 s7, s0, s7
	s_wait_alu 0xfffe
	s_and_not1_b32 exec_lo, exec_lo, s7
	s_cbranch_execnz .LBB59_79
; %bb.80:
	s_or_b32 exec_lo, exec_lo, s7
.LBB59_81:
	v_lshlrev_b64_e32 v[14:15], 3, v[12:13]
	s_mov_b32 s7, exec_lo
	s_delay_alu instid0(VALU_DEP_1) | instskip(SKIP_1) | instid1(VALU_DEP_2)
	v_add_co_u32 v14, vcc_lo, s8, v14
	s_wait_alu 0xfffd
	v_add_co_ci_u32_e64 v15, null, s9, v15, vcc_lo
	global_load_b64 v[14:15], v[14:15], off
	global_load_b32 v19, v[6:7], off offset:1024
	s_wait_loadcnt 0x1
	v_sub_co_u32 v14, vcc_lo, v14, s24
	s_wait_alu 0xfffd
	v_subrev_co_ci_u32_e64 v15, null, 0, v15, vcc_lo
	s_delay_alu instid0(VALU_DEP_1) | instskip(SKIP_2) | instid1(VALU_DEP_1)
	v_cmp_lt_i64_e32 vcc_lo, v[8:9], v[14:15]
	s_wait_loadcnt 0x0
	v_subrev_nc_u32_e32 v14, s24, v19
	v_ashrrev_i32_e32 v15, 31, v14
	s_wait_alu 0xfffd
	v_dual_cndmask_b32 v11, v13, v11 :: v_dual_cndmask_b32 v10, v12, v10
	s_delay_alu instid0(VALU_DEP_1)
	v_cmpx_ne_u64_e64 v[10:11], v[14:15]
	s_cbranch_execz .LBB59_87
; %bb.82:
	s_load_b64 s[34:35], s[10:11], 0x0
	s_wait_kmcnt 0x0
	s_sub_nc_u64 s[34:35], s[34:35], s[24:25]
	s_wait_alu 0xfffe
	v_cmp_gt_i64_e32 vcc_lo, s[34:35], v[8:9]
	s_and_b32 exec_lo, exec_lo, vcc_lo
	s_cbranch_execz .LBB59_87
; %bb.83:
	v_cmp_gt_i64_e32 vcc_lo, s[12:13], v[14:15]
	v_cmp_le_i64_e64 s0, s[18:19], v[14:15]
	s_or_b32 s0, vcc_lo, s0
	s_wait_alu 0xfffe
	s_and_saveexec_b32 s29, s0
	s_wait_alu 0xfffe
	s_xor_b32 s0, exec_lo, s29
	s_cbranch_execz .LBB59_85
; %bb.84:
	v_add_co_u32 v8, vcc_lo, s14, v10
	s_wait_alu 0xfffd
	v_add_co_ci_u32_e64 v9, null, s15, v11, vcc_lo
	ds_load_b32 v11, v16 offset:1024
	global_load_i8 v10, v[8:9], off
	v_lshlrev_b64_e32 v[8:9], 2, v[14:15]
	s_delay_alu instid0(VALU_DEP_1) | instskip(SKIP_1) | instid1(VALU_DEP_2)
	v_add_co_u32 v8, vcc_lo, s20, v8
	s_wait_alu 0xfffd
	v_add_co_ci_u32_e64 v9, null, s21, v9, vcc_lo
	s_wait_loadcnt 0x0
	v_cvt_f32_i32_e32 v10, v10
	s_wait_dscnt 0x0
	s_delay_alu instid0(VALU_DEP_1)
	v_mul_f32_e32 v10, v11, v10
	global_atomic_add_f32 v[8:9], v10, off scope:SCOPE_DEV
                                        ; implicit-def: $vgpr10_vgpr11
.LBB59_85:
	s_wait_alu 0xfffe
	s_and_not1_saveexec_b32 s0, s0
	s_cbranch_execz .LBB59_87
; %bb.86:
	v_add_co_u32 v8, vcc_lo, s14, v10
	s_wait_alu 0xfffd
	v_add_co_ci_u32_e64 v9, null, s15, v11, vcc_lo
	v_subrev_nc_u32_e32 v10, s12, v14
	global_load_i8 v8, v[8:9], off
	ds_load_b32 v9, v16 offset:1024
	v_lshl_add_u32 v10, v10, 2, 0x1000
	s_wait_loadcnt 0x0
	v_cvt_f32_i32_e32 v8, v8
	s_wait_dscnt 0x0
	s_delay_alu instid0(VALU_DEP_1)
	v_mul_f32_e32 v8, v9, v8
	ds_add_f32 v10, v8
.LBB59_87:
	s_wait_alu 0xfffe
	s_or_b32 exec_lo, exec_lo, s7
	v_add_co_u32 v8, vcc_lo, s14, v14
	s_wait_alu 0xfffd
	v_add_co_ci_u32_e64 v9, null, s15, v15, vcc_lo
	v_add_co_u32 v4, vcc_lo, 0x200, v4
	s_wait_alu 0xfffd
	v_add_co_ci_u32_e64 v5, null, 0, v5, vcc_lo
	global_load_i8 v8, v[8:9], off
	ds_load_b32 v9, v16 offset:1024
	v_cmp_ne_u32_e32 vcc_lo, 1, v18
	v_dual_mov_b32 v10, s30 :: v_dual_mov_b32 v11, s31
	s_and_b32 vcc_lo, exec_lo, vcc_lo
	s_wait_loadcnt 0x0
	v_cvt_f32_i32_e32 v8, v8
	s_wait_dscnt 0x0
	s_delay_alu instid0(VALU_DEP_1)
	v_mul_f32_e32 v12, v9, v8
	v_dual_mov_b32 v8, s16 :: v_dual_mov_b32 v9, s17
	ds_store_b32 v16, v12 offset:1024
	s_wait_alu 0xfffe
	s_cbranch_vccnz .LBB59_91
; %bb.88:
	v_dual_mov_b32 v8, s16 :: v_dual_mov_b32 v9, s17
	v_dual_mov_b32 v10, s30 :: v_dual_mov_b32 v11, s31
	s_mov_b32 s7, 0
.LBB59_89:                              ; =>This Inner Loop Header: Depth=1
	s_delay_alu instid0(VALU_DEP_1) | instskip(SKIP_1) | instid1(VALU_DEP_2)
	v_add_co_u32 v12, vcc_lo, v10, v8
	s_wait_alu 0xfffd
	v_add_co_ci_u32_e64 v13, null, v11, v9, vcc_lo
	s_delay_alu instid0(VALU_DEP_1) | instskip(NEXT) | instid1(VALU_DEP_1)
	v_lshrrev_b32_e32 v14, 31, v13
	v_add_co_u32 v12, vcc_lo, v12, v14
	s_wait_alu 0xfffd
	v_add_co_ci_u32_e64 v13, null, 0, v13, vcc_lo
	s_delay_alu instid0(VALU_DEP_1) | instskip(NEXT) | instid1(VALU_DEP_1)
	v_ashrrev_i64 v[12:13], 1, v[12:13]
	v_lshlrev_b64_e32 v[14:15], 3, v[12:13]
	s_delay_alu instid0(VALU_DEP_1) | instskip(SKIP_1) | instid1(VALU_DEP_2)
	v_add_co_u32 v14, vcc_lo, s8, v14
	s_wait_alu 0xfffd
	v_add_co_ci_u32_e64 v15, null, s9, v15, vcc_lo
	global_load_b64 v[14:15], v[14:15], off
	s_wait_loadcnt 0x0
	v_sub_co_u32 v14, vcc_lo, v14, s24
	s_wait_alu 0xfffd
	v_subrev_co_ci_u32_e64 v15, null, 0, v15, vcc_lo
	s_delay_alu instid0(VALU_DEP_1) | instskip(SKIP_3) | instid1(VALU_DEP_2)
	v_cmp_lt_i64_e32 vcc_lo, v[4:5], v[14:15]
	s_wait_alu 0xfffd
	v_dual_cndmask_b32 v11, v11, v13 :: v_dual_cndmask_b32 v10, v10, v12
	v_dual_cndmask_b32 v9, v13, v9 :: v_dual_cndmask_b32 v8, v12, v8
	v_add_co_u32 v12, vcc_lo, v10, -1
	s_wait_alu 0xfffd
	s_delay_alu instid0(VALU_DEP_3) | instskip(NEXT) | instid1(VALU_DEP_3)
	v_add_co_ci_u32_e64 v13, null, -1, v11, vcc_lo
	v_cmp_ge_i64_e32 vcc_lo, v[8:9], v[10:11]
	s_delay_alu instid0(VALU_DEP_2)
	v_cmp_eq_u64_e64 s0, v[8:9], v[12:13]
	s_or_b32 s0, vcc_lo, s0
	s_wait_alu 0xfffe
	s_and_b32 s0, exec_lo, s0
	s_wait_alu 0xfffe
	s_or_b32 s7, s0, s7
	s_wait_alu 0xfffe
	s_and_not1_b32 exec_lo, exec_lo, s7
	s_cbranch_execnz .LBB59_89
; %bb.90:
	s_or_b32 exec_lo, exec_lo, s7
.LBB59_91:
	v_lshlrev_b64_e32 v[12:13], 3, v[10:11]
	s_mov_b32 s7, exec_lo
	s_delay_alu instid0(VALU_DEP_1) | instskip(SKIP_1) | instid1(VALU_DEP_2)
	v_add_co_u32 v12, vcc_lo, s8, v12
	s_wait_alu 0xfffd
	v_add_co_ci_u32_e64 v13, null, s9, v13, vcc_lo
	global_load_b64 v[12:13], v[12:13], off
	global_load_b32 v14, v[6:7], off offset:2048
	s_wait_loadcnt 0x1
	v_sub_co_u32 v12, vcc_lo, v12, s24
	s_wait_alu 0xfffd
	v_subrev_co_ci_u32_e64 v13, null, 0, v13, vcc_lo
	s_delay_alu instid0(VALU_DEP_1) | instskip(SKIP_2) | instid1(VALU_DEP_1)
	v_cmp_lt_i64_e32 vcc_lo, v[4:5], v[12:13]
	s_wait_loadcnt 0x0
	v_subrev_nc_u32_e32 v12, s24, v14
	v_ashrrev_i32_e32 v13, 31, v12
	s_wait_alu 0xfffd
	v_dual_cndmask_b32 v9, v11, v9 :: v_dual_cndmask_b32 v8, v10, v8
	s_delay_alu instid0(VALU_DEP_1)
	v_cmpx_ne_u64_e64 v[8:9], v[12:13]
	s_cbranch_execz .LBB59_97
; %bb.92:
	s_load_b64 s[34:35], s[10:11], 0x0
	s_wait_kmcnt 0x0
	s_sub_nc_u64 s[34:35], s[34:35], s[24:25]
	s_wait_alu 0xfffe
	v_cmp_gt_i64_e32 vcc_lo, s[34:35], v[4:5]
	s_and_b32 exec_lo, exec_lo, vcc_lo
	s_cbranch_execz .LBB59_97
; %bb.93:
	v_cmp_gt_i64_e32 vcc_lo, s[12:13], v[12:13]
	v_cmp_le_i64_e64 s0, s[18:19], v[12:13]
	s_or_b32 s0, vcc_lo, s0
	s_wait_alu 0xfffe
	s_and_saveexec_b32 s29, s0
	s_wait_alu 0xfffe
	s_xor_b32 s0, exec_lo, s29
	s_cbranch_execz .LBB59_95
; %bb.94:
	v_add_co_u32 v4, vcc_lo, s14, v8
	s_wait_alu 0xfffd
	v_add_co_ci_u32_e64 v5, null, s15, v9, vcc_lo
	ds_load_b32 v9, v16 offset:2048
	global_load_i8 v8, v[4:5], off
	v_lshlrev_b64_e32 v[4:5], 2, v[12:13]
	s_delay_alu instid0(VALU_DEP_1) | instskip(SKIP_1) | instid1(VALU_DEP_2)
	v_add_co_u32 v4, vcc_lo, s20, v4
	s_wait_alu 0xfffd
	v_add_co_ci_u32_e64 v5, null, s21, v5, vcc_lo
	s_wait_loadcnt 0x0
	v_cvt_f32_i32_e32 v8, v8
	s_wait_dscnt 0x0
	s_delay_alu instid0(VALU_DEP_1)
	v_mul_f32_e32 v8, v9, v8
	global_atomic_add_f32 v[4:5], v8, off scope:SCOPE_DEV
                                        ; implicit-def: $vgpr8_vgpr9
.LBB59_95:
	s_wait_alu 0xfffe
	s_and_not1_saveexec_b32 s0, s0
	s_cbranch_execz .LBB59_97
; %bb.96:
	v_add_co_u32 v4, vcc_lo, s14, v8
	s_wait_alu 0xfffd
	v_add_co_ci_u32_e64 v5, null, s15, v9, vcc_lo
	v_subrev_nc_u32_e32 v8, s12, v12
	global_load_i8 v4, v[4:5], off
	ds_load_b32 v5, v16 offset:2048
	v_lshl_add_u32 v8, v8, 2, 0x1000
	s_wait_loadcnt 0x0
	v_cvt_f32_i32_e32 v4, v4
	s_wait_dscnt 0x0
	s_delay_alu instid0(VALU_DEP_1)
	v_mul_f32_e32 v4, v5, v4
	ds_add_f32 v8, v4
.LBB59_97:
	s_wait_alu 0xfffe
	s_or_b32 exec_lo, exec_lo, s7
	v_add_co_u32 v4, vcc_lo, s14, v12
	s_wait_alu 0xfffd
	v_add_co_ci_u32_e64 v5, null, s15, v13, vcc_lo
	v_cmp_ne_u32_e32 vcc_lo, 1, v18
	v_dual_mov_b32 v8, s30 :: v_dual_mov_b32 v9, s31
	global_load_i8 v4, v[4:5], off
	ds_load_b32 v5, v16 offset:2048
	s_and_b32 vcc_lo, exec_lo, vcc_lo
	s_wait_loadcnt 0x0
	v_cvt_f32_i32_e32 v4, v4
	s_wait_dscnt 0x0
	s_delay_alu instid0(VALU_DEP_1)
	v_mul_f32_e32 v10, v5, v4
	v_dual_mov_b32 v4, s16 :: v_dual_mov_b32 v5, s17
	ds_store_b32 v16, v10 offset:2048
	s_wait_alu 0xfffe
	s_cbranch_vccnz .LBB59_101
; %bb.98:
	v_dual_mov_b32 v4, s16 :: v_dual_mov_b32 v5, s17
	v_dual_mov_b32 v8, s30 :: v_dual_mov_b32 v9, s31
	s_mov_b32 s7, 0
.LBB59_99:                              ; =>This Inner Loop Header: Depth=1
	s_delay_alu instid0(VALU_DEP_1) | instskip(SKIP_1) | instid1(VALU_DEP_2)
	v_add_co_u32 v10, vcc_lo, v8, v4
	s_wait_alu 0xfffd
	v_add_co_ci_u32_e64 v11, null, v9, v5, vcc_lo
	s_delay_alu instid0(VALU_DEP_1) | instskip(NEXT) | instid1(VALU_DEP_1)
	v_lshrrev_b32_e32 v12, 31, v11
	v_add_co_u32 v10, vcc_lo, v10, v12
	s_wait_alu 0xfffd
	v_add_co_ci_u32_e64 v11, null, 0, v11, vcc_lo
	s_delay_alu instid0(VALU_DEP_1) | instskip(NEXT) | instid1(VALU_DEP_1)
	v_ashrrev_i64 v[10:11], 1, v[10:11]
	v_lshlrev_b64_e32 v[12:13], 3, v[10:11]
	s_delay_alu instid0(VALU_DEP_1) | instskip(SKIP_1) | instid1(VALU_DEP_2)
	v_add_co_u32 v12, vcc_lo, s8, v12
	s_wait_alu 0xfffd
	v_add_co_ci_u32_e64 v13, null, s9, v13, vcc_lo
	global_load_b64 v[12:13], v[12:13], off
	s_wait_loadcnt 0x0
	v_sub_co_u32 v12, vcc_lo, v12, s24
	s_wait_alu 0xfffd
	v_subrev_co_ci_u32_e64 v13, null, 0, v13, vcc_lo
	s_delay_alu instid0(VALU_DEP_1) | instskip(SKIP_3) | instid1(VALU_DEP_2)
	v_cmp_lt_i64_e32 vcc_lo, v[2:3], v[12:13]
	s_wait_alu 0xfffd
	v_dual_cndmask_b32 v9, v9, v11 :: v_dual_cndmask_b32 v8, v8, v10
	v_dual_cndmask_b32 v5, v11, v5 :: v_dual_cndmask_b32 v4, v10, v4
	v_add_co_u32 v10, vcc_lo, v8, -1
	s_wait_alu 0xfffd
	s_delay_alu instid0(VALU_DEP_3) | instskip(NEXT) | instid1(VALU_DEP_3)
	v_add_co_ci_u32_e64 v11, null, -1, v9, vcc_lo
	v_cmp_ge_i64_e32 vcc_lo, v[4:5], v[8:9]
	s_delay_alu instid0(VALU_DEP_2)
	v_cmp_eq_u64_e64 s0, v[4:5], v[10:11]
	s_or_b32 s0, vcc_lo, s0
	s_wait_alu 0xfffe
	s_and_b32 s0, exec_lo, s0
	s_wait_alu 0xfffe
	s_or_b32 s7, s0, s7
	s_wait_alu 0xfffe
	s_and_not1_b32 exec_lo, exec_lo, s7
	s_cbranch_execnz .LBB59_99
; %bb.100:
	s_or_b32 exec_lo, exec_lo, s7
.LBB59_101:
	v_lshlrev_b64_e32 v[10:11], 3, v[8:9]
	s_mov_b32 s7, exec_lo
	s_delay_alu instid0(VALU_DEP_1) | instskip(SKIP_1) | instid1(VALU_DEP_2)
	v_add_co_u32 v10, vcc_lo, s8, v10
	s_wait_alu 0xfffd
	v_add_co_ci_u32_e64 v11, null, s9, v11, vcc_lo
	global_load_b64 v[10:11], v[10:11], off
	global_load_b32 v12, v[6:7], off offset:3072
	s_wait_loadcnt 0x1
	v_sub_co_u32 v6, vcc_lo, v10, s24
	s_wait_alu 0xfffd
	v_subrev_co_ci_u32_e64 v7, null, 0, v11, vcc_lo
	s_delay_alu instid0(VALU_DEP_1) | instskip(SKIP_2) | instid1(VALU_DEP_1)
	v_cmp_lt_i64_e32 vcc_lo, v[2:3], v[6:7]
	s_wait_loadcnt 0x0
	v_subrev_nc_u32_e32 v6, s24, v12
	v_ashrrev_i32_e32 v7, 31, v6
	s_wait_alu 0xfffd
	v_dual_cndmask_b32 v5, v9, v5 :: v_dual_cndmask_b32 v4, v8, v4
	s_delay_alu instid0(VALU_DEP_1)
	v_cmpx_ne_u64_e64 v[4:5], v[6:7]
	s_cbranch_execz .LBB59_107
; %bb.102:
	s_load_b64 s[10:11], s[10:11], 0x0
	s_wait_kmcnt 0x0
	s_sub_nc_u64 s[10:11], s[10:11], s[24:25]
	s_wait_alu 0xfffe
	v_cmp_gt_i64_e32 vcc_lo, s[10:11], v[2:3]
	s_and_b32 exec_lo, exec_lo, vcc_lo
	s_cbranch_execz .LBB59_107
; %bb.103:
	v_cmp_gt_i64_e32 vcc_lo, s[12:13], v[6:7]
	v_cmp_le_i64_e64 s0, s[18:19], v[6:7]
	s_or_b32 s0, vcc_lo, s0
	s_wait_alu 0xfffe
	s_and_saveexec_b32 s10, s0
	s_wait_alu 0xfffe
	s_xor_b32 s0, exec_lo, s10
	s_cbranch_execz .LBB59_105
; %bb.104:
	v_add_co_u32 v2, vcc_lo, s14, v4
	s_wait_alu 0xfffd
	v_add_co_ci_u32_e64 v3, null, s15, v5, vcc_lo
	ds_load_b32 v5, v16 offset:3072
	global_load_i8 v4, v[2:3], off
	v_lshlrev_b64_e32 v[2:3], 2, v[6:7]
	s_delay_alu instid0(VALU_DEP_1) | instskip(SKIP_1) | instid1(VALU_DEP_2)
	v_add_co_u32 v2, vcc_lo, s20, v2
	s_wait_alu 0xfffd
	v_add_co_ci_u32_e64 v3, null, s21, v3, vcc_lo
	s_wait_loadcnt 0x0
	v_cvt_f32_i32_e32 v4, v4
	s_wait_dscnt 0x0
	s_delay_alu instid0(VALU_DEP_1)
	v_mul_f32_e32 v4, v5, v4
	global_atomic_add_f32 v[2:3], v4, off scope:SCOPE_DEV
                                        ; implicit-def: $vgpr4_vgpr5
.LBB59_105:
	s_wait_alu 0xfffe
	s_and_not1_saveexec_b32 s0, s0
	s_cbranch_execz .LBB59_107
; %bb.106:
	v_add_co_u32 v2, vcc_lo, s14, v4
	s_wait_alu 0xfffd
	v_add_co_ci_u32_e64 v3, null, s15, v5, vcc_lo
	v_subrev_nc_u32_e32 v4, s12, v6
	global_load_i8 v2, v[2:3], off
	ds_load_b32 v3, v16 offset:3072
	v_lshl_add_u32 v4, v4, 2, 0x1000
	s_wait_loadcnt 0x0
	v_cvt_f32_i32_e32 v2, v2
	s_wait_dscnt 0x0
	s_delay_alu instid0(VALU_DEP_1)
	v_mul_f32_e32 v2, v3, v2
	ds_add_f32 v4, v2
.LBB59_107:
	s_wait_alu 0xfffe
	s_or_b32 exec_lo, exec_lo, s7
	v_add_co_u32 v2, vcc_lo, s14, v6
	s_wait_alu 0xfffd
	v_add_co_ci_u32_e64 v3, null, s15, v7, vcc_lo
	global_load_i8 v2, v[2:3], off
	ds_load_b32 v3, v16 offset:3072
	s_wait_loadcnt 0x0
	v_cvt_f32_i32_e32 v2, v2
	s_wait_dscnt 0x0
	s_delay_alu instid0(VALU_DEP_1)
	v_mul_f32_e32 v2, v3, v2
	ds_store_b32 v16, v2 offset:3072
.LBB59_108:
	s_wait_alu 0xfffe
	s_or_b32 exec_lo, exec_lo, s1
	v_cmp_lt_i64_e64 s0, s[18:19], s[2:3]
	s_mov_b32 s1, exec_lo
	s_wait_storecnt 0x0
	s_wait_loadcnt_dscnt 0x0
	s_barrier_signal -1
	s_barrier_wait -1
	global_inv scope:SCOPE_SE
	s_and_b32 s0, s0, exec_lo
	s_cselect_b32 s13, s19, s3
	s_cselect_b32 s12, s18, s2
	s_wait_alu 0xfffe
	s_sub_nc_u64 s[10:11], s[12:13], s[22:23]
	s_wait_alu 0xfffe
	v_cmpx_gt_i64_e64 s[10:11], v[0:1]
	s_cbranch_execz .LBB59_111
; %bb.109:
	v_cmp_gt_i64_e64 s0, s[18:19], s[2:3]
	v_dual_mov_b32 v5, v1 :: v_dual_lshlrev_b32 v2, 2, v0
	v_mov_b32_e32 v4, v0
	s_and_b32 s0, s0, exec_lo
	s_cselect_b32 s15, s19, s3
	s_cselect_b32 s14, s18, s2
	s_lshl_b64 s[2:3], s[2:3], 2
	s_wait_alu 0xfffe
	s_lshl_b64 s[14:15], s[14:15], 2
	s_wait_alu 0xfffe
	v_add_co_u32 v2, s0, s14, v2
	s_wait_alu 0xf1ff
	v_add_co_ci_u32_e64 v3, null, s15, 0, s0
	s_delay_alu instid0(VALU_DEP_2) | instskip(SKIP_1) | instid1(VALU_DEP_2)
	v_sub_co_u32 v2, vcc_lo, v2, s2
	s_wait_alu 0xfffd
	v_subrev_co_ci_u32_e64 v3, null, s3, v3, vcc_lo
	s_mov_b32 s2, 0
	v_add_co_u32 v2, vcc_lo, s20, v2
	s_wait_alu 0xfffd
	v_add_co_ci_u32_e64 v3, null, s21, v3, vcc_lo
.LBB59_110:                             ; =>This Inner Loop Header: Depth=1
	ds_load_b32 v6, v17
	v_add_co_u32 v4, vcc_lo, 0x100, v4
	s_wait_alu 0xfffd
	v_add_co_ci_u32_e64 v5, null, 0, v5, vcc_lo
	v_add_nc_u32_e32 v17, 0x400, v17
	s_delay_alu instid0(VALU_DEP_2)
	v_cmp_le_i64_e32 vcc_lo, s[10:11], v[4:5]
	s_wait_alu 0xfffe
	s_or_b32 s2, vcc_lo, s2
	s_wait_dscnt 0x0
	global_atomic_add_f32 v[2:3], v6, off scope:SCOPE_DEV
	v_add_co_u32 v2, s0, 0x400, v2
	s_wait_alu 0xf1ff
	v_add_co_ci_u32_e64 v3, null, 0, v3, s0
	s_wait_alu 0xfffe
	s_and_not1_b32 exec_lo, exec_lo, s2
	s_cbranch_execnz .LBB59_110
.LBB59_111:
	s_or_b32 exec_lo, exec_lo, s1
	s_add_co_i32 s0, s28, -1
	v_add_co_u32 v6, s2, s16, v0
	s_wait_alu 0xfffe
	s_ashr_i32 s1, s0, 1
	v_add_co_ci_u32_e64 v7, null, s17, 0, s2
	s_wait_alu 0xfffe
	s_or_b32 s0, s1, s0
	s_wait_loadcnt 0x0
	s_wait_storecnt 0x0
	s_wait_alu 0xfffe
	s_ashr_i32 s1, s0, 2
	s_barrier_signal -1
	s_wait_alu 0xfffe
	s_or_b32 s0, s1, s0
	s_barrier_wait -1
	s_wait_alu 0xfffe
	s_ashr_i32 s1, s0, 4
	global_inv scope:SCOPE_SE
	s_wait_alu 0xfffe
	s_or_b32 s0, s1, s0
	s_wait_alu 0xfffe
	s_ashr_i32 s1, s0, 8
	s_wait_alu 0xfffe
	s_or_b32 s0, s1, s0
	s_wait_alu 0xfffe
	s_ashr_i32 s1, s0, 16
	s_wait_alu 0xfffe
	s_or_b32 s1, s1, s0
	s_mov_b32 s0, -1
	s_wait_alu 0xfffe
	s_add_co_i32 s1, s1, 1
	s_wait_alu 0xfffe
	s_ashr_i32 s2, s1, 1
	s_wait_alu 0xfffe
	s_cmp_gt_i32 s2, 1
	s_cbranch_scc1 .LBB59_120
; %bb.112:
	s_mov_b32 s0, exec_lo
	v_cmpx_gt_i64_e64 s[18:19], v[6:7]
	s_cbranch_execz .LBB59_119
; %bb.113:
	s_sub_co_i32 s1, s12, s18
	v_dual_mov_b32 v9, v7 :: v_dual_mov_b32 v8, v6
	s_lshl_b32 s7, s4, 2
	s_wait_alu 0xfffe
	s_lshl_b32 s1, s1, 2
	s_mov_b32 s3, 0
	s_wait_alu 0xfffe
	s_addk_co_i32 s1, 0x1000
	s_sub_co_i32 s7, 0, s7
	s_branch .LBB59_115
.LBB59_114:                             ;   in Loop: Header=BB59_115 Depth=1
	s_wait_alu 0xfffe
	s_or_b32 exec_lo, exec_lo, s11
	v_lshl_add_u32 v2, v8, 2, s1
	ds_load_b32 v4, v2
	v_lshlrev_b64_e32 v[2:3], 2, v[8:9]
	s_delay_alu instid0(VALU_DEP_1) | instskip(SKIP_1) | instid1(VALU_DEP_2)
	v_add_co_u32 v2, vcc_lo, s20, v2
	s_wait_alu 0xfffd
	v_add_co_ci_u32_e64 v3, null, s21, v3, vcc_lo
	v_add_co_u32 v8, vcc_lo, v8, s6
	s_wait_alu 0xfffd
	v_add_co_ci_u32_e64 v9, null, 0, v9, vcc_lo
	s_delay_alu instid0(VALU_DEP_1)
	v_cmp_le_i64_e32 vcc_lo, s[18:19], v[8:9]
	s_wait_dscnt 0x0
	v_add_f32_e32 v4, v12, v4
	s_or_b32 s3, vcc_lo, s3
	global_atomic_add_f32 v[2:3], v4, off scope:SCOPE_DEV
	s_wait_alu 0xfffe
	s_and_not1_b32 exec_lo, exec_lo, s3
	s_cbranch_execz .LBB59_119
.LBB59_115:                             ; =>This Loop Header: Depth=1
                                        ;     Child Loop BB59_117 Depth 2
	v_lshlrev_b64_e32 v[2:3], 3, v[8:9]
	v_mov_b32_e32 v12, 0
	s_mov_b32 s11, exec_lo
	s_delay_alu instid0(VALU_DEP_2) | instskip(SKIP_1) | instid1(VALU_DEP_3)
	v_add_co_u32 v2, vcc_lo, s8, v2
	s_wait_alu 0xfffd
	v_add_co_ci_u32_e64 v3, null, s9, v3, vcc_lo
	global_load_b128 v[2:5], v[2:3], off
	s_wait_loadcnt 0x0
	v_cmpx_lt_i64_e64 v[2:3], v[4:5]
	s_cbranch_execz .LBB59_114
; %bb.116:                              ;   in Loop: Header=BB59_115 Depth=1
	v_sub_co_u32 v4, vcc_lo, v4, s4
	s_wait_alu 0xfffd
	v_subrev_co_ci_u32_e64 v5, null, s5, v5, vcc_lo
	v_sub_co_u32 v10, vcc_lo, v2, s4
	s_wait_alu 0xfffd
	v_subrev_co_ci_u32_e64 v11, null, s5, v3, vcc_lo
	s_wait_alu 0xfffe
	v_lshl_add_u32 v2, v2, 2, s7
	v_mov_b32_e32 v12, 0
	s_mov_b32 s12, 0
.LBB59_117:                             ;   Parent Loop BB59_115 Depth=1
                                        ; =>  This Inner Loop Header: Depth=2
	ds_load_b32 v3, v2
	v_add_co_u32 v10, vcc_lo, v10, 1
	s_wait_alu 0xfffd
	v_add_co_ci_u32_e64 v11, null, 0, v11, vcc_lo
	v_add_nc_u32_e32 v2, 4, v2
	s_delay_alu instid0(VALU_DEP_2)
	v_cmp_ge_i64_e32 vcc_lo, v[10:11], v[4:5]
	s_wait_alu 0xfffe
	s_or_b32 s12, vcc_lo, s12
	s_wait_dscnt 0x0
	v_add_f32_e32 v12, v12, v3
	s_wait_alu 0xfffe
	s_and_not1_b32 exec_lo, exec_lo, s12
	s_cbranch_execnz .LBB59_117
; %bb.118:                              ;   in Loop: Header=BB59_115 Depth=1
	s_or_b32 exec_lo, exec_lo, s12
	s_branch .LBB59_114
.LBB59_119:
	s_wait_alu 0xfffe
	s_or_b32 exec_lo, exec_lo, s0
	s_mov_b32 s0, 0
.LBB59_120:
	s_wait_alu 0xfffe
	s_and_not1_b32 vcc_lo, exec_lo, s0
	s_wait_alu 0xfffe
	s_cbranch_vccnz .LBB59_137
; %bb.121:
	s_cvt_f32_u32 s0, s2
	s_sub_co_i32 s1, 0, s2
	s_wait_alu 0xfffe
	s_delay_alu instid0(SALU_CYCLE_1) | instskip(NEXT) | instid1(TRANS32_DEP_1)
	v_rcp_iflag_f32_e32 v2, s0
	v_readfirstlane_b32 s0, v2
	s_mul_f32 s0, s0, 0x4f7ffffe
	s_wait_alu 0xfffe
	s_delay_alu instid0(SALU_CYCLE_2) | instskip(SKIP_1) | instid1(SALU_CYCLE_2)
	s_cvt_u32_f32 s0, s0
	s_wait_alu 0xfffe
	s_mul_i32 s3, s1, s0
	s_wait_alu 0xfffe
	s_mul_hi_u32 s3, s0, s3
	s_wait_alu 0xfffe
	s_add_co_i32 s0, s0, s3
	s_mov_b32 s3, 0
	s_wait_alu 0xfffe
	v_mul_hi_u32 v2, v0, s0
	s_mov_b32 s0, exec_lo
	s_delay_alu instid0(VALU_DEP_1) | instskip(NEXT) | instid1(VALU_DEP_1)
	v_mul_lo_u32 v3, v2, s2
	v_sub_nc_u32_e32 v3, v0, v3
	s_delay_alu instid0(VALU_DEP_1) | instskip(SKIP_2) | instid1(VALU_DEP_2)
	v_subrev_nc_u32_e32 v5, s2, v3
	v_cmp_le_u32_e32 vcc_lo, s2, v3
	s_wait_alu 0xfffd
	v_dual_cndmask_b32 v3, v3, v5 :: v_dual_add_nc_u32 v4, 1, v2
	s_delay_alu instid0(VALU_DEP_1) | instskip(NEXT) | instid1(VALU_DEP_2)
	v_dual_cndmask_b32 v2, v2, v4 :: v_dual_mov_b32 v5, 0
	v_cmp_le_u32_e32 vcc_lo, s2, v3
	s_delay_alu instid0(VALU_DEP_2) | instskip(SKIP_1) | instid1(VALU_DEP_1)
	v_add_nc_u32_e32 v4, 1, v2
	s_wait_alu 0xfffd
	v_cndmask_b32_e32 v4, v2, v4, vcc_lo
	s_delay_alu instid0(VALU_DEP_1) | instskip(NEXT) | instid1(VALU_DEP_1)
	v_lshlrev_b64_e32 v[2:3], 3, v[4:5]
	v_add_co_u32 v2, vcc_lo, s26, v2
	s_wait_alu 0xfffd
	s_delay_alu instid0(VALU_DEP_2)
	v_add_co_ci_u32_e64 v3, null, s27, v3, vcc_lo
	global_load_b128 v[8:11], v[2:3], off
	s_wait_loadcnt 0x0
	v_sub_co_u32 v2, vcc_lo, v8, s4
	s_wait_alu 0xfffd
	v_subrev_co_ci_u32_e64 v3, null, s5, v9, vcc_lo
	v_sub_co_u32 v12, vcc_lo, v10, s4
	s_wait_alu 0xfffd
	v_subrev_co_ci_u32_e64 v13, null, s5, v11, vcc_lo
	v_mov_b32_e32 v8, v5
	s_delay_alu instid0(VALU_DEP_3) | instskip(SKIP_1) | instid1(VALU_DEP_3)
	v_sub_co_u32 v14, vcc_lo, v12, v2
	s_wait_alu 0xfffd
	v_sub_co_ci_u32_e64 v9, null, v13, v3, vcc_lo
                                        ; implicit-def: $vgpr10_vgpr11
	s_delay_alu instid0(VALU_DEP_1)
	v_cmpx_ne_u64_e32 0, v[8:9]
	s_wait_alu 0xfffe
	s_xor_b32 s6, exec_lo, s0
	s_cbranch_execz .LBB59_123
; %bb.122:
	s_add_nc_u64 s[4:5], s[2:3], 0
	s_mov_b32 s15, s3
	s_wait_alu 0xfffe
	s_xor_b64 s[4:5], s[4:5], 0
	s_mov_b32 s19, s3
	s_wait_alu 0xfffe
	s_cvt_f32_u32 s0, s4
	s_cvt_f32_u32 s7, s5
	s_sub_nc_u64 s[12:13], 0, s[4:5]
	v_ashrrev_i32_e32 v17, 31, v9
	s_wait_alu 0xfffe
	s_fmamk_f32 s0, s7, 0x4f800000, s0
	s_delay_alu instid0(VALU_DEP_1) | instskip(SKIP_1) | instid1(SALU_CYCLE_1)
	v_add_co_u32 v8, vcc_lo, v14, v17
	s_wait_alu 0xfffe
	v_s_rcp_f32 s0, s0
	s_wait_alu 0xfffd
	v_add_co_ci_u32_e64 v9, null, v9, v17, vcc_lo
	v_xor_b32_e32 v18, v8, v17
	s_delay_alu instid0(VALU_DEP_2) | instskip(NEXT) | instid1(TRANS32_DEP_1)
	v_xor_b32_e32 v19, v9, v17
	s_mul_f32 s0, s0, 0x5f7ffffc
	s_wait_alu 0xfffe
	s_delay_alu instid0(SALU_CYCLE_2) | instskip(SKIP_1) | instid1(SALU_CYCLE_2)
	s_mul_f32 s7, s0, 0x2f800000
	s_wait_alu 0xfffe
	s_trunc_f32 s7, s7
	s_wait_alu 0xfffe
	s_delay_alu instid0(SALU_CYCLE_2) | instskip(SKIP_2) | instid1(SALU_CYCLE_1)
	s_fmamk_f32 s0, s7, 0xcf800000, s0
	s_cvt_u32_f32 s9, s7
	s_wait_alu 0xfffe
	s_cvt_u32_f32 s8, s0
	s_wait_alu 0xfffe
	s_delay_alu instid0(SALU_CYCLE_2)
	s_mul_u64 s[16:17], s[12:13], s[8:9]
	s_wait_alu 0xfffe
	s_mul_hi_u32 s25, s8, s17
	s_mul_i32 s24, s8, s17
	s_mul_hi_u32 s14, s8, s16
	s_mul_i32 s7, s9, s16
	s_wait_alu 0xfffe
	s_add_nc_u64 s[14:15], s[14:15], s[24:25]
	s_mul_hi_u32 s0, s9, s16
	s_mul_hi_u32 s11, s9, s17
	s_wait_alu 0xfffe
	s_add_co_u32 s7, s14, s7
	s_add_co_ci_u32 s18, s15, s0
	s_mul_i32 s16, s9, s17
	s_add_co_ci_u32 s17, s11, 0
	s_wait_alu 0xfffe
	s_add_nc_u64 s[14:15], s[18:19], s[16:17]
	s_mov_b32 s17, s3
	s_wait_alu 0xfffe
	s_add_co_u32 s8, s8, s14
	s_cselect_b32 s0, -1, 0
	s_wait_alu 0xfffe
	s_cmp_lg_u32 s0, 0
	s_add_co_ci_u32 s9, s9, s15
	s_mov_b32 s15, s3
	s_wait_alu 0xfffe
	s_mul_u64 s[12:13], s[12:13], s[8:9]
	s_wait_alu 0xfffe
	s_mul_hi_u32 s19, s8, s13
	s_mul_i32 s18, s8, s13
	s_mul_hi_u32 s16, s8, s12
	s_mul_i32 s3, s9, s12
	s_wait_alu 0xfffe
	s_add_nc_u64 s[16:17], s[16:17], s[18:19]
	s_mul_hi_u32 s0, s9, s12
	s_mul_hi_u32 s7, s9, s13
	s_wait_alu 0xfffe
	s_add_co_u32 s3, s16, s3
	s_add_co_ci_u32 s14, s17, s0
	s_mul_i32 s12, s9, s13
	s_add_co_ci_u32 s13, s7, 0
	s_wait_alu 0xfffe
	s_add_nc_u64 s[12:13], s[14:15], s[12:13]
	s_wait_alu 0xfffe
	s_add_co_u32 s0, s8, s12
	s_cselect_b32 s3, -1, 0
	s_wait_alu 0xfffe
	v_mul_hi_u32 v20, v18, s0
	s_cmp_lg_u32 s3, 0
	v_mad_co_u64_u32 v[10:11], null, v19, s0, 0
	s_add_co_ci_u32 s3, s9, s13
	s_wait_alu 0xfffe
	v_mad_co_u64_u32 v[8:9], null, v18, s3, 0
	v_mad_co_u64_u32 v[14:15], null, v19, s3, 0
	s_delay_alu instid0(VALU_DEP_2) | instskip(SKIP_1) | instid1(VALU_DEP_3)
	v_add_co_u32 v8, vcc_lo, v20, v8
	s_wait_alu 0xfffd
	v_add_co_ci_u32_e64 v9, null, 0, v9, vcc_lo
	s_delay_alu instid0(VALU_DEP_2) | instskip(SKIP_1) | instid1(VALU_DEP_2)
	v_add_co_u32 v8, vcc_lo, v8, v10
	s_wait_alu 0xfffd
	v_add_co_ci_u32_e32 v8, vcc_lo, v9, v11, vcc_lo
	s_wait_alu 0xfffd
	v_add_co_ci_u32_e32 v9, vcc_lo, 0, v15, vcc_lo
	s_delay_alu instid0(VALU_DEP_2) | instskip(SKIP_1) | instid1(VALU_DEP_2)
	v_add_co_u32 v10, vcc_lo, v8, v14
	s_wait_alu 0xfffd
	v_add_co_ci_u32_e64 v11, null, 0, v9, vcc_lo
	s_delay_alu instid0(VALU_DEP_2) | instskip(SKIP_1) | instid1(VALU_DEP_3)
	v_mul_lo_u32 v14, s5, v10
	v_mad_co_u64_u32 v[8:9], null, s4, v10, 0
	v_mul_lo_u32 v15, s4, v11
	s_delay_alu instid0(VALU_DEP_2) | instskip(NEXT) | instid1(VALU_DEP_2)
	v_sub_co_u32 v8, vcc_lo, v18, v8
	v_add3_u32 v9, v9, v15, v14
	v_add_co_u32 v15, s0, v10, 2
	s_wait_alu 0xf1ff
	v_add_co_ci_u32_e64 v18, null, 0, v11, s0
	s_delay_alu instid0(VALU_DEP_3) | instskip(SKIP_3) | instid1(VALU_DEP_3)
	v_sub_nc_u32_e32 v14, v19, v9
	v_sub_co_u32 v20, s0, v8, s4
	s_wait_alu 0xfffd
	v_sub_co_ci_u32_e64 v9, null, v19, v9, vcc_lo
	v_subrev_co_ci_u32_e64 v14, null, s5, v14, vcc_lo
	s_delay_alu instid0(VALU_DEP_3) | instskip(SKIP_1) | instid1(VALU_DEP_2)
	v_cmp_le_u32_e32 vcc_lo, s4, v20
	s_wait_alu 0xf1ff
	v_subrev_co_ci_u32_e64 v14, null, 0, v14, s0
	s_wait_alu 0xfffd
	v_cndmask_b32_e64 v19, 0, -1, vcc_lo
	v_cmp_eq_u32_e64 s0, s5, v9
	s_delay_alu instid0(VALU_DEP_3)
	v_cmp_le_u32_e32 vcc_lo, s5, v14
	s_wait_alu 0xfffd
	v_cndmask_b32_e64 v20, 0, -1, vcc_lo
	v_cmp_le_u32_e32 vcc_lo, s4, v8
	s_wait_alu 0xfffd
	v_cndmask_b32_e64 v8, 0, -1, vcc_lo
	;; [unrolled: 3-line block ×3, first 2 shown]
	v_cmp_eq_u32_e32 vcc_lo, s5, v14
	s_wait_alu 0xf1ff
	s_delay_alu instid0(VALU_DEP_2)
	v_cndmask_b32_e64 v8, v21, v8, s0
	s_wait_alu 0xfffd
	v_cndmask_b32_e32 v14, v20, v19, vcc_lo
	v_add_co_u32 v19, vcc_lo, v10, 1
	s_wait_alu 0xfffd
	v_add_co_ci_u32_e64 v20, null, 0, v11, vcc_lo
	s_delay_alu instid0(VALU_DEP_3) | instskip(SKIP_1) | instid1(VALU_DEP_2)
	v_cmp_ne_u32_e32 vcc_lo, 0, v14
	s_wait_alu 0xfffd
	v_dual_cndmask_b32 v9, v20, v18 :: v_dual_cndmask_b32 v14, v19, v15
	v_cmp_ne_u32_e32 vcc_lo, 0, v8
	s_wait_alu 0xfffd
	s_delay_alu instid0(VALU_DEP_2) | instskip(NEXT) | instid1(VALU_DEP_1)
	v_dual_cndmask_b32 v8, v11, v9 :: v_dual_cndmask_b32 v9, v10, v14
                                        ; implicit-def: $vgpr14
	v_xor_b32_e32 v8, v8, v17
	s_delay_alu instid0(VALU_DEP_2) | instskip(NEXT) | instid1(VALU_DEP_1)
	v_xor_b32_e32 v9, v9, v17
	v_sub_co_u32 v10, vcc_lo, v9, v17
	s_wait_alu 0xfffd
	s_delay_alu instid0(VALU_DEP_3)
	v_sub_co_ci_u32_e64 v11, null, v8, v17, vcc_lo
.LBB59_123:
	s_wait_alu 0xfffe
	s_and_not1_saveexec_b32 s0, s6
	s_cbranch_execz .LBB59_125
; %bb.124:
	v_cvt_f32_u32_e32 v8, s2
	s_delay_alu instid0(VALU_DEP_1) | instskip(NEXT) | instid1(TRANS32_DEP_1)
	v_rcp_iflag_f32_e32 v8, v8
	v_mul_f32_e32 v8, 0x4f7ffffe, v8
	s_delay_alu instid0(VALU_DEP_1) | instskip(NEXT) | instid1(VALU_DEP_1)
	v_cvt_u32_f32_e32 v8, v8
	v_mul_lo_u32 v9, s1, v8
	s_delay_alu instid0(VALU_DEP_1) | instskip(NEXT) | instid1(VALU_DEP_1)
	v_mul_hi_u32 v9, v8, v9
	v_add_nc_u32_e32 v8, v8, v9
	s_delay_alu instid0(VALU_DEP_1) | instskip(NEXT) | instid1(VALU_DEP_1)
	v_mul_hi_u32 v8, v14, v8
	v_mul_lo_u32 v9, v8, s2
	v_add_nc_u32_e32 v10, 1, v8
	s_delay_alu instid0(VALU_DEP_2) | instskip(NEXT) | instid1(VALU_DEP_1)
	v_sub_nc_u32_e32 v9, v14, v9
	v_subrev_nc_u32_e32 v11, s2, v9
	v_cmp_le_u32_e32 vcc_lo, s2, v9
	s_wait_alu 0xfffd
	s_delay_alu instid0(VALU_DEP_2) | instskip(SKIP_1) | instid1(VALU_DEP_2)
	v_dual_cndmask_b32 v9, v9, v11 :: v_dual_cndmask_b32 v8, v8, v10
	v_mov_b32_e32 v11, 0
	v_cmp_le_u32_e32 vcc_lo, s2, v9
	s_delay_alu instid0(VALU_DEP_3) | instskip(SKIP_1) | instid1(VALU_DEP_1)
	v_add_nc_u32_e32 v10, 1, v8
	s_wait_alu 0xfffd
	v_cndmask_b32_e32 v10, v8, v10, vcc_lo
.LBB59_125:
	s_wait_alu 0xfffe
	s_or_b32 exec_lo, exec_lo, s0
	v_mov_b32_e32 v14, 0
	s_mov_b32 s0, exec_lo
	v_cmpx_gt_i64_e64 s[22:23], v[4:5]
	s_cbranch_execz .LBB59_133
; %bb.126:
	s_add_co_i32 s1, s2, -1
	s_wait_alu 0xfffe
	v_and_b32_e32 v4, s1, v0
	v_mov_b32_e32 v14, 0
	s_mov_b32 s1, exec_lo
	s_delay_alu instid0(VALU_DEP_2)
	v_lshlrev_b32_e32 v15, 2, v4
	v_cmpx_lt_i64_e32 0, v[10:11]
	s_cbranch_execz .LBB59_130
; %bb.127:
	v_mov_b32_e32 v8, v10
	s_delay_alu instid0(VALU_DEP_3)
	v_lshl_add_u32 v5, v2, 2, v15
	v_dual_mov_b32 v14, 0 :: v_dual_mov_b32 v9, v11
	s_lshl_b32 s4, s2, 2
	s_mov_b32 s3, 0
.LBB59_128:                             ; =>This Inner Loop Header: Depth=1
	ds_load_b32 v17, v5
	v_add_co_u32 v8, vcc_lo, v8, -1
	s_wait_alu 0xfffd
	v_add_co_ci_u32_e64 v9, null, -1, v9, vcc_lo
	s_wait_alu 0xfffe
	v_add_nc_u32_e32 v5, s4, v5
	s_delay_alu instid0(VALU_DEP_2)
	v_cmp_eq_u64_e32 vcc_lo, 0, v[8:9]
	s_or_b32 s3, vcc_lo, s3
	s_wait_dscnt 0x0
	v_add_f32_e32 v14, v14, v17
	s_wait_alu 0xfffe
	s_and_not1_b32 exec_lo, exec_lo, s3
	s_cbranch_execnz .LBB59_128
; %bb.129:
	s_or_b32 exec_lo, exec_lo, s3
.LBB59_130:
	s_wait_alu 0xfffe
	s_or_b32 exec_lo, exec_lo, s1
	v_mad_co_u64_u32 v[2:3], null, v10, s2, v[2:3]
	v_mov_b32_e32 v5, 0
	s_mov_b32 s1, exec_lo
	s_delay_alu instid0(VALU_DEP_2) | instskip(NEXT) | instid1(VALU_DEP_3)
	v_mad_co_u64_u32 v[8:9], null, v11, s2, v[3:4]
	v_sub_co_u32 v9, vcc_lo, v12, v2
	s_wait_alu 0xfffd
	s_delay_alu instid0(VALU_DEP_2) | instskip(NEXT) | instid1(VALU_DEP_1)
	v_sub_co_ci_u32_e64 v10, null, v13, v8, vcc_lo
	v_cmpx_gt_i64_e64 v[9:10], v[4:5]
	s_cbranch_execz .LBB59_132
; %bb.131:
	v_lshl_add_u32 v2, v2, 2, v15
	ds_load_b32 v2, v2
	s_wait_dscnt 0x0
	v_add_f32_e32 v14, v14, v2
.LBB59_132:
	s_wait_alu 0xfffe
	s_or_b32 exec_lo, exec_lo, s1
.LBB59_133:
	s_wait_alu 0xfffe
	s_or_b32 exec_lo, exec_lo, s0
	s_wait_storecnt 0x0
	s_barrier_signal -1
	s_barrier_wait -1
	global_inv scope:SCOPE_SE
	ds_store_b32 v16, v14
	s_wait_loadcnt_dscnt 0x0
	s_barrier_signal -1
	s_barrier_wait -1
	global_inv scope:SCOPE_SE
	s_mov_b32 s0, exec_lo
	v_cmpx_gt_i64_e64 s[22:23], v[0:1]
	s_cbranch_execz .LBB59_137
; %bb.134:
	v_mul_lo_u32 v1, s2, v0
	s_delay_alu instid0(VALU_DEP_1)
	v_dual_mov_b32 v1, 0 :: v_dual_lshlrev_b32 v2, 2, v1
.LBB59_135:                             ; =>This Inner Loop Header: Depth=1
	ds_load_b32 v3, v2
	v_add_nc_u32_e32 v2, 4, v2
	s_add_co_i32 s2, s2, -1
	s_wait_alu 0xfffe
	s_cmp_eq_u32 s2, 0
	s_wait_dscnt 0x0
	v_add_f32_e32 v1, v1, v3
	s_cbranch_scc0 .LBB59_135
; %bb.136:
	v_lshlrev_b32_e32 v0, 2, v0
	s_lshl_b32 s0, s10, 2
	v_lshlrev_b64_e32 v[2:3], 2, v[6:7]
	s_wait_alu 0xfffe
	s_delay_alu instid0(VALU_DEP_2)
	v_add3_u32 v0, 0x1000, s0, v0
	ds_load_b32 v0, v0
	s_wait_dscnt 0x0
	v_add_f32_e32 v4, v1, v0
	v_add_co_u32 v0, vcc_lo, s20, v2
	s_wait_alu 0xfffd
	v_add_co_ci_u32_e64 v1, null, s21, v3, vcc_lo
	global_atomic_add_f32 v[0:1], v4, off scope:SCOPE_DEV
.LBB59_137:
	s_endpgm
	.section	.rodata,"a",@progbits
	.p2align	6, 0x0
	.amdhsa_kernel _ZN9rocsparseL27csrmvn_symm_adaptive_kernelIliaaffEEvbT_S1_PKS1_NS_24const_host_device_scalarIT4_EES3_PKT0_PKT1_PKT2_S6_PT3_21rocsparse_index_base_b
		.amdhsa_group_segment_fixed_size 4096
		.amdhsa_private_segment_fixed_size 0
		.amdhsa_kernarg_size 352
		.amdhsa_user_sgpr_count 2
		.amdhsa_user_sgpr_dispatch_ptr 0
		.amdhsa_user_sgpr_queue_ptr 0
		.amdhsa_user_sgpr_kernarg_segment_ptr 1
		.amdhsa_user_sgpr_dispatch_id 0
		.amdhsa_user_sgpr_private_segment_size 0
		.amdhsa_wavefront_size32 1
		.amdhsa_uses_dynamic_stack 0
		.amdhsa_enable_private_segment 0
		.amdhsa_system_sgpr_workgroup_id_x 1
		.amdhsa_system_sgpr_workgroup_id_y 0
		.amdhsa_system_sgpr_workgroup_id_z 0
		.amdhsa_system_sgpr_workgroup_info 0
		.amdhsa_system_vgpr_workitem_id 0
		.amdhsa_next_free_vgpr 22
		.amdhsa_next_free_sgpr 42
		.amdhsa_reserve_vcc 1
		.amdhsa_float_round_mode_32 0
		.amdhsa_float_round_mode_16_64 0
		.amdhsa_float_denorm_mode_32 3
		.amdhsa_float_denorm_mode_16_64 3
		.amdhsa_fp16_overflow 0
		.amdhsa_workgroup_processor_mode 1
		.amdhsa_memory_ordered 1
		.amdhsa_forward_progress 1
		.amdhsa_inst_pref_size 76
		.amdhsa_round_robin_scheduling 0
		.amdhsa_exception_fp_ieee_invalid_op 0
		.amdhsa_exception_fp_denorm_src 0
		.amdhsa_exception_fp_ieee_div_zero 0
		.amdhsa_exception_fp_ieee_overflow 0
		.amdhsa_exception_fp_ieee_underflow 0
		.amdhsa_exception_fp_ieee_inexact 0
		.amdhsa_exception_int_div_zero 0
	.end_amdhsa_kernel
	.section	.text._ZN9rocsparseL27csrmvn_symm_adaptive_kernelIliaaffEEvbT_S1_PKS1_NS_24const_host_device_scalarIT4_EES3_PKT0_PKT1_PKT2_S6_PT3_21rocsparse_index_base_b,"axG",@progbits,_ZN9rocsparseL27csrmvn_symm_adaptive_kernelIliaaffEEvbT_S1_PKS1_NS_24const_host_device_scalarIT4_EES3_PKT0_PKT1_PKT2_S6_PT3_21rocsparse_index_base_b,comdat
.Lfunc_end59:
	.size	_ZN9rocsparseL27csrmvn_symm_adaptive_kernelIliaaffEEvbT_S1_PKS1_NS_24const_host_device_scalarIT4_EES3_PKT0_PKT1_PKT2_S6_PT3_21rocsparse_index_base_b, .Lfunc_end59-_ZN9rocsparseL27csrmvn_symm_adaptive_kernelIliaaffEEvbT_S1_PKS1_NS_24const_host_device_scalarIT4_EES3_PKT0_PKT1_PKT2_S6_PT3_21rocsparse_index_base_b
                                        ; -- End function
	.set _ZN9rocsparseL27csrmvn_symm_adaptive_kernelIliaaffEEvbT_S1_PKS1_NS_24const_host_device_scalarIT4_EES3_PKT0_PKT1_PKT2_S6_PT3_21rocsparse_index_base_b.num_vgpr, 22
	.set _ZN9rocsparseL27csrmvn_symm_adaptive_kernelIliaaffEEvbT_S1_PKS1_NS_24const_host_device_scalarIT4_EES3_PKT0_PKT1_PKT2_S6_PT3_21rocsparse_index_base_b.num_agpr, 0
	.set _ZN9rocsparseL27csrmvn_symm_adaptive_kernelIliaaffEEvbT_S1_PKS1_NS_24const_host_device_scalarIT4_EES3_PKT0_PKT1_PKT2_S6_PT3_21rocsparse_index_base_b.numbered_sgpr, 42
	.set _ZN9rocsparseL27csrmvn_symm_adaptive_kernelIliaaffEEvbT_S1_PKS1_NS_24const_host_device_scalarIT4_EES3_PKT0_PKT1_PKT2_S6_PT3_21rocsparse_index_base_b.num_named_barrier, 0
	.set _ZN9rocsparseL27csrmvn_symm_adaptive_kernelIliaaffEEvbT_S1_PKS1_NS_24const_host_device_scalarIT4_EES3_PKT0_PKT1_PKT2_S6_PT3_21rocsparse_index_base_b.private_seg_size, 0
	.set _ZN9rocsparseL27csrmvn_symm_adaptive_kernelIliaaffEEvbT_S1_PKS1_NS_24const_host_device_scalarIT4_EES3_PKT0_PKT1_PKT2_S6_PT3_21rocsparse_index_base_b.uses_vcc, 1
	.set _ZN9rocsparseL27csrmvn_symm_adaptive_kernelIliaaffEEvbT_S1_PKS1_NS_24const_host_device_scalarIT4_EES3_PKT0_PKT1_PKT2_S6_PT3_21rocsparse_index_base_b.uses_flat_scratch, 0
	.set _ZN9rocsparseL27csrmvn_symm_adaptive_kernelIliaaffEEvbT_S1_PKS1_NS_24const_host_device_scalarIT4_EES3_PKT0_PKT1_PKT2_S6_PT3_21rocsparse_index_base_b.has_dyn_sized_stack, 0
	.set _ZN9rocsparseL27csrmvn_symm_adaptive_kernelIliaaffEEvbT_S1_PKS1_NS_24const_host_device_scalarIT4_EES3_PKT0_PKT1_PKT2_S6_PT3_21rocsparse_index_base_b.has_recursion, 0
	.set _ZN9rocsparseL27csrmvn_symm_adaptive_kernelIliaaffEEvbT_S1_PKS1_NS_24const_host_device_scalarIT4_EES3_PKT0_PKT1_PKT2_S6_PT3_21rocsparse_index_base_b.has_indirect_call, 0
	.section	.AMDGPU.csdata,"",@progbits
; Kernel info:
; codeLenInByte = 9616
; TotalNumSgprs: 44
; NumVgprs: 22
; ScratchSize: 0
; MemoryBound: 0
; FloatMode: 240
; IeeeMode: 1
; LDSByteSize: 4096 bytes/workgroup (compile time only)
; SGPRBlocks: 0
; VGPRBlocks: 2
; NumSGPRsForWavesPerEU: 44
; NumVGPRsForWavesPerEU: 22
; Occupancy: 16
; WaveLimiterHint : 1
; COMPUTE_PGM_RSRC2:SCRATCH_EN: 0
; COMPUTE_PGM_RSRC2:USER_SGPR: 2
; COMPUTE_PGM_RSRC2:TRAP_HANDLER: 0
; COMPUTE_PGM_RSRC2:TGID_X_EN: 1
; COMPUTE_PGM_RSRC2:TGID_Y_EN: 0
; COMPUTE_PGM_RSRC2:TGID_Z_EN: 0
; COMPUTE_PGM_RSRC2:TIDIG_COMP_CNT: 0
	.section	.text._ZL33csrmvn_symm_large_adaptive_kernelIliaaffEvbT_PKS0_N9rocsparse24const_host_device_scalarIT4_EES2_PKT0_PKT1_PKT2_S6_PT3_21rocsparse_index_base_b,"axG",@progbits,_ZL33csrmvn_symm_large_adaptive_kernelIliaaffEvbT_PKS0_N9rocsparse24const_host_device_scalarIT4_EES2_PKT0_PKT1_PKT2_S6_PT3_21rocsparse_index_base_b,comdat
	.globl	_ZL33csrmvn_symm_large_adaptive_kernelIliaaffEvbT_PKS0_N9rocsparse24const_host_device_scalarIT4_EES2_PKT0_PKT1_PKT2_S6_PT3_21rocsparse_index_base_b ; -- Begin function _ZL33csrmvn_symm_large_adaptive_kernelIliaaffEvbT_PKS0_N9rocsparse24const_host_device_scalarIT4_EES2_PKT0_PKT1_PKT2_S6_PT3_21rocsparse_index_base_b
	.p2align	8
	.type	_ZL33csrmvn_symm_large_adaptive_kernelIliaaffEvbT_PKS0_N9rocsparse24const_host_device_scalarIT4_EES2_PKT0_PKT1_PKT2_S6_PT3_21rocsparse_index_base_b,@function
_ZL33csrmvn_symm_large_adaptive_kernelIliaaffEvbT_PKS0_N9rocsparse24const_host_device_scalarIT4_EES2_PKT0_PKT1_PKT2_S6_PT3_21rocsparse_index_base_b: ; @_ZL33csrmvn_symm_large_adaptive_kernelIliaaffEvbT_PKS0_N9rocsparse24const_host_device_scalarIT4_EES2_PKT0_PKT1_PKT2_S6_PT3_21rocsparse_index_base_b
; %bb.0:
	s_clause 0x2
	s_load_b64 s[6:7], s[0:1], 0x50
	s_load_b64 s[20:21], s[0:1], 0x18
	;; [unrolled: 1-line block ×3, first 2 shown]
	s_wait_kmcnt 0x0
	s_bitcmp1_b32 s7, 0
	s_cselect_b32 s4, -1, 0
	s_delay_alu instid0(SALU_CYCLE_1)
	s_and_b32 vcc_lo, exec_lo, s4
	s_xor_b32 s4, s4, -1
	s_cbranch_vccnz .LBB60_2
; %bb.1:
	s_load_b32 s20, s[20:21], 0x0
.LBB60_2:
	s_and_not1_b32 vcc_lo, exec_lo, s4
	s_cbranch_vccnz .LBB60_4
; %bb.3:
	s_load_b32 s2, s[2:3], 0x0
.LBB60_4:
	s_wait_kmcnt 0x0
	s_cmp_neq_f32 s20, 0
	s_mov_b32 s7, 0
	s_cselect_b32 s3, -1, 0
	s_cmp_neq_f32 s2, 1.0
	s_cselect_b32 s2, -1, 0
	s_delay_alu instid0(SALU_CYCLE_1) | instskip(NEXT) | instid1(SALU_CYCLE_1)
	s_or_b32 s2, s3, s2
	s_and_not1_b32 vcc_lo, exec_lo, s2
	s_cbranch_vccnz .LBB60_32
; %bb.5:
	s_load_b64 s[4:5], s[0:1], 0x10
	s_mov_b32 s2, ttmp9
	s_ashr_i32 s3, ttmp9, 31
	v_dual_mov_b32 v5, 0 :: v_dual_lshlrev_b32 v4, 2, v0
	s_lshl_b64 s[2:3], s[2:3], 3
	ds_store_2addr_stride64_b32 v4, v5, v5 offset1:4
	ds_store_2addr_stride64_b32 v4, v5, v5 offset0:8 offset1:12
	s_wait_dscnt 0x0
	s_barrier_signal -1
	s_barrier_wait -1
	global_inv scope:SCOPE_SE
	s_wait_kmcnt 0x0
	s_add_nc_u64 s[2:3], s[4:5], s[2:3]
	s_load_b128 s[16:19], s[2:3], 0x0
	s_clause 0x1
	s_load_b256 s[8:15], s[0:1], 0x20
	s_load_b64 s[22:23], s[0:1], 0x48
	v_sub_co_u32 v6, s1, v0, s6
	s_delay_alu instid0(VALU_DEP_1)
	v_sub_co_ci_u32_e64 v7, null, 0, 0, s1
	s_wait_kmcnt 0x0
	v_cmp_ge_i64_e64 s0, s[16:17], s[18:19]
	s_and_b32 vcc_lo, exec_lo, s0
	s_cbranch_vccnz .LBB60_23
; %bb.6:
	v_cmp_gt_u32_e64 s0, 64, v0
	v_cmp_gt_u32_e64 s1, 16, v0
	v_cmp_gt_u32_e64 s2, 4, v0
	v_cmp_eq_u32_e64 s3, 0, v0
	s_mov_b64 s[24:25], s[16:17]
	s_branch .LBB60_8
.LBB60_7:                               ;   in Loop: Header=BB60_8 Depth=1
	s_wait_alu 0xfffe
	s_or_b32 exec_lo, exec_lo, s4
	s_add_nc_u64 s[24:25], s[24:25], 1
	s_wait_alu 0xfffe
	v_cmp_ge_i64_e64 s4, s[24:25], s[18:19]
	s_and_b32 vcc_lo, exec_lo, s4
	s_wait_alu 0xfffe
	s_cbranch_vccnz .LBB60_23
.LBB60_8:                               ; =>This Loop Header: Depth=1
                                        ;     Child Loop BB60_10 Depth 2
	s_lshl_b64 s[4:5], s[24:25], 3
	v_mov_b32_e32 v8, 0
	s_wait_alu 0xfffe
	s_add_nc_u64 s[4:5], s[8:9], s[4:5]
	s_load_b128 s[28:31], s[4:5], 0x0
	s_mov_b32 s5, exec_lo
	s_wait_kmcnt 0x0
	v_add_co_u32 v0, vcc_lo, s28, v6
	s_wait_alu 0xfffd
	v_add_co_ci_u32_e64 v1, null, s29, v7, vcc_lo
	s_sub_nc_u64 s[26:27], s[30:31], s[6:7]
	s_wait_alu 0xfffe
	v_cmpx_gt_i64_e64 s[26:27], v[0:1]
	s_cbranch_execz .LBB60_12
; %bb.9:                                ;   in Loop: Header=BB60_8 Depth=1
	v_lshlrev_b64_e32 v[2:3], 2, v[0:1]
	v_mov_b32_e32 v8, 0
	s_mov_b32 s21, 0
	s_delay_alu instid0(VALU_DEP_2) | instskip(SKIP_1) | instid1(VALU_DEP_3)
	v_add_co_u32 v2, vcc_lo, s10, v2
	s_wait_alu 0xfffd
	v_add_co_ci_u32_e64 v3, null, s11, v3, vcc_lo
.LBB60_10:                              ;   Parent Loop BB60_8 Depth=1
                                        ; =>  This Inner Loop Header: Depth=2
	global_load_b32 v9, v[2:3], off
	v_add_co_u32 v2, s4, 0x400, v2
	s_wait_alu 0xf1ff
	v_add_co_ci_u32_e64 v3, null, 0, v3, s4
	s_wait_loadcnt 0x0
	v_subrev_nc_u32_e32 v11, s6, v9
	v_add_co_u32 v9, vcc_lo, s12, v0
	s_wait_alu 0xfffd
	v_add_co_ci_u32_e64 v10, null, s13, v1, vcc_lo
	s_delay_alu instid0(VALU_DEP_3) | instskip(SKIP_2) | instid1(VALU_DEP_2)
	v_ashrrev_i32_e32 v12, 31, v11
	v_add_co_u32 v11, vcc_lo, s14, v11
	s_wait_alu 0xfffd
	v_add_co_ci_u32_e64 v12, null, s15, v12, vcc_lo
	v_add_co_u32 v0, vcc_lo, 0x100, v0
	global_load_i8 v9, v[9:10], off
	global_load_i8 v10, v[11:12], off
	s_wait_alu 0xfffd
	v_add_co_ci_u32_e64 v1, null, 0, v1, vcc_lo
	s_delay_alu instid0(VALU_DEP_1)
	v_cmp_le_i64_e32 vcc_lo, s[26:27], v[0:1]
	s_wait_alu 0xfffe
	s_or_b32 s21, vcc_lo, s21
	s_wait_loadcnt 0x1
	v_cvt_f32_i32_e32 v9, v9
	s_wait_loadcnt 0x0
	v_cvt_f32_i32_e32 v10, v10
	s_delay_alu instid0(VALU_DEP_1)
	v_fmac_f32_e32 v8, v9, v10
	s_wait_alu 0xfffe
	s_and_not1_b32 exec_lo, exec_lo, s21
	s_cbranch_execnz .LBB60_10
; %bb.11:                               ;   in Loop: Header=BB60_8 Depth=1
	s_or_b32 exec_lo, exec_lo, s21
.LBB60_12:                              ;   in Loop: Header=BB60_8 Depth=1
	s_delay_alu instid0(SALU_CYCLE_1)
	s_or_b32 exec_lo, exec_lo, s5
	ds_store_b32 v4, v8
	s_wait_loadcnt_dscnt 0x0
	s_barrier_signal -1
	s_barrier_wait -1
	global_inv scope:SCOPE_SE
	ds_load_2addr_stride64_b32 v[0:1], v4 offset1:4
	ds_load_2addr_stride64_b32 v[2:3], v4 offset0:8 offset1:12
	s_wait_dscnt 0x0
	v_add_f32_e32 v1, v1, v2
	s_delay_alu instid0(VALU_DEP_1) | instskip(NEXT) | instid1(VALU_DEP_1)
	v_add_f32_e32 v1, v1, v3
	v_add_f32_e32 v0, v0, v1
	ds_store_b32 v4, v0
	s_wait_loadcnt_dscnt 0x0
	s_barrier_signal -1
	s_barrier_wait -1
	global_inv scope:SCOPE_SE
	s_and_saveexec_b32 s4, s0
	s_cbranch_execz .LBB60_14
; %bb.13:                               ;   in Loop: Header=BB60_8 Depth=1
	ds_load_2addr_stride64_b32 v[0:1], v4 offset1:1
	ds_load_2addr_stride64_b32 v[2:3], v4 offset0:2 offset1:3
	s_wait_dscnt 0x0
	v_add_f32_e32 v1, v1, v2
	s_delay_alu instid0(VALU_DEP_1) | instskip(NEXT) | instid1(VALU_DEP_1)
	v_add_f32_e32 v1, v1, v3
	v_add_f32_e32 v0, v0, v1
	ds_store_b32 v4, v0
.LBB60_14:                              ;   in Loop: Header=BB60_8 Depth=1
	s_wait_alu 0xfffe
	s_or_b32 exec_lo, exec_lo, s4
	s_wait_loadcnt_dscnt 0x0
	s_barrier_signal -1
	s_barrier_wait -1
	global_inv scope:SCOPE_SE
	s_and_saveexec_b32 s4, s1
	s_cbranch_execz .LBB60_16
; %bb.15:                               ;   in Loop: Header=BB60_8 Depth=1
	ds_load_2addr_b32 v[0:1], v4 offset1:16
	ds_load_2addr_b32 v[2:3], v4 offset0:32 offset1:48
	s_wait_dscnt 0x0
	v_add_f32_e32 v1, v1, v2
	s_delay_alu instid0(VALU_DEP_1) | instskip(NEXT) | instid1(VALU_DEP_1)
	v_add_f32_e32 v1, v1, v3
	v_add_f32_e32 v0, v0, v1
	ds_store_b32 v4, v0
.LBB60_16:                              ;   in Loop: Header=BB60_8 Depth=1
	s_wait_alu 0xfffe
	s_or_b32 exec_lo, exec_lo, s4
	s_wait_loadcnt_dscnt 0x0
	s_barrier_signal -1
	s_barrier_wait -1
	global_inv scope:SCOPE_SE
	s_and_saveexec_b32 s4, s2
	s_cbranch_execz .LBB60_18
; %bb.17:                               ;   in Loop: Header=BB60_8 Depth=1
	ds_load_2addr_b32 v[0:1], v4 offset1:4
	ds_load_2addr_b32 v[2:3], v4 offset0:8 offset1:12
	s_wait_dscnt 0x0
	v_add_f32_e32 v1, v1, v2
	s_delay_alu instid0(VALU_DEP_1) | instskip(NEXT) | instid1(VALU_DEP_1)
	v_add_f32_e32 v1, v1, v3
	v_add_f32_e32 v0, v0, v1
	ds_store_b32 v4, v0
.LBB60_18:                              ;   in Loop: Header=BB60_8 Depth=1
	s_wait_alu 0xfffe
	s_or_b32 exec_lo, exec_lo, s4
	s_wait_loadcnt_dscnt 0x0
	s_barrier_signal -1
	s_barrier_wait -1
	global_inv scope:SCOPE_SE
	s_and_saveexec_b32 s4, s3
	s_cbranch_execz .LBB60_20
; %bb.19:                               ;   in Loop: Header=BB60_8 Depth=1
	ds_load_2addr_b32 v[0:1], v5 offset0:1 offset1:2
	ds_load_b32 v2, v5 offset:12
	ds_load_b32 v3, v4
	s_wait_dscnt 0x2
	v_add_f32_e32 v0, v0, v1
	s_wait_dscnt 0x1
	s_delay_alu instid0(VALU_DEP_1) | instskip(SKIP_1) | instid1(VALU_DEP_1)
	v_add_f32_e32 v0, v0, v2
	s_wait_dscnt 0x0
	v_add_f32_e32 v0, v3, v0
	ds_store_b32 v4, v0
.LBB60_20:                              ;   in Loop: Header=BB60_8 Depth=1
	s_wait_alu 0xfffe
	s_or_b32 exec_lo, exec_lo, s4
	s_wait_loadcnt_dscnt 0x0
	s_barrier_signal -1
	s_barrier_wait -1
	global_inv scope:SCOPE_SE
	s_and_saveexec_b32 s4, s3
	s_cbranch_execz .LBB60_7
; %bb.21:                               ;   in Loop: Header=BB60_8 Depth=1
	s_mov_b32 s5, exec_lo
	s_wait_alu 0xfffe
	v_mbcnt_lo_u32_b32 v0, s5, 0
	s_delay_alu instid0(VALU_DEP_1)
	v_cmp_eq_u32_e32 vcc_lo, 0, v0
	s_and_b32 s21, exec_lo, vcc_lo
	s_wait_alu 0xfffe
	s_mov_b32 exec_lo, s21
	s_cbranch_execz .LBB60_7
; %bb.22:                               ;   in Loop: Header=BB60_8 Depth=1
	ds_load_b32 v0, v5
	s_bcnt1_i32_b32 s5, s5
	s_lshl_b64 s[26:27], s[24:25], 2
	s_wait_alu 0xfffe
	v_cvt_f32_ubyte0_e32 v1, s5
	s_add_nc_u64 s[26:27], s[22:23], s[26:27]
	s_wait_dscnt 0x0
	v_mul_f32_e32 v0, s20, v0
	s_delay_alu instid0(VALU_DEP_1)
	v_mul_f32_e32 v0, v0, v1
	global_atomic_add_f32 v5, v0, s[26:27] scope:SCOPE_DEV
	s_branch .LBB60_7
.LBB60_23:
	s_lshl_b64 s[0:1], s[16:17], 3
	s_lshl_b64 s[2:3], s[18:19], 3
	s_wait_alu 0xfffe
	s_add_nc_u64 s[0:1], s[8:9], s[0:1]
	s_add_nc_u64 s[2:3], s[8:9], s[2:3]
	s_clause 0x1
	s_load_b64 s[0:1], s[0:1], 0x0
	s_load_b64 s[2:3], s[2:3], 0x0
	s_wait_kmcnt 0x0
	v_add_co_u32 v0, vcc_lo, s0, v6
	s_wait_alu 0xfffd
	v_add_co_ci_u32_e64 v1, null, s1, v7, vcc_lo
	s_sub_nc_u64 s[2:3], s[2:3], s[6:7]
	s_mov_b32 s0, exec_lo
	v_cmpx_gt_i64_e64 s[2:3], v[0:1]
	s_cbranch_execz .LBB60_32
; %bb.24:
	s_add_nc_u64 s[4:5], s[18:19], -1
	s_add_nc_u64 s[0:1], s[18:19], -2
	s_wait_alu 0xfffe
	v_cmp_lt_i64_e64 s7, s[16:17], s[4:5]
	s_cmp_lg_u64 s[16:17], s[0:1]
	s_cselect_b32 s0, -1, 0
	s_wait_alu 0xfffe
	s_and_b32 s1, s7, s0
	s_mov_b32 s7, 0
	s_branch .LBB60_26
.LBB60_25:                              ;   in Loop: Header=BB60_26 Depth=1
	s_wait_alu 0xfffe
	s_or_b32 exec_lo, exec_lo, s0
	v_add_co_u32 v0, vcc_lo, 0x100, v0
	s_wait_alu 0xfffd
	v_add_co_ci_u32_e64 v1, null, 0, v1, vcc_lo
	s_delay_alu instid0(VALU_DEP_1)
	v_cmp_le_i64_e32 vcc_lo, s[2:3], v[0:1]
	s_or_b32 s7, vcc_lo, s7
	s_wait_alu 0xfffe
	s_and_not1_b32 exec_lo, exec_lo, s7
	s_cbranch_execz .LBB60_32
.LBB60_26:                              ; =>This Loop Header: Depth=1
                                        ;     Child Loop BB60_28 Depth 2
	v_dual_mov_b32 v2, s16 :: v_dual_mov_b32 v3, s17
	v_dual_mov_b32 v4, s4 :: v_dual_mov_b32 v5, s5
	s_wait_alu 0xfffe
	s_and_not1_b32 vcc_lo, exec_lo, s1
	s_wait_alu 0xfffe
	s_cbranch_vccnz .LBB60_30
; %bb.27:                               ;   in Loop: Header=BB60_26 Depth=1
	v_dual_mov_b32 v2, s16 :: v_dual_mov_b32 v3, s17
	v_dual_mov_b32 v4, s4 :: v_dual_mov_b32 v5, s5
	s_mov_b32 s18, 0
.LBB60_28:                              ;   Parent Loop BB60_26 Depth=1
                                        ; =>  This Inner Loop Header: Depth=2
	s_delay_alu instid0(VALU_DEP_1) | instskip(SKIP_1) | instid1(VALU_DEP_2)
	v_add_co_u32 v6, vcc_lo, v4, v2
	s_wait_alu 0xfffd
	v_add_co_ci_u32_e64 v7, null, v5, v3, vcc_lo
	s_delay_alu instid0(VALU_DEP_1) | instskip(NEXT) | instid1(VALU_DEP_1)
	v_lshrrev_b32_e32 v8, 31, v7
	v_add_co_u32 v6, vcc_lo, v6, v8
	s_wait_alu 0xfffd
	v_add_co_ci_u32_e64 v7, null, 0, v7, vcc_lo
	s_delay_alu instid0(VALU_DEP_1) | instskip(NEXT) | instid1(VALU_DEP_1)
	v_ashrrev_i64 v[6:7], 1, v[6:7]
	v_lshlrev_b64_e32 v[8:9], 3, v[6:7]
	s_delay_alu instid0(VALU_DEP_1) | instskip(SKIP_1) | instid1(VALU_DEP_2)
	v_add_co_u32 v8, vcc_lo, s8, v8
	s_wait_alu 0xfffd
	v_add_co_ci_u32_e64 v9, null, s9, v9, vcc_lo
	global_load_b64 v[8:9], v[8:9], off
	s_wait_loadcnt 0x0
	v_sub_co_u32 v8, vcc_lo, v8, s6
	s_wait_alu 0xfffd
	v_subrev_co_ci_u32_e64 v9, null, 0, v9, vcc_lo
	s_delay_alu instid0(VALU_DEP_1) | instskip(SKIP_3) | instid1(VALU_DEP_2)
	v_cmp_lt_i64_e32 vcc_lo, v[0:1], v[8:9]
	s_wait_alu 0xfffd
	v_dual_cndmask_b32 v5, v5, v7 :: v_dual_cndmask_b32 v4, v4, v6
	v_dual_cndmask_b32 v3, v7, v3 :: v_dual_cndmask_b32 v2, v6, v2
	v_add_co_u32 v6, vcc_lo, v4, -1
	s_wait_alu 0xfffd
	s_delay_alu instid0(VALU_DEP_3) | instskip(NEXT) | instid1(VALU_DEP_3)
	v_add_co_ci_u32_e64 v7, null, -1, v5, vcc_lo
	v_cmp_ge_i64_e32 vcc_lo, v[2:3], v[4:5]
	s_delay_alu instid0(VALU_DEP_2)
	v_cmp_eq_u64_e64 s0, v[2:3], v[6:7]
	s_or_b32 s0, vcc_lo, s0
	s_wait_alu 0xfffe
	s_and_b32 s0, exec_lo, s0
	s_wait_alu 0xfffe
	s_or_b32 s18, s0, s18
	s_wait_alu 0xfffe
	s_and_not1_b32 exec_lo, exec_lo, s18
	s_cbranch_execnz .LBB60_28
; %bb.29:                               ;   in Loop: Header=BB60_26 Depth=1
	s_or_b32 exec_lo, exec_lo, s18
.LBB60_30:                              ;   in Loop: Header=BB60_26 Depth=1
	v_lshlrev_b64_e32 v[6:7], 3, v[4:5]
	v_lshlrev_b64_e32 v[8:9], 2, v[0:1]
	s_mov_b32 s0, exec_lo
	s_delay_alu instid0(VALU_DEP_2) | instskip(SKIP_1) | instid1(VALU_DEP_3)
	v_add_co_u32 v6, vcc_lo, s8, v6
	s_wait_alu 0xfffd
	v_add_co_ci_u32_e64 v7, null, s9, v7, vcc_lo
	s_delay_alu instid0(VALU_DEP_3)
	v_add_co_u32 v8, vcc_lo, s10, v8
	s_wait_alu 0xfffd
	v_add_co_ci_u32_e64 v9, null, s11, v9, vcc_lo
	global_load_b64 v[6:7], v[6:7], off
	global_load_b32 v8, v[8:9], off
	s_wait_loadcnt 0x1
	v_sub_co_u32 v6, vcc_lo, v6, s6
	s_wait_alu 0xfffd
	v_subrev_co_ci_u32_e64 v7, null, 0, v7, vcc_lo
	s_delay_alu instid0(VALU_DEP_1) | instskip(SKIP_2) | instid1(VALU_DEP_1)
	v_cmp_lt_i64_e32 vcc_lo, v[0:1], v[6:7]
	s_wait_loadcnt 0x0
	v_subrev_nc_u32_e32 v6, s6, v8
	v_ashrrev_i32_e32 v7, 31, v6
	s_wait_alu 0xfffd
	v_dual_cndmask_b32 v3, v5, v3 :: v_dual_cndmask_b32 v2, v4, v2
	s_delay_alu instid0(VALU_DEP_1)
	v_cmpx_ne_u64_e64 v[2:3], v[6:7]
	s_cbranch_execz .LBB60_25
; %bb.31:                               ;   in Loop: Header=BB60_26 Depth=1
	v_add_co_u32 v4, vcc_lo, s12, v0
	s_wait_alu 0xfffd
	v_add_co_ci_u32_e64 v5, null, s13, v1, vcc_lo
	v_add_co_u32 v2, vcc_lo, s14, v2
	s_wait_alu 0xfffd
	v_add_co_ci_u32_e64 v3, null, s15, v3, vcc_lo
	global_load_i8 v4, v[4:5], off
	global_load_i8 v5, v[2:3], off
	v_lshlrev_b64_e32 v[2:3], 2, v[6:7]
	s_delay_alu instid0(VALU_DEP_1) | instskip(SKIP_1) | instid1(VALU_DEP_2)
	v_add_co_u32 v2, vcc_lo, s22, v2
	s_wait_alu 0xfffd
	v_add_co_ci_u32_e64 v3, null, s23, v3, vcc_lo
	s_wait_loadcnt 0x1
	v_cvt_f32_i32_e32 v4, v4
	s_wait_loadcnt 0x0
	v_cvt_f32_i32_e32 v5, v5
	s_delay_alu instid0(VALU_DEP_2) | instskip(NEXT) | instid1(VALU_DEP_1)
	v_mul_f32_e32 v4, s20, v4
	v_mul_f32_e32 v4, v4, v5
	global_atomic_add_f32 v[2:3], v4, off scope:SCOPE_DEV
	s_branch .LBB60_25
.LBB60_32:
	s_endpgm
	.section	.rodata,"a",@progbits
	.p2align	6, 0x0
	.amdhsa_kernel _ZL33csrmvn_symm_large_adaptive_kernelIliaaffEvbT_PKS0_N9rocsparse24const_host_device_scalarIT4_EES2_PKT0_PKT1_PKT2_S6_PT3_21rocsparse_index_base_b
		.amdhsa_group_segment_fixed_size 4096
		.amdhsa_private_segment_fixed_size 0
		.amdhsa_kernarg_size 88
		.amdhsa_user_sgpr_count 2
		.amdhsa_user_sgpr_dispatch_ptr 0
		.amdhsa_user_sgpr_queue_ptr 0
		.amdhsa_user_sgpr_kernarg_segment_ptr 1
		.amdhsa_user_sgpr_dispatch_id 0
		.amdhsa_user_sgpr_private_segment_size 0
		.amdhsa_wavefront_size32 1
		.amdhsa_uses_dynamic_stack 0
		.amdhsa_enable_private_segment 0
		.amdhsa_system_sgpr_workgroup_id_x 1
		.amdhsa_system_sgpr_workgroup_id_y 0
		.amdhsa_system_sgpr_workgroup_id_z 0
		.amdhsa_system_sgpr_workgroup_info 0
		.amdhsa_system_vgpr_workitem_id 0
		.amdhsa_next_free_vgpr 13
		.amdhsa_next_free_sgpr 32
		.amdhsa_reserve_vcc 1
		.amdhsa_float_round_mode_32 0
		.amdhsa_float_round_mode_16_64 0
		.amdhsa_float_denorm_mode_32 3
		.amdhsa_float_denorm_mode_16_64 3
		.amdhsa_fp16_overflow 0
		.amdhsa_workgroup_processor_mode 1
		.amdhsa_memory_ordered 1
		.amdhsa_forward_progress 1
		.amdhsa_inst_pref_size 16
		.amdhsa_round_robin_scheduling 0
		.amdhsa_exception_fp_ieee_invalid_op 0
		.amdhsa_exception_fp_denorm_src 0
		.amdhsa_exception_fp_ieee_div_zero 0
		.amdhsa_exception_fp_ieee_overflow 0
		.amdhsa_exception_fp_ieee_underflow 0
		.amdhsa_exception_fp_ieee_inexact 0
		.amdhsa_exception_int_div_zero 0
	.end_amdhsa_kernel
	.section	.text._ZL33csrmvn_symm_large_adaptive_kernelIliaaffEvbT_PKS0_N9rocsparse24const_host_device_scalarIT4_EES2_PKT0_PKT1_PKT2_S6_PT3_21rocsparse_index_base_b,"axG",@progbits,_ZL33csrmvn_symm_large_adaptive_kernelIliaaffEvbT_PKS0_N9rocsparse24const_host_device_scalarIT4_EES2_PKT0_PKT1_PKT2_S6_PT3_21rocsparse_index_base_b,comdat
.Lfunc_end60:
	.size	_ZL33csrmvn_symm_large_adaptive_kernelIliaaffEvbT_PKS0_N9rocsparse24const_host_device_scalarIT4_EES2_PKT0_PKT1_PKT2_S6_PT3_21rocsparse_index_base_b, .Lfunc_end60-_ZL33csrmvn_symm_large_adaptive_kernelIliaaffEvbT_PKS0_N9rocsparse24const_host_device_scalarIT4_EES2_PKT0_PKT1_PKT2_S6_PT3_21rocsparse_index_base_b
                                        ; -- End function
	.set _ZL33csrmvn_symm_large_adaptive_kernelIliaaffEvbT_PKS0_N9rocsparse24const_host_device_scalarIT4_EES2_PKT0_PKT1_PKT2_S6_PT3_21rocsparse_index_base_b.num_vgpr, 13
	.set _ZL33csrmvn_symm_large_adaptive_kernelIliaaffEvbT_PKS0_N9rocsparse24const_host_device_scalarIT4_EES2_PKT0_PKT1_PKT2_S6_PT3_21rocsparse_index_base_b.num_agpr, 0
	.set _ZL33csrmvn_symm_large_adaptive_kernelIliaaffEvbT_PKS0_N9rocsparse24const_host_device_scalarIT4_EES2_PKT0_PKT1_PKT2_S6_PT3_21rocsparse_index_base_b.numbered_sgpr, 32
	.set _ZL33csrmvn_symm_large_adaptive_kernelIliaaffEvbT_PKS0_N9rocsparse24const_host_device_scalarIT4_EES2_PKT0_PKT1_PKT2_S6_PT3_21rocsparse_index_base_b.num_named_barrier, 0
	.set _ZL33csrmvn_symm_large_adaptive_kernelIliaaffEvbT_PKS0_N9rocsparse24const_host_device_scalarIT4_EES2_PKT0_PKT1_PKT2_S6_PT3_21rocsparse_index_base_b.private_seg_size, 0
	.set _ZL33csrmvn_symm_large_adaptive_kernelIliaaffEvbT_PKS0_N9rocsparse24const_host_device_scalarIT4_EES2_PKT0_PKT1_PKT2_S6_PT3_21rocsparse_index_base_b.uses_vcc, 1
	.set _ZL33csrmvn_symm_large_adaptive_kernelIliaaffEvbT_PKS0_N9rocsparse24const_host_device_scalarIT4_EES2_PKT0_PKT1_PKT2_S6_PT3_21rocsparse_index_base_b.uses_flat_scratch, 0
	.set _ZL33csrmvn_symm_large_adaptive_kernelIliaaffEvbT_PKS0_N9rocsparse24const_host_device_scalarIT4_EES2_PKT0_PKT1_PKT2_S6_PT3_21rocsparse_index_base_b.has_dyn_sized_stack, 0
	.set _ZL33csrmvn_symm_large_adaptive_kernelIliaaffEvbT_PKS0_N9rocsparse24const_host_device_scalarIT4_EES2_PKT0_PKT1_PKT2_S6_PT3_21rocsparse_index_base_b.has_recursion, 0
	.set _ZL33csrmvn_symm_large_adaptive_kernelIliaaffEvbT_PKS0_N9rocsparse24const_host_device_scalarIT4_EES2_PKT0_PKT1_PKT2_S6_PT3_21rocsparse_index_base_b.has_indirect_call, 0
	.section	.AMDGPU.csdata,"",@progbits
; Kernel info:
; codeLenInByte = 1976
; TotalNumSgprs: 34
; NumVgprs: 13
; ScratchSize: 0
; MemoryBound: 0
; FloatMode: 240
; IeeeMode: 1
; LDSByteSize: 4096 bytes/workgroup (compile time only)
; SGPRBlocks: 0
; VGPRBlocks: 1
; NumSGPRsForWavesPerEU: 34
; NumVGPRsForWavesPerEU: 13
; Occupancy: 16
; WaveLimiterHint : 1
; COMPUTE_PGM_RSRC2:SCRATCH_EN: 0
; COMPUTE_PGM_RSRC2:USER_SGPR: 2
; COMPUTE_PGM_RSRC2:TRAP_HANDLER: 0
; COMPUTE_PGM_RSRC2:TGID_X_EN: 1
; COMPUTE_PGM_RSRC2:TGID_Y_EN: 0
; COMPUTE_PGM_RSRC2:TGID_Z_EN: 0
; COMPUTE_PGM_RSRC2:TIDIG_COMP_CNT: 0
	.section	.text._ZN9rocsparseL22csrmvn_adaptive_kernelIllaaffEEvbT_PKS1_PjPKT0_NS_24const_host_device_scalarIT4_EES3_S7_PKT1_PKT2_SA_PT3_21rocsparse_index_base_b,"axG",@progbits,_ZN9rocsparseL22csrmvn_adaptive_kernelIllaaffEEvbT_PKS1_PjPKT0_NS_24const_host_device_scalarIT4_EES3_S7_PKT1_PKT2_SA_PT3_21rocsparse_index_base_b,comdat
	.globl	_ZN9rocsparseL22csrmvn_adaptive_kernelIllaaffEEvbT_PKS1_PjPKT0_NS_24const_host_device_scalarIT4_EES3_S7_PKT1_PKT2_SA_PT3_21rocsparse_index_base_b ; -- Begin function _ZN9rocsparseL22csrmvn_adaptive_kernelIllaaffEEvbT_PKS1_PjPKT0_NS_24const_host_device_scalarIT4_EES3_S7_PKT1_PKT2_SA_PT3_21rocsparse_index_base_b
	.p2align	8
	.type	_ZN9rocsparseL22csrmvn_adaptive_kernelIllaaffEEvbT_PKS1_PjPKT0_NS_24const_host_device_scalarIT4_EES3_S7_PKT1_PKT2_SA_PT3_21rocsparse_index_base_b,@function
_ZN9rocsparseL22csrmvn_adaptive_kernelIllaaffEEvbT_PKS1_PjPKT0_NS_24const_host_device_scalarIT4_EES3_S7_PKT1_PKT2_SA_PT3_21rocsparse_index_base_b: ; @_ZN9rocsparseL22csrmvn_adaptive_kernelIllaaffEEvbT_PKS1_PjPKT0_NS_24const_host_device_scalarIT4_EES3_S7_PKT1_PKT2_SA_PT3_21rocsparse_index_base_b
; %bb.0:
	s_clause 0x2
	s_load_b64 s[38:39], s[0:1], 0x60
	s_load_b64 s[36:37], s[0:1], 0x28
	;; [unrolled: 1-line block ×3, first 2 shown]
	s_wait_kmcnt 0x0
	s_bitcmp1_b32 s39, 0
	s_cselect_b32 s2, -1, 0
	s_delay_alu instid0(SALU_CYCLE_1)
	s_and_b32 vcc_lo, exec_lo, s2
	s_xor_b32 s2, s2, -1
	s_cbranch_vccnz .LBB61_2
; %bb.1:
	s_load_b32 s36, s[36:37], 0x0
.LBB61_2:
	s_and_not1_b32 vcc_lo, exec_lo, s2
	s_cbranch_vccnz .LBB61_4
; %bb.3:
	s_load_b32 s24, s[24:25], 0x0
.LBB61_4:
	s_wait_kmcnt 0x0
	s_cmp_neq_f32 s36, 0
	s_cselect_b32 s2, -1, 0
	s_cmp_neq_f32 s24, 1.0
	s_cselect_b32 s3, -1, 0
	s_delay_alu instid0(SALU_CYCLE_1) | instskip(NEXT) | instid1(SALU_CYCLE_1)
	s_or_b32 s2, s2, s3
	s_and_not1_b32 vcc_lo, exec_lo, s2
	s_cbranch_vccnz .LBB61_114
; %bb.5:
	s_clause 0x1
	s_load_b64 s[2:3], s[0:1], 0x10
	s_load_b64 s[6:7], s[0:1], 0x20
	s_mov_b32 s40, ttmp9
	s_ashr_i32 s41, ttmp9, 31
	s_delay_alu instid0(SALU_CYCLE_1)
	s_lshl_b64 s[4:5], s[40:41], 3
	s_wait_kmcnt 0x0
	s_add_nc_u64 s[2:3], s[2:3], s[4:5]
	s_add_nc_u64 s[4:5], s[6:7], s[4:5]
	s_load_b128 s[20:23], s[2:3], 0x0
	s_clause 0x1
	s_load_b256 s[12:19], s[0:1], 0x30
	s_load_b64 s[26:27], s[0:1], 0x58
	s_wait_kmcnt 0x0
	s_lshl_b64 s[2:3], s[20:21], 3
	s_delay_alu instid0(SALU_CYCLE_1) | instskip(SKIP_3) | instid1(SALU_CYCLE_1)
	s_add_nc_u64 s[34:35], s[12:13], s[2:3]
	s_load_b64 s[28:29], s[4:5], 0x0
	s_load_b64 s[30:31], s[34:35], 0x0
	s_sub_nc_u64 s[2:3], s[22:23], s[20:21]
	v_cmp_lt_i64_e64 s4, s[2:3], 2
	s_and_b32 vcc_lo, exec_lo, s4
	s_mov_b32 s4, -1
	s_cbranch_vccz .LBB61_70
; %bb.6:
	s_cmp_lg_u64 s[2:3], 1
	v_cmp_gt_u32_e64 s2, 0x80, v0
	s_cselect_b32 s4, -1, 0
	s_wait_kmcnt 0x0
	s_cmp_lg_u64 s[28:29], 0
	v_cmp_gt_u32_e64 s3, 64, v0
	s_cselect_b32 s5, -1, 0
	v_cmp_gt_u32_e64 s6, 8, v0
	s_or_b32 s5, s4, s5
	v_cmp_gt_u32_e64 s4, 32, v0
	s_and_b32 vcc_lo, exec_lo, s5
	v_cmp_gt_u32_e64 s5, 16, v0
	v_cmp_gt_u32_e64 s7, 4, v0
	;; [unrolled: 1-line block ×3, first 2 shown]
	v_cmp_eq_u32_e64 s9, 0, v0
	s_mov_b32 s10, -1
	s_cbranch_vccnz .LBB61_34
; %bb.7:
	v_sub_co_u32 v6, s10, v0, s38
	s_cmp_neq_f32 s24, 0
	v_dual_mov_b32 v5, 0 :: v_dual_lshlrev_b32 v8, 2, v0
	v_sub_co_ci_u32_e64 v7, null, 0, 0, s10
	s_cselect_b32 s11, -1, 0
	s_mov_b32 s39, 0
	s_mov_b64 s[42:43], s[20:21]
	s_branch .LBB61_10
.LBB61_8:                               ;   in Loop: Header=BB61_10 Depth=1
	s_lshl_b64 s[44:45], s[42:43], 2
	s_wait_alu 0xfffe
	s_add_nc_u64 s[44:45], s[26:27], s[44:45]
	s_wait_dscnt 0x0
	global_store_b32 v5, v1, s[44:45]
.LBB61_9:                               ;   in Loop: Header=BB61_10 Depth=1
	s_wait_alu 0xfffe
	s_or_b32 exec_lo, exec_lo, s10
	s_add_nc_u64 s[42:43], s[42:43], 1
	s_wait_alu 0xfffe
	v_cmp_ge_i64_e64 s10, s[42:43], s[22:23]
	s_and_b32 vcc_lo, exec_lo, s10
	s_wait_alu 0xfffe
	s_cbranch_vccnz .LBB61_33
.LBB61_10:                              ; =>This Loop Header: Depth=1
                                        ;     Child Loop BB61_12 Depth 2
	s_lshl_b64 s[44:45], s[42:43], 3
	v_mov_b32_e32 v9, 0
	s_wait_alu 0xfffe
	s_add_nc_u64 s[44:45], s[12:13], s[44:45]
	s_mov_b32 s25, exec_lo
	s_load_b128 s[44:47], s[44:45], 0x0
	s_wait_kmcnt 0x0
	v_add_co_u32 v1, vcc_lo, s44, v6
	s_wait_alu 0xfffd
	v_add_co_ci_u32_e64 v2, null, s45, v7, vcc_lo
	s_sub_nc_u64 s[44:45], s[46:47], s[38:39]
	s_wait_alu 0xfffe
	v_cmpx_gt_i64_e64 s[44:45], v[1:2]
	s_cbranch_execz .LBB61_14
; %bb.11:                               ;   in Loop: Header=BB61_10 Depth=1
	v_lshlrev_b64_e32 v[3:4], 3, v[1:2]
	v_mov_b32_e32 v9, 0
	s_mov_b32 s33, 0
	s_delay_alu instid0(VALU_DEP_2) | instskip(SKIP_1) | instid1(VALU_DEP_3)
	v_add_co_u32 v3, vcc_lo, s14, v3
	s_wait_alu 0xfffd
	v_add_co_ci_u32_e64 v4, null, s15, v4, vcc_lo
.LBB61_12:                              ;   Parent Loop BB61_10 Depth=1
                                        ; =>  This Inner Loop Header: Depth=2
	global_load_b64 v[10:11], v[3:4], off
	v_add_co_u32 v12, vcc_lo, s16, v1
	s_wait_alu 0xfffd
	v_add_co_ci_u32_e64 v13, null, s17, v2, vcc_lo
	v_add_co_u32 v3, s10, 0x800, v3
	s_wait_alu 0xf1ff
	v_add_co_ci_u32_e64 v4, null, 0, v4, s10
	global_load_i8 v12, v[12:13], off
	s_wait_loadcnt 0x1
	v_sub_co_u32 v10, vcc_lo, v10, s38
	s_wait_alu 0xfffd
	v_subrev_co_ci_u32_e64 v11, null, 0, v11, vcc_lo
	s_delay_alu instid0(VALU_DEP_2) | instskip(SKIP_1) | instid1(VALU_DEP_2)
	v_add_co_u32 v10, vcc_lo, s18, v10
	s_wait_alu 0xfffd
	v_add_co_ci_u32_e64 v11, null, s19, v11, vcc_lo
	v_add_co_u32 v1, vcc_lo, 0x100, v1
	s_wait_alu 0xfffd
	v_add_co_ci_u32_e64 v2, null, 0, v2, vcc_lo
	global_load_i8 v10, v[10:11], off
	s_wait_loadcnt 0x1
	v_cvt_f32_i32_e32 v11, v12
	v_cmp_le_i64_e32 vcc_lo, s[44:45], v[1:2]
	s_delay_alu instid0(VALU_DEP_2) | instskip(SKIP_3) | instid1(VALU_DEP_1)
	v_mul_f32_e32 v11, s36, v11
	s_or_b32 s33, vcc_lo, s33
	s_wait_loadcnt 0x0
	v_cvt_f32_i32_e32 v10, v10
	v_fmac_f32_e32 v9, v11, v10
	s_and_not1_b32 exec_lo, exec_lo, s33
	s_cbranch_execnz .LBB61_12
; %bb.13:                               ;   in Loop: Header=BB61_10 Depth=1
	s_or_b32 exec_lo, exec_lo, s33
.LBB61_14:                              ;   in Loop: Header=BB61_10 Depth=1
	s_delay_alu instid0(SALU_CYCLE_1)
	s_or_b32 exec_lo, exec_lo, s25
	ds_store_b32 v8, v9
	s_wait_dscnt 0x0
	s_barrier_signal -1
	s_barrier_wait -1
	global_inv scope:SCOPE_SE
	s_and_saveexec_b32 s10, s2
	s_cbranch_execz .LBB61_16
; %bb.15:                               ;   in Loop: Header=BB61_10 Depth=1
	ds_load_2addr_stride64_b32 v[1:2], v8 offset1:2
	s_wait_dscnt 0x0
	v_add_f32_e32 v1, v1, v2
	ds_store_b32 v8, v1
.LBB61_16:                              ;   in Loop: Header=BB61_10 Depth=1
	s_wait_alu 0xfffe
	s_or_b32 exec_lo, exec_lo, s10
	s_wait_loadcnt_dscnt 0x0
	s_barrier_signal -1
	s_barrier_wait -1
	global_inv scope:SCOPE_SE
	s_and_saveexec_b32 s10, s3
	s_cbranch_execz .LBB61_18
; %bb.17:                               ;   in Loop: Header=BB61_10 Depth=1
	ds_load_2addr_stride64_b32 v[1:2], v8 offset1:1
	s_wait_dscnt 0x0
	v_add_f32_e32 v1, v1, v2
	ds_store_b32 v8, v1
.LBB61_18:                              ;   in Loop: Header=BB61_10 Depth=1
	s_wait_alu 0xfffe
	s_or_b32 exec_lo, exec_lo, s10
	s_wait_loadcnt_dscnt 0x0
	s_barrier_signal -1
	s_barrier_wait -1
	global_inv scope:SCOPE_SE
	s_and_saveexec_b32 s10, s4
	s_cbranch_execz .LBB61_20
; %bb.19:                               ;   in Loop: Header=BB61_10 Depth=1
	ds_load_2addr_b32 v[1:2], v8 offset1:32
	s_wait_dscnt 0x0
	v_add_f32_e32 v1, v1, v2
	ds_store_b32 v8, v1
.LBB61_20:                              ;   in Loop: Header=BB61_10 Depth=1
	s_wait_alu 0xfffe
	s_or_b32 exec_lo, exec_lo, s10
	s_wait_loadcnt_dscnt 0x0
	s_barrier_signal -1
	s_barrier_wait -1
	global_inv scope:SCOPE_SE
	s_and_saveexec_b32 s10, s5
	s_cbranch_execz .LBB61_22
; %bb.21:                               ;   in Loop: Header=BB61_10 Depth=1
	ds_load_2addr_b32 v[1:2], v8 offset1:16
	s_wait_dscnt 0x0
	v_add_f32_e32 v1, v1, v2
	ds_store_b32 v8, v1
.LBB61_22:                              ;   in Loop: Header=BB61_10 Depth=1
	;; [unrolled: 14-line block ×5, first 2 shown]
	s_wait_alu 0xfffe
	s_or_b32 exec_lo, exec_lo, s10
	s_wait_loadcnt_dscnt 0x0
	s_barrier_signal -1
	s_barrier_wait -1
	global_inv scope:SCOPE_SE
	s_and_saveexec_b32 s10, s9
	s_cbranch_execz .LBB61_30
; %bb.29:                               ;   in Loop: Header=BB61_10 Depth=1
	ds_load_b64 v[1:2], v5
	s_wait_dscnt 0x0
	v_add_f32_e32 v1, v1, v2
	ds_store_b32 v5, v1
.LBB61_30:                              ;   in Loop: Header=BB61_10 Depth=1
	s_wait_alu 0xfffe
	s_or_b32 exec_lo, exec_lo, s10
	s_wait_loadcnt_dscnt 0x0
	s_barrier_signal -1
	s_barrier_wait -1
	global_inv scope:SCOPE_SE
	s_and_saveexec_b32 s10, s9
	s_cbranch_execz .LBB61_9
; %bb.31:                               ;   in Loop: Header=BB61_10 Depth=1
	ds_load_b32 v1, v5
	s_and_not1_b32 vcc_lo, exec_lo, s11
	s_wait_alu 0xfffe
	s_cbranch_vccnz .LBB61_8
; %bb.32:                               ;   in Loop: Header=BB61_10 Depth=1
	s_lshl_b64 s[44:45], s[42:43], 2
	s_wait_alu 0xfffe
	s_add_nc_u64 s[44:45], s[26:27], s[44:45]
	global_load_b32 v2, v5, s[44:45]
	s_wait_loadcnt_dscnt 0x0
	v_fmac_f32_e32 v1, s24, v2
	s_branch .LBB61_8
.LBB61_33:
	s_mov_b32 s10, 0
.LBB61_34:
	s_wait_alu 0xfffe
	s_and_b32 vcc_lo, exec_lo, s10
	s_wait_alu 0xfffe
	s_cbranch_vccz .LBB61_69
; %bb.35:
	s_load_b64 s[6:7], s[0:1], 0x18
	v_mov_b32_e32 v6, 0
	s_lshl_b64 s[2:3], s[40:41], 2
	s_cmp_lg_u64 s[28:29], 0
	v_cmp_eq_u32_e32 vcc_lo, 0, v0
	s_cselect_b32 s25, -1, 0
	s_cmp_eq_u64 s[28:29], 0
	s_sub_nc_u64 s[8:9], s[40:41], s[28:29]
	s_mov_b32 s39, 0
	s_wait_kmcnt 0x0
	s_wait_alu 0xfffe
	s_add_nc_u64 s[4:5], s[6:7], s[2:3]
	s_cselect_b32 s2, -1, 0
	global_load_b32 v5, v6, s[4:5]
	s_wait_alu 0xfffe
	s_and_b32 s2, vcc_lo, s2
	s_wait_alu 0xfffe
	s_and_saveexec_b32 s3, s2
	s_cbranch_execz .LBB61_39
; %bb.36:
	v_mov_b32_e32 v1, 0
	s_lshl_b64 s[40:41], s[20:21], 2
	s_mov_b32 s10, exec_lo
	s_add_nc_u64 s[40:41], s[26:27], s[40:41]
	s_wait_alu 0xfffe
	v_mbcnt_lo_u32_b32 v3, s10, 0
	global_load_b32 v2, v1, s[40:41]
	s_add_f32 s11, s24, -1.0
	s_mov_b32 s33, exec_lo
	s_wait_loadcnt 0x0
	s_wait_storecnt 0x0
	global_inv scope:SCOPE_DEV
	v_cmpx_eq_u32_e32 0, v3
	s_cbranch_execz .LBB61_38
; %bb.37:
	s_bcnt1_i32_b32 s2, s10
	s_lshl_b64 s[40:41], s[8:9], 2
	s_wait_alu 0xfffe
	s_and_b32 s2, s2, 1
	s_add_nc_u64 s[40:41], s[6:7], s[40:41]
	s_wait_alu 0xfffe
	v_mov_b32_e32 v3, s2
	global_atomic_xor_b32 v1, v3, s[40:41] scope:SCOPE_DEV
.LBB61_38:
	s_or_b32 exec_lo, exec_lo, s33
	s_wait_alu 0xfffe
	v_mul_f32_e32 v6, s11, v2
.LBB61_39:
	s_wait_alu 0xfffe
	s_or_b32 exec_lo, exec_lo, s3
	s_load_b64 s[2:3], s[34:35], 0x8
	s_mul_u64 s[10:11], s[28:29], 0xc00
	s_sub_nc_u64 s[40:41], s[30:31], s[38:39]
	s_mov_b32 s33, exec_lo
	s_wait_alu 0xfffe
	s_add_nc_u64 s[40:41], s[40:41], s[10:11]
	s_delay_alu instid0(SALU_CYCLE_1)
	v_add_co_u32 v1, s10, s40, v0
	s_wait_alu 0xf1ff
	v_add_co_ci_u32_e64 v2, null, s41, 0, s10
	s_wait_kmcnt 0x0
	s_sub_nc_u64 s[10:11], s[2:3], s[38:39]
	s_wait_alu 0xfffe
	s_delay_alu instid0(VALU_DEP_1)
	v_cmpx_gt_i64_e64 s[10:11], v[1:2]
	s_cbranch_execz .LBB61_43
; %bb.40:
	v_lshlrev_b64_e32 v[3:4], 3, v[1:2]
	s_add_nc_u64 s[40:41], s[40:41], 0xc00
	s_mov_b32 s37, 0
	s_wait_alu 0xfffe
	v_cmp_lt_i64_e64 s3, s[40:41], s[10:11]
	s_delay_alu instid0(VALU_DEP_2)
	v_add_co_u32 v3, s2, s14, v3
	s_wait_alu 0xf1ff
	v_add_co_ci_u32_e64 v4, null, s15, v4, s2
	s_and_b32 s2, s3, exec_lo
	s_cselect_b32 s11, s41, s11
	s_cselect_b32 s10, s40, s10
.LBB61_41:                              ; =>This Inner Loop Header: Depth=1
	global_load_b64 v[7:8], v[3:4], off
	v_add_co_u32 v9, s2, s16, v1
	s_wait_alu 0xf1fe
	v_add_co_ci_u32_e64 v10, null, s17, v2, s2
	v_add_co_u32 v3, s3, 0x800, v3
	s_wait_alu 0xf1ff
	v_add_co_ci_u32_e64 v4, null, 0, v4, s3
	global_load_i8 v9, v[9:10], off
	s_wait_loadcnt 0x1
	v_sub_co_u32 v7, s2, v7, s38
	s_wait_alu 0xf1ff
	v_subrev_co_ci_u32_e64 v8, null, 0, v8, s2
	s_delay_alu instid0(VALU_DEP_2) | instskip(SKIP_1) | instid1(VALU_DEP_2)
	v_add_co_u32 v7, s2, s18, v7
	s_wait_alu 0xf1ff
	v_add_co_ci_u32_e64 v8, null, s19, v8, s2
	v_add_co_u32 v1, s2, 0x100, v1
	s_wait_alu 0xf1ff
	v_add_co_ci_u32_e64 v2, null, 0, v2, s2
	global_load_i8 v7, v[7:8], off
	s_wait_loadcnt 0x1
	v_cvt_f32_i32_e32 v8, v9
	v_cmp_le_i64_e64 s2, s[10:11], v[1:2]
	s_delay_alu instid0(VALU_DEP_2) | instskip(SKIP_3) | instid1(VALU_DEP_1)
	v_mul_f32_e32 v8, s36, v8
	s_or_b32 s37, s2, s37
	s_wait_loadcnt 0x0
	v_cvt_f32_i32_e32 v7, v7
	v_fmac_f32_e32 v6, v8, v7
	s_wait_alu 0xfffe
	s_and_not1_b32 exec_lo, exec_lo, s37
	s_cbranch_execnz .LBB61_41
; %bb.42:
	s_or_b32 exec_lo, exec_lo, s37
.LBB61_43:
	s_delay_alu instid0(SALU_CYCLE_1)
	s_or_b32 exec_lo, exec_lo, s33
	v_lshlrev_b32_e32 v1, 2, v0
	s_mov_b32 s3, exec_lo
	ds_store_b32 v1, v6
	s_wait_storecnt 0x0
	s_wait_loadcnt_dscnt 0x0
	s_barrier_signal -1
	s_barrier_wait -1
	global_inv scope:SCOPE_SE
	v_cmpx_gt_u32_e32 0x80, v0
	s_cbranch_execz .LBB61_45
; %bb.44:
	ds_load_2addr_stride64_b32 v[2:3], v1 offset1:2
	s_wait_dscnt 0x0
	v_add_f32_e32 v2, v2, v3
	ds_store_b32 v1, v2
.LBB61_45:
	s_wait_alu 0xfffe
	s_or_b32 exec_lo, exec_lo, s3
	s_delay_alu instid0(SALU_CYCLE_1)
	s_mov_b32 s3, exec_lo
	s_wait_loadcnt_dscnt 0x0
	s_barrier_signal -1
	s_barrier_wait -1
	global_inv scope:SCOPE_SE
	v_cmpx_gt_u32_e32 64, v0
	s_cbranch_execz .LBB61_47
; %bb.46:
	ds_load_2addr_stride64_b32 v[2:3], v1 offset1:1
	s_wait_dscnt 0x0
	v_add_f32_e32 v2, v2, v3
	ds_store_b32 v1, v2
.LBB61_47:
	s_wait_alu 0xfffe
	s_or_b32 exec_lo, exec_lo, s3
	s_delay_alu instid0(SALU_CYCLE_1)
	s_mov_b32 s3, exec_lo
	s_wait_loadcnt_dscnt 0x0
	s_barrier_signal -1
	s_barrier_wait -1
	global_inv scope:SCOPE_SE
	v_cmpx_gt_u32_e32 32, v0
	s_cbranch_execz .LBB61_49
; %bb.48:
	ds_load_2addr_b32 v[2:3], v1 offset1:32
	s_wait_dscnt 0x0
	v_add_f32_e32 v2, v2, v3
	ds_store_b32 v1, v2
.LBB61_49:
	s_wait_alu 0xfffe
	s_or_b32 exec_lo, exec_lo, s3
	s_delay_alu instid0(SALU_CYCLE_1)
	s_mov_b32 s3, exec_lo
	s_wait_loadcnt_dscnt 0x0
	s_barrier_signal -1
	s_barrier_wait -1
	global_inv scope:SCOPE_SE
	v_cmpx_gt_u32_e32 16, v0
	s_cbranch_execz .LBB61_51
; %bb.50:
	ds_load_2addr_b32 v[2:3], v1 offset1:16
	s_wait_dscnt 0x0
	v_add_f32_e32 v2, v2, v3
	ds_store_b32 v1, v2
.LBB61_51:
	;; [unrolled: 16-line block ×5, first 2 shown]
	s_wait_alu 0xfffe
	s_or_b32 exec_lo, exec_lo, s3
	s_wait_loadcnt_dscnt 0x0
	s_barrier_signal -1
	s_barrier_wait -1
	global_inv scope:SCOPE_SE
	s_and_saveexec_b32 s2, vcc_lo
	s_cbranch_execz .LBB61_59
; %bb.58:
	v_mov_b32_e32 v3, 0
	ds_load_b64 v[1:2], v3
	s_wait_dscnt 0x0
	v_add_f32_e32 v1, v1, v2
	ds_store_b32 v3, v1
.LBB61_59:
	s_wait_alu 0xfffe
	s_or_b32 exec_lo, exec_lo, s2
	s_wait_loadcnt_dscnt 0x0
	s_barrier_signal -1
	s_barrier_wait -1
	global_inv scope:SCOPE_SE
	s_and_saveexec_b32 s10, vcc_lo
	s_cbranch_execz .LBB61_68
; %bb.60:
	s_and_not1_b32 vcc_lo, exec_lo, s25
	s_wait_alu 0xfffe
	s_cbranch_vccnz .LBB61_66
; %bb.61:
	v_mov_b32_e32 v1, 0
	s_lshl_b64 s[2:3], s[8:9], 2
	s_wait_alu 0xfffe
	s_add_nc_u64 s[2:3], s[6:7], s[2:3]
	s_branch .LBB61_63
.LBB61_62:                              ;   in Loop: Header=BB61_63 Depth=1
	s_wait_alu 0xfffe
	s_or_b32 exec_lo, exec_lo, s6
	s_wait_loadcnt 0x0
	v_readfirstlane_b32 s6, v2
	s_wait_alu 0xf1ff
	s_delay_alu instid0(VALU_DEP_1)
	v_cmp_eq_u32_e32 vcc_lo, s6, v5
	s_cbranch_vccz .LBB61_65
.LBB61_63:                              ; =>This Inner Loop Header: Depth=1
	v_mbcnt_lo_u32_b32 v2, exec_lo, 0
	s_delay_alu instid0(VALU_DEP_1)
	v_cmp_eq_u32_e32 vcc_lo, 0, v2
                                        ; implicit-def: $vgpr2
	s_and_saveexec_b32 s6, vcc_lo
	s_cbranch_execz .LBB61_62
; %bb.64:                               ;   in Loop: Header=BB61_63 Depth=1
	global_load_b32 v2, v1, s[2:3] scope:SCOPE_DEV
	s_branch .LBB61_62
.LBB61_65:
	v_mov_b32_e32 v1, 0
	global_load_u16 v2, v1, s[4:5]
	s_wait_loadcnt 0x0
	v_xor_b32_e32 v2, 1, v2
	global_store_b16 v1, v2, s[4:5]
.LBB61_66:
	s_mov_b32 s2, exec_lo
	s_wait_alu 0xfffe
	v_mbcnt_lo_u32_b32 v1, s2, 0
	s_delay_alu instid0(VALU_DEP_1)
	v_cmp_eq_u32_e32 vcc_lo, 0, v1
	s_and_b32 s3, exec_lo, vcc_lo
	s_wait_alu 0xfffe
	s_mov_b32 exec_lo, s3
	s_cbranch_execz .LBB61_68
; %bb.67:
	s_bcnt1_i32_b32 s2, s2
	s_wait_alu 0xfffe
	v_cvt_f32_ubyte0_e32 v3, s2
	v_mov_b32_e32 v1, 0
	s_lshl_b64 s[2:3], s[20:21], 2
	s_wait_alu 0xfffe
	s_add_nc_u64 s[2:3], s[26:27], s[2:3]
	ds_load_b32 v2, v1
	s_wait_dscnt 0x0
	v_mul_f32_e32 v2, v2, v3
	global_atomic_add_f32 v1, v2, s[2:3] scope:SCOPE_DEV
.LBB61_68:
	s_wait_alu 0xfffe
	s_or_b32 exec_lo, exec_lo, s10
.LBB61_69:
	s_mov_b32 s4, 0
.LBB61_70:
	s_delay_alu instid0(SALU_CYCLE_1)
	s_and_not1_b32 vcc_lo, exec_lo, s4
	s_wait_alu 0xfffe
	s_cbranch_vccnz .LBB61_114
; %bb.71:
	s_load_b64 s[0:1], s[0:1], 0x8
	v_sub_co_u32 v1, s2, v0, s38
	s_wait_alu 0xf1ff
	v_sub_co_ci_u32_e64 v2, null, 0, 0, s2
	s_mov_b32 s39, 0
	s_wait_kmcnt 0x0
	v_add_co_u32 v1, vcc_lo, s30, v1
	s_wait_alu 0xfffd
	v_add_co_ci_u32_e64 v2, null, s31, v2, vcc_lo
	s_delay_alu instid0(VALU_DEP_2) | instskip(SKIP_1) | instid1(VALU_DEP_2)
	v_add_co_u32 v3, vcc_lo, 0x300, v1
	s_wait_alu 0xfffd
	v_add_co_ci_u32_e64 v4, null, 0, v2, vcc_lo
	s_delay_alu instid0(VALU_DEP_1)
	v_cmp_le_i64_e32 vcc_lo, s[0:1], v[3:4]
	s_and_saveexec_b32 s0, vcc_lo
	s_wait_alu 0xfffe
	s_xor_b32 s1, exec_lo, s0
	s_cbranch_execz .LBB61_76
; %bb.72:
	s_lshl_b64 s[2:3], s[22:23], 3
	s_mov_b32 s4, exec_lo
	s_wait_alu 0xfffe
	s_add_nc_u64 s[2:3], s[12:13], s[2:3]
	s_load_b64 s[2:3], s[2:3], 0x0
	s_wait_kmcnt 0x0
	s_sub_nc_u64 s[2:3], s[2:3], s[38:39]
	s_wait_alu 0xfffe
	v_cmpx_gt_i64_e64 s[2:3], v[1:2]
	s_cbranch_execz .LBB61_75
; %bb.73:
	v_lshlrev_b64_e32 v[3:4], 3, v[1:2]
	v_lshlrev_b32_e32 v5, 2, v0
	s_mov_b32 s5, 0
	s_delay_alu instid0(VALU_DEP_2) | instskip(SKIP_1) | instid1(VALU_DEP_3)
	v_add_co_u32 v3, vcc_lo, s14, v3
	s_wait_alu 0xfffd
	v_add_co_ci_u32_e64 v4, null, s15, v4, vcc_lo
.LBB61_74:                              ; =>This Inner Loop Header: Depth=1
	global_load_b64 v[6:7], v[3:4], off
	v_add_co_u32 v8, vcc_lo, s16, v1
	s_wait_alu 0xfffd
	v_add_co_ci_u32_e64 v9, null, s17, v2, vcc_lo
	global_load_i8 v8, v[8:9], off
	s_wait_loadcnt 0x1
	v_sub_co_u32 v6, vcc_lo, v6, s38
	s_wait_alu 0xfffd
	v_subrev_co_ci_u32_e64 v7, null, 0, v7, vcc_lo
	s_delay_alu instid0(VALU_DEP_2) | instskip(SKIP_1) | instid1(VALU_DEP_2)
	v_add_co_u32 v6, vcc_lo, s18, v6
	s_wait_alu 0xfffd
	v_add_co_ci_u32_e64 v7, null, s19, v7, vcc_lo
	v_add_co_u32 v1, vcc_lo, 0x100, v1
	s_wait_alu 0xfffd
	v_add_co_ci_u32_e64 v2, null, 0, v2, vcc_lo
	global_load_i8 v6, v[6:7], off
	s_wait_loadcnt 0x1
	v_cvt_f32_i32_e32 v7, v8
	v_add_co_u32 v3, vcc_lo, 0x800, v3
	v_cmp_le_i64_e64 s0, s[2:3], v[1:2]
	s_wait_alu 0xfffd
	v_add_co_ci_u32_e64 v4, null, 0, v4, vcc_lo
	v_mul_f32_e32 v7, s36, v7
	s_delay_alu instid0(VALU_DEP_3) | instskip(SKIP_2) | instid1(VALU_DEP_1)
	s_or_b32 s5, s0, s5
	s_wait_loadcnt 0x0
	v_cvt_f32_i32_e32 v6, v6
	v_mul_f32_e32 v6, v7, v6
	ds_store_b32 v5, v6
	v_add_nc_u32_e32 v5, 0x400, v5
	s_and_not1_b32 exec_lo, exec_lo, s5
	s_cbranch_execnz .LBB61_74
.LBB61_75:
	s_or_b32 exec_lo, exec_lo, s4
                                        ; implicit-def: $vgpr1
.LBB61_76:
	s_wait_alu 0xfffe
	s_or_saveexec_b32 s0, s1
	v_lshlrev_b32_e32 v9, 2, v0
	s_wait_alu 0xfffe
	s_xor_b32 exec_lo, exec_lo, s0
	s_cbranch_execz .LBB61_78
; %bb.77:
	v_lshlrev_b64_e32 v[3:4], 3, v[1:2]
	s_delay_alu instid0(VALU_DEP_1) | instskip(SKIP_1) | instid1(VALU_DEP_2)
	v_add_co_u32 v3, vcc_lo, s14, v3
	s_wait_alu 0xfffd
	v_add_co_ci_u32_e64 v4, null, s15, v4, vcc_lo
	v_add_co_u32 v1, vcc_lo, s16, v1
	s_wait_alu 0xfffd
	v_add_co_ci_u32_e64 v2, null, s17, v2, vcc_lo
	s_clause 0x3
	global_load_b64 v[5:6], v[3:4], off
	global_load_b64 v[7:8], v[3:4], off offset:2048
	global_load_b64 v[10:11], v[3:4], off offset:4096
	;; [unrolled: 1-line block ×3, first 2 shown]
	s_clause 0x3
	global_load_i8 v12, v[1:2], off
	global_load_i8 v13, v[1:2], off offset:256
	global_load_i8 v14, v[1:2], off offset:512
	;; [unrolled: 1-line block ×3, first 2 shown]
	s_wait_loadcnt 0x7
	v_sub_co_u32 v1, vcc_lo, v5, s38
	s_wait_alu 0xfffd
	v_subrev_co_ci_u32_e64 v2, null, 0, v6, vcc_lo
	s_wait_loadcnt 0x6
	v_sub_co_u32 v5, vcc_lo, v7, s38
	s_wait_alu 0xfffd
	v_subrev_co_ci_u32_e64 v6, null, 0, v8, vcc_lo
	;; [unrolled: 4-line block ×4, first 2 shown]
	v_add_co_u32 v1, vcc_lo, s18, v1
	s_wait_alu 0xfffd
	v_add_co_ci_u32_e64 v2, null, s19, v2, vcc_lo
	v_add_co_u32 v3, vcc_lo, s18, v5
	s_wait_alu 0xfffd
	v_add_co_ci_u32_e64 v4, null, s19, v6, vcc_lo
	v_add_co_u32 v5, vcc_lo, s18, v7
	s_wait_alu 0xfffd
	v_add_co_ci_u32_e64 v6, null, s19, v8, vcc_lo
	v_add_co_u32 v7, vcc_lo, s18, v10
	s_wait_alu 0xfffd
	v_add_co_ci_u32_e64 v8, null, s19, v11, vcc_lo
	s_clause 0x3
	global_load_i8 v1, v[1:2], off
	global_load_i8 v2, v[3:4], off
	;; [unrolled: 1-line block ×4, first 2 shown]
	s_wait_loadcnt 0x7
	v_cvt_f32_i32_e32 v5, v12
	s_wait_loadcnt 0x6
	v_cvt_f32_i32_e32 v6, v13
	;; [unrolled: 2-line block ×4, first 2 shown]
	v_dual_mul_f32 v5, s36, v5 :: v_dual_mul_f32 v6, s36, v6
	s_delay_alu instid0(VALU_DEP_2)
	v_dual_mul_f32 v7, s36, v7 :: v_dual_mul_f32 v8, s36, v8
	s_wait_loadcnt 0x3
	v_cvt_f32_i32_e32 v1, v1
	s_wait_loadcnt 0x2
	v_cvt_f32_i32_e32 v2, v2
	;; [unrolled: 2-line block ×4, first 2 shown]
	v_dual_mul_f32 v1, v5, v1 :: v_dual_mul_f32 v2, v6, v2
	s_delay_alu instid0(VALU_DEP_2)
	v_dual_mul_f32 v3, v7, v3 :: v_dual_mul_f32 v4, v8, v4
	ds_store_2addr_stride64_b32 v9, v1, v2 offset1:4
	ds_store_2addr_stride64_b32 v9, v3, v4 offset0:8 offset1:12
.LBB61_78:
	s_or_b32 exec_lo, exec_lo, s0
	v_cmp_lt_i64_e64 s0, s[28:29], 2
	s_wait_storecnt 0x0
	s_wait_loadcnt_dscnt 0x0
	s_barrier_signal -1
	s_barrier_wait -1
	global_inv scope:SCOPE_SE
	s_and_b32 vcc_lo, exec_lo, s0
	s_mov_b32 s0, -1
	s_wait_alu 0xfffe
	s_cbranch_vccz .LBB61_89
; %bb.79:
	v_add_co_u32 v5, s0, s20, v0
	s_wait_alu 0xf1ff
	v_add_co_ci_u32_e64 v6, null, s21, 0, s0
	s_mov_b32 s1, exec_lo
	v_cmpx_gt_i64_e64 s[22:23], v[5:6]
	s_cbranch_execz .LBB61_88
; %bb.80:
	s_cmp_neq_f32 s24, 0
	s_mov_b32 s3, 0
	s_cselect_b32 s2, -1, 0
	s_lshl_b32 s0, s30, 2
	s_wait_alu 0xfffe
	s_sub_co_i32 s4, 0, s0
	s_branch .LBB61_82
.LBB61_81:                              ;   in Loop: Header=BB61_82 Depth=1
	v_add_co_u32 v5, vcc_lo, 0x100, v5
	s_wait_alu 0xfffd
	v_add_co_ci_u32_e64 v6, null, 0, v6, vcc_lo
	v_add_co_u32 v1, s0, s26, v1
	s_wait_alu 0xf1ff
	v_add_co_ci_u32_e64 v2, null, s27, v2, s0
	s_delay_alu instid0(VALU_DEP_3)
	v_cmp_le_i64_e32 vcc_lo, s[22:23], v[5:6]
	global_store_b32 v[1:2], v10, off
	s_or_b32 s3, vcc_lo, s3
	s_wait_alu 0xfffe
	s_and_not1_b32 exec_lo, exec_lo, s3
	s_cbranch_execz .LBB61_88
.LBB61_82:                              ; =>This Loop Header: Depth=1
                                        ;     Child Loop BB61_84 Depth 2
	v_lshlrev_b64_e32 v[1:2], 3, v[5:6]
	v_mov_b32_e32 v10, 0
	s_mov_b32 s0, exec_lo
	s_delay_alu instid0(VALU_DEP_2) | instskip(SKIP_1) | instid1(VALU_DEP_3)
	v_add_co_u32 v1, vcc_lo, s12, v1
	s_wait_alu 0xfffd
	v_add_co_ci_u32_e64 v2, null, s13, v2, vcc_lo
	global_load_b128 v[1:4], v[1:2], off
	s_wait_loadcnt 0x0
	v_cmpx_lt_i64_e64 v[1:2], v[3:4]
	s_cbranch_execz .LBB61_86
; %bb.83:                               ;   in Loop: Header=BB61_82 Depth=1
	v_sub_co_u32 v3, vcc_lo, v3, s30
	s_wait_alu 0xfffd
	v_subrev_co_ci_u32_e64 v4, null, s31, v4, vcc_lo
	v_sub_co_u32 v7, vcc_lo, v1, s30
	s_wait_alu 0xfffd
	v_subrev_co_ci_u32_e64 v8, null, s31, v2, vcc_lo
	v_lshl_add_u32 v1, v1, 2, s4
	v_mov_b32_e32 v10, 0
	s_mov_b32 s5, 0
.LBB61_84:                              ;   Parent Loop BB61_82 Depth=1
                                        ; =>  This Inner Loop Header: Depth=2
	ds_load_b32 v2, v1
	v_add_co_u32 v7, vcc_lo, v7, 1
	s_wait_alu 0xfffd
	v_add_co_ci_u32_e64 v8, null, 0, v8, vcc_lo
	v_add_nc_u32_e32 v1, 4, v1
	s_delay_alu instid0(VALU_DEP_2)
	v_cmp_ge_i64_e32 vcc_lo, v[7:8], v[3:4]
	s_wait_alu 0xfffe
	s_or_b32 s5, vcc_lo, s5
	s_wait_dscnt 0x0
	v_add_f32_e32 v10, v10, v2
	s_wait_alu 0xfffe
	s_and_not1_b32 exec_lo, exec_lo, s5
	s_cbranch_execnz .LBB61_84
; %bb.85:                               ;   in Loop: Header=BB61_82 Depth=1
	s_or_b32 exec_lo, exec_lo, s5
.LBB61_86:                              ;   in Loop: Header=BB61_82 Depth=1
	s_wait_alu 0xfffe
	s_or_b32 exec_lo, exec_lo, s0
	v_lshlrev_b64_e32 v[1:2], 2, v[5:6]
	s_and_b32 vcc_lo, exec_lo, s2
	s_wait_alu 0xfffe
	s_cbranch_vccz .LBB61_81
; %bb.87:                               ;   in Loop: Header=BB61_82 Depth=1
	s_delay_alu instid0(VALU_DEP_1)
	v_add_co_u32 v3, vcc_lo, s26, v1
	s_wait_alu 0xfffd
	v_add_co_ci_u32_e64 v4, null, s27, v2, vcc_lo
	global_load_b32 v3, v[3:4], off
	s_wait_loadcnt 0x0
	v_fmac_f32_e32 v10, s24, v3
	s_branch .LBB61_81
.LBB61_88:
	s_wait_alu 0xfffe
	s_or_b32 exec_lo, exec_lo, s1
	s_mov_b32 s0, 0
.LBB61_89:
	s_wait_alu 0xfffe
	s_and_not1_b32 vcc_lo, exec_lo, s0
	s_wait_alu 0xfffe
	s_cbranch_vccnz .LBB61_114
; %bb.90:
	s_clz_i32_u32 s0, s28
	s_mov_b32 s1, exec_lo
	s_wait_alu 0xfffe
	s_min_u32 s0, s0, 32
	s_wait_alu 0xfffe
	s_sub_co_i32 s0, 31, s0
	s_wait_alu 0xfffe
	v_lshrrev_b32_e32 v5, s0, v0
	s_delay_alu instid0(VALU_DEP_1)
	v_add_co_u32 v1, s0, s20, v5
	s_wait_alu 0xf1ff
	v_add_co_ci_u32_e64 v2, null, s21, 0, s0
	s_add_co_i32 s0, s28, -1
	s_wait_alu 0xfffe
	v_dual_mov_b32 v4, 0 :: v_dual_and_b32 v3, s0, v0
	v_cmp_le_i64_e64 s0, s[22:23], v[1:2]
	s_delay_alu instid0(VALU_DEP_2)
	v_mov_b32_e32 v0, v4
	v_cmpx_gt_i64_e64 s[22:23], v[1:2]
	s_cbranch_execz .LBB61_96
; %bb.91:
	v_lshlrev_b32_e32 v0, 3, v5
	global_load_b128 v[10:13], v0, s[34:35]
	v_sub_co_u32 v0, s2, v3, s30
	s_wait_alu 0xf1ff
	v_sub_co_ci_u32_e64 v8, null, 0, s31, s2
	s_mov_b32 s2, exec_lo
	s_wait_loadcnt 0x0
	v_sub_co_u32 v5, vcc_lo, v12, s30
	s_wait_alu 0xfffd
	v_subrev_co_ci_u32_e64 v6, null, s31, v13, vcc_lo
	v_add_co_u32 v7, vcc_lo, v10, v0
	s_wait_alu 0xfffd
	v_add_co_ci_u32_e64 v8, null, v11, v8, vcc_lo
	v_mov_b32_e32 v0, 0
	s_delay_alu instid0(VALU_DEP_2)
	v_cmpx_lt_i64_e64 v[7:8], v[5:6]
	s_cbranch_execz .LBB61_95
; %bb.92:
	v_lshlrev_b32_e32 v10, 2, v7
	v_mov_b32_e32 v0, 0
	s_lshl_b32 s4, s28, 2
	s_mov_b32 s3, 0
.LBB61_93:                              ; =>This Inner Loop Header: Depth=1
	ds_load_b32 v11, v10
	v_add_co_u32 v7, vcc_lo, v7, s28
	s_wait_alu 0xfffd
	v_add_co_ci_u32_e64 v8, null, s29, v8, vcc_lo
	s_wait_alu 0xfffe
	v_add_nc_u32_e32 v10, s4, v10
	s_delay_alu instid0(VALU_DEP_2)
	v_cmp_ge_i64_e32 vcc_lo, v[7:8], v[5:6]
	s_or_b32 s3, vcc_lo, s3
	s_wait_dscnt 0x0
	v_add_f32_e32 v0, v0, v11
	s_wait_alu 0xfffe
	s_and_not1_b32 exec_lo, exec_lo, s3
	s_cbranch_execnz .LBB61_93
; %bb.94:
	s_or_b32 exec_lo, exec_lo, s3
.LBB61_95:
	s_wait_alu 0xfffe
	s_or_b32 exec_lo, exec_lo, s2
.LBB61_96:
	s_delay_alu instid0(SALU_CYCLE_1)
	s_or_b32 exec_lo, exec_lo, s1
	v_cmp_gt_u64_e64 s1, 0x81, s[28:29]
	s_wait_loadcnt 0x0
	s_wait_storecnt 0x0
	s_barrier_signal -1
	s_barrier_wait -1
	global_inv scope:SCOPE_SE
	ds_store_b32 v9, v0
	s_and_b32 vcc_lo, exec_lo, s1
	s_wait_loadcnt_dscnt 0x0
	s_barrier_signal -1
	s_barrier_wait -1
	global_inv scope:SCOPE_SE
	s_wait_alu 0xfffe
	s_cbranch_vccnz .LBB61_98
; %bb.97:
	ds_load_b32 v5, v9 offset:512
	s_wait_loadcnt_dscnt 0x0
	s_barrier_signal -1
	s_barrier_wait -1
	global_inv scope:SCOPE_SE
	v_add_f32_e32 v0, v0, v5
	ds_store_b32 v9, v0
.LBB61_98:
	v_cmp_gt_u64_e64 s1, 0x41, s[28:29]
	s_wait_loadcnt_dscnt 0x0
	s_barrier_signal -1
	s_barrier_wait -1
	global_inv scope:SCOPE_SE
	s_and_b32 vcc_lo, exec_lo, s1
	s_wait_alu 0xfffe
	s_cbranch_vccnz .LBB61_100
; %bb.99:
	ds_load_b32 v5, v9 offset:256
	s_wait_loadcnt_dscnt 0x0
	s_barrier_signal -1
	s_barrier_wait -1
	global_inv scope:SCOPE_SE
	v_add_f32_e32 v0, v0, v5
	ds_store_b32 v9, v0
.LBB61_100:
	v_cmp_lt_u64_e64 s1, s[28:29], 33
	s_wait_loadcnt_dscnt 0x0
	s_barrier_signal -1
	s_barrier_wait -1
	global_inv scope:SCOPE_SE
	s_and_b32 vcc_lo, exec_lo, s1
	s_wait_alu 0xfffe
	s_cbranch_vccnz .LBB61_102
; %bb.101:
	ds_load_b32 v5, v9 offset:128
	s_wait_loadcnt_dscnt 0x0
	s_barrier_signal -1
	s_barrier_wait -1
	global_inv scope:SCOPE_SE
	v_add_f32_e32 v0, v0, v5
	ds_store_b32 v9, v0
.LBB61_102:
	v_cmp_lt_u64_e64 s1, s[28:29], 17
	s_wait_loadcnt_dscnt 0x0
	s_barrier_signal -1
	s_barrier_wait -1
	global_inv scope:SCOPE_SE
	s_and_b32 vcc_lo, exec_lo, s1
	s_wait_alu 0xfffe
	s_cbranch_vccnz .LBB61_104
; %bb.103:
	ds_load_b32 v5, v9 offset:64
	s_wait_loadcnt_dscnt 0x0
	s_barrier_signal -1
	s_barrier_wait -1
	global_inv scope:SCOPE_SE
	v_add_f32_e32 v0, v0, v5
	ds_store_b32 v9, v0
.LBB61_104:
	v_cmp_lt_u64_e64 s1, s[28:29], 9
	s_wait_loadcnt_dscnt 0x0
	s_barrier_signal -1
	s_barrier_wait -1
	global_inv scope:SCOPE_SE
	s_and_b32 vcc_lo, exec_lo, s1
	s_wait_alu 0xfffe
	s_cbranch_vccnz .LBB61_106
; %bb.105:
	ds_load_b32 v5, v9 offset:32
	s_wait_loadcnt_dscnt 0x0
	s_barrier_signal -1
	s_barrier_wait -1
	global_inv scope:SCOPE_SE
	v_add_f32_e32 v0, v0, v5
	ds_store_b32 v9, v0
.LBB61_106:
	v_cmp_lt_u64_e64 s1, s[28:29], 5
	s_wait_loadcnt_dscnt 0x0
	s_barrier_signal -1
	s_barrier_wait -1
	global_inv scope:SCOPE_SE
	s_and_b32 vcc_lo, exec_lo, s1
	s_wait_alu 0xfffe
	s_cbranch_vccnz .LBB61_108
; %bb.107:
	ds_load_b32 v5, v9 offset:16
	s_wait_loadcnt_dscnt 0x0
	s_barrier_signal -1
	s_barrier_wait -1
	global_inv scope:SCOPE_SE
	v_add_f32_e32 v0, v0, v5
	ds_store_b32 v9, v0
.LBB61_108:
	s_cmp_eq_u64 s[28:29], 2
	s_wait_loadcnt_dscnt 0x0
	s_barrier_signal -1
	s_barrier_wait -1
	global_inv scope:SCOPE_SE
	s_cbranch_scc1 .LBB61_110
; %bb.109:
	ds_load_b32 v5, v9 offset:8
	s_wait_loadcnt_dscnt 0x0
	s_barrier_signal -1
	s_barrier_wait -1
	global_inv scope:SCOPE_SE
	v_add_f32_e32 v0, v0, v5
	ds_store_b32 v9, v0
.LBB61_110:
	s_wait_loadcnt_dscnt 0x0
	s_barrier_signal -1
	s_barrier_wait -1
	global_inv scope:SCOPE_SE
	ds_load_b32 v5, v9 offset:4
	v_cmp_eq_u64_e32 vcc_lo, 0, v[3:4]
	s_xor_b32 s0, s0, -1
	s_wait_loadcnt_dscnt 0x0
	s_barrier_signal -1
	s_barrier_wait -1
	global_inv scope:SCOPE_SE
	s_wait_alu 0xfffe
	s_and_b32 s0, vcc_lo, s0
	v_add_f32_e32 v3, v0, v5
	ds_store_b32 v9, v3
	s_wait_alu 0xfffe
	s_and_saveexec_b32 s1, s0
	s_cbranch_execz .LBB61_114
; %bb.111:
	v_lshlrev_b64_e32 v[0:1], 2, v[1:2]
	s_cmp_eq_f32 s24, 0
	s_cbranch_scc1 .LBB61_113
; %bb.112:
	s_delay_alu instid0(VALU_DEP_1) | instskip(SKIP_1) | instid1(VALU_DEP_2)
	v_add_co_u32 v4, vcc_lo, s26, v0
	s_wait_alu 0xfffd
	v_add_co_ci_u32_e64 v5, null, s27, v1, vcc_lo
	global_load_b32 v2, v[4:5], off
	s_wait_loadcnt 0x0
	v_fmac_f32_e32 v3, s24, v2
.LBB61_113:
	s_delay_alu instid0(VALU_DEP_1) | instskip(SKIP_1) | instid1(VALU_DEP_2)
	v_add_co_u32 v0, vcc_lo, s26, v0
	s_wait_alu 0xfffd
	v_add_co_ci_u32_e64 v1, null, s27, v1, vcc_lo
	global_store_b32 v[0:1], v3, off
.LBB61_114:
	s_endpgm
	.section	.rodata,"a",@progbits
	.p2align	6, 0x0
	.amdhsa_kernel _ZN9rocsparseL22csrmvn_adaptive_kernelIllaaffEEvbT_PKS1_PjPKT0_NS_24const_host_device_scalarIT4_EES3_S7_PKT1_PKT2_SA_PT3_21rocsparse_index_base_b
		.amdhsa_group_segment_fixed_size 4096
		.amdhsa_private_segment_fixed_size 0
		.amdhsa_kernarg_size 104
		.amdhsa_user_sgpr_count 2
		.amdhsa_user_sgpr_dispatch_ptr 0
		.amdhsa_user_sgpr_queue_ptr 0
		.amdhsa_user_sgpr_kernarg_segment_ptr 1
		.amdhsa_user_sgpr_dispatch_id 0
		.amdhsa_user_sgpr_private_segment_size 0
		.amdhsa_wavefront_size32 1
		.amdhsa_uses_dynamic_stack 0
		.amdhsa_enable_private_segment 0
		.amdhsa_system_sgpr_workgroup_id_x 1
		.amdhsa_system_sgpr_workgroup_id_y 0
		.amdhsa_system_sgpr_workgroup_id_z 0
		.amdhsa_system_sgpr_workgroup_info 0
		.amdhsa_system_vgpr_workitem_id 0
		.amdhsa_next_free_vgpr 16
		.amdhsa_next_free_sgpr 48
		.amdhsa_reserve_vcc 1
		.amdhsa_float_round_mode_32 0
		.amdhsa_float_round_mode_16_64 0
		.amdhsa_float_denorm_mode_32 3
		.amdhsa_float_denorm_mode_16_64 3
		.amdhsa_fp16_overflow 0
		.amdhsa_workgroup_processor_mode 1
		.amdhsa_memory_ordered 1
		.amdhsa_forward_progress 1
		.amdhsa_inst_pref_size 43
		.amdhsa_round_robin_scheduling 0
		.amdhsa_exception_fp_ieee_invalid_op 0
		.amdhsa_exception_fp_denorm_src 0
		.amdhsa_exception_fp_ieee_div_zero 0
		.amdhsa_exception_fp_ieee_overflow 0
		.amdhsa_exception_fp_ieee_underflow 0
		.amdhsa_exception_fp_ieee_inexact 0
		.amdhsa_exception_int_div_zero 0
	.end_amdhsa_kernel
	.section	.text._ZN9rocsparseL22csrmvn_adaptive_kernelIllaaffEEvbT_PKS1_PjPKT0_NS_24const_host_device_scalarIT4_EES3_S7_PKT1_PKT2_SA_PT3_21rocsparse_index_base_b,"axG",@progbits,_ZN9rocsparseL22csrmvn_adaptive_kernelIllaaffEEvbT_PKS1_PjPKT0_NS_24const_host_device_scalarIT4_EES3_S7_PKT1_PKT2_SA_PT3_21rocsparse_index_base_b,comdat
.Lfunc_end61:
	.size	_ZN9rocsparseL22csrmvn_adaptive_kernelIllaaffEEvbT_PKS1_PjPKT0_NS_24const_host_device_scalarIT4_EES3_S7_PKT1_PKT2_SA_PT3_21rocsparse_index_base_b, .Lfunc_end61-_ZN9rocsparseL22csrmvn_adaptive_kernelIllaaffEEvbT_PKS1_PjPKT0_NS_24const_host_device_scalarIT4_EES3_S7_PKT1_PKT2_SA_PT3_21rocsparse_index_base_b
                                        ; -- End function
	.set _ZN9rocsparseL22csrmvn_adaptive_kernelIllaaffEEvbT_PKS1_PjPKT0_NS_24const_host_device_scalarIT4_EES3_S7_PKT1_PKT2_SA_PT3_21rocsparse_index_base_b.num_vgpr, 16
	.set _ZN9rocsparseL22csrmvn_adaptive_kernelIllaaffEEvbT_PKS1_PjPKT0_NS_24const_host_device_scalarIT4_EES3_S7_PKT1_PKT2_SA_PT3_21rocsparse_index_base_b.num_agpr, 0
	.set _ZN9rocsparseL22csrmvn_adaptive_kernelIllaaffEEvbT_PKS1_PjPKT0_NS_24const_host_device_scalarIT4_EES3_S7_PKT1_PKT2_SA_PT3_21rocsparse_index_base_b.numbered_sgpr, 48
	.set _ZN9rocsparseL22csrmvn_adaptive_kernelIllaaffEEvbT_PKS1_PjPKT0_NS_24const_host_device_scalarIT4_EES3_S7_PKT1_PKT2_SA_PT3_21rocsparse_index_base_b.num_named_barrier, 0
	.set _ZN9rocsparseL22csrmvn_adaptive_kernelIllaaffEEvbT_PKS1_PjPKT0_NS_24const_host_device_scalarIT4_EES3_S7_PKT1_PKT2_SA_PT3_21rocsparse_index_base_b.private_seg_size, 0
	.set _ZN9rocsparseL22csrmvn_adaptive_kernelIllaaffEEvbT_PKS1_PjPKT0_NS_24const_host_device_scalarIT4_EES3_S7_PKT1_PKT2_SA_PT3_21rocsparse_index_base_b.uses_vcc, 1
	.set _ZN9rocsparseL22csrmvn_adaptive_kernelIllaaffEEvbT_PKS1_PjPKT0_NS_24const_host_device_scalarIT4_EES3_S7_PKT1_PKT2_SA_PT3_21rocsparse_index_base_b.uses_flat_scratch, 0
	.set _ZN9rocsparseL22csrmvn_adaptive_kernelIllaaffEEvbT_PKS1_PjPKT0_NS_24const_host_device_scalarIT4_EES3_S7_PKT1_PKT2_SA_PT3_21rocsparse_index_base_b.has_dyn_sized_stack, 0
	.set _ZN9rocsparseL22csrmvn_adaptive_kernelIllaaffEEvbT_PKS1_PjPKT0_NS_24const_host_device_scalarIT4_EES3_S7_PKT1_PKT2_SA_PT3_21rocsparse_index_base_b.has_recursion, 0
	.set _ZN9rocsparseL22csrmvn_adaptive_kernelIllaaffEEvbT_PKS1_PjPKT0_NS_24const_host_device_scalarIT4_EES3_S7_PKT1_PKT2_SA_PT3_21rocsparse_index_base_b.has_indirect_call, 0
	.section	.AMDGPU.csdata,"",@progbits
; Kernel info:
; codeLenInByte = 5452
; TotalNumSgprs: 50
; NumVgprs: 16
; ScratchSize: 0
; MemoryBound: 0
; FloatMode: 240
; IeeeMode: 1
; LDSByteSize: 4096 bytes/workgroup (compile time only)
; SGPRBlocks: 0
; VGPRBlocks: 1
; NumSGPRsForWavesPerEU: 50
; NumVGPRsForWavesPerEU: 16
; Occupancy: 16
; WaveLimiterHint : 1
; COMPUTE_PGM_RSRC2:SCRATCH_EN: 0
; COMPUTE_PGM_RSRC2:USER_SGPR: 2
; COMPUTE_PGM_RSRC2:TRAP_HANDLER: 0
; COMPUTE_PGM_RSRC2:TGID_X_EN: 1
; COMPUTE_PGM_RSRC2:TGID_Y_EN: 0
; COMPUTE_PGM_RSRC2:TGID_Z_EN: 0
; COMPUTE_PGM_RSRC2:TIDIG_COMP_CNT: 0
	.section	.text._ZN9rocsparseL27csrmvn_symm_adaptive_kernelIllaaffEEvbT_S1_PKS1_NS_24const_host_device_scalarIT4_EES3_PKT0_PKT1_PKT2_S6_PT3_21rocsparse_index_base_b,"axG",@progbits,_ZN9rocsparseL27csrmvn_symm_adaptive_kernelIllaaffEEvbT_S1_PKS1_NS_24const_host_device_scalarIT4_EES3_PKT0_PKT1_PKT2_S6_PT3_21rocsparse_index_base_b,comdat
	.globl	_ZN9rocsparseL27csrmvn_symm_adaptive_kernelIllaaffEEvbT_S1_PKS1_NS_24const_host_device_scalarIT4_EES3_PKT0_PKT1_PKT2_S6_PT3_21rocsparse_index_base_b ; -- Begin function _ZN9rocsparseL27csrmvn_symm_adaptive_kernelIllaaffEEvbT_S1_PKS1_NS_24const_host_device_scalarIT4_EES3_PKT0_PKT1_PKT2_S6_PT3_21rocsparse_index_base_b
	.p2align	8
	.type	_ZN9rocsparseL27csrmvn_symm_adaptive_kernelIllaaffEEvbT_S1_PKS1_NS_24const_host_device_scalarIT4_EES3_PKT0_PKT1_PKT2_S6_PT3_21rocsparse_index_base_b,@function
_ZN9rocsparseL27csrmvn_symm_adaptive_kernelIllaaffEEvbT_S1_PKS1_NS_24const_host_device_scalarIT4_EES3_PKT0_PKT1_PKT2_S6_PT3_21rocsparse_index_base_b: ; @_ZN9rocsparseL27csrmvn_symm_adaptive_kernelIllaaffEEvbT_S1_PKS1_NS_24const_host_device_scalarIT4_EES3_PKT0_PKT1_PKT2_S6_PT3_21rocsparse_index_base_b
; %bb.0:
	s_clause 0x2
	s_load_b64 s[24:25], s[0:1], 0x58
	s_load_b64 s[30:31], s[0:1], 0x20
	s_load_b64 s[2:3], s[0:1], 0x48
	s_wait_kmcnt 0x0
	s_bitcmp1_b32 s25, 0
	s_cselect_b32 s4, -1, 0
	s_delay_alu instid0(SALU_CYCLE_1)
	s_and_b32 vcc_lo, exec_lo, s4
	s_xor_b32 s4, s4, -1
	s_cbranch_vccnz .LBB62_2
; %bb.1:
	s_load_b32 s30, s[30:31], 0x0
.LBB62_2:
	s_and_not1_b32 vcc_lo, exec_lo, s4
	s_cbranch_vccnz .LBB62_4
; %bb.3:
	s_load_b32 s2, s[2:3], 0x0
.LBB62_4:
	s_wait_kmcnt 0x0
	s_cmp_neq_f32 s30, 0
	s_cselect_b32 s3, -1, 0
	s_cmp_neq_f32 s2, 1.0
	s_cselect_b32 s2, -1, 0
	s_delay_alu instid0(SALU_CYCLE_1) | instskip(NEXT) | instid1(SALU_CYCLE_1)
	s_or_b32 s2, s3, s2
	s_and_not1_b32 vcc_lo, exec_lo, s2
	s_cbranch_vccnz .LBB62_137
; %bb.5:
	s_load_b64 s[4:5], s[0:1], 0x18
	s_mov_b32 s2, ttmp9
	s_ashr_i32 s3, ttmp9, 31
	v_dual_mov_b32 v1, 0 :: v_dual_lshlrev_b32 v14, 2, v0
	s_lshl_b64 s[2:3], s[2:3], 3
	ds_store_2addr_stride64_b32 v14, v1, v1 offset1:4
	ds_store_2addr_stride64_b32 v14, v1, v1 offset0:8 offset1:12
	s_wait_dscnt 0x0
	s_barrier_signal -1
	s_barrier_wait -1
	global_inv scope:SCOPE_SE
	s_wait_kmcnt 0x0
	s_add_nc_u64 s[2:3], s[4:5], s[2:3]
	s_load_b128 s[16:19], s[2:3], 0x0
	s_clause 0x1
	s_load_b256 s[8:15], s[0:1], 0x28
	s_load_b64 s[20:21], s[0:1], 0x50
	s_wait_kmcnt 0x0
	s_sub_nc_u64 s[22:23], s[18:19], s[16:17]
	s_delay_alu instid0(SALU_CYCLE_1)
	v_cmp_gt_i64_e64 s2, s[22:23], 2
	s_and_b32 vcc_lo, exec_lo, s2
	s_mov_b32 s2, -1
	s_cbranch_vccnz .LBB62_36
; %bb.6:
	v_cmp_le_i64_e64 s2, s[18:19], s[16:17]
	v_sub_co_u32 v5, s3, v0, s24
	s_delay_alu instid0(VALU_DEP_1)
	v_sub_co_ci_u32_e64 v6, null, 0, 0, s3
	s_mov_b32 s25, 0
	s_and_b32 vcc_lo, exec_lo, s2
	s_cbranch_vccnz .LBB62_26
; %bb.7:
	v_cmp_gt_u32_e64 s2, 0x100, v0
	v_cmp_gt_u32_e64 s3, 64, v0
	;; [unrolled: 1-line block ×4, first 2 shown]
	v_cmp_eq_u32_e64 s6, 0, v0
	v_mov_b32_e32 v7, 0
	s_mov_b64 s[26:27], s[16:17]
	s_branch .LBB62_9
.LBB62_8:                               ;   in Loop: Header=BB62_9 Depth=1
	s_wait_alu 0xfffe
	s_or_b32 exec_lo, exec_lo, s7
	s_add_nc_u64 s[26:27], s[26:27], 1
	s_wait_alu 0xfffe
	v_cmp_ge_i64_e64 s7, s[26:27], s[18:19]
	s_and_b32 vcc_lo, exec_lo, s7
	s_wait_alu 0xfffe
	s_cbranch_vccnz .LBB62_26
.LBB62_9:                               ; =>This Loop Header: Depth=1
                                        ;     Child Loop BB62_11 Depth 2
	s_lshl_b64 s[28:29], s[26:27], 3
	v_mov_b32_e32 v8, 0
	s_wait_alu 0xfffe
	s_add_nc_u64 s[28:29], s[8:9], s[28:29]
	s_mov_b32 s31, exec_lo
	s_load_b128 s[36:39], s[28:29], 0x0
	s_wait_kmcnt 0x0
	v_add_co_u32 v1, vcc_lo, s36, v5
	s_wait_alu 0xfffd
	v_add_co_ci_u32_e64 v2, null, s37, v6, vcc_lo
	s_sub_nc_u64 s[28:29], s[38:39], s[24:25]
	s_wait_alu 0xfffe
	v_cmpx_gt_i64_e64 s[28:29], v[1:2]
	s_cbranch_execz .LBB62_13
; %bb.10:                               ;   in Loop: Header=BB62_9 Depth=1
	v_lshlrev_b64_e32 v[3:4], 3, v[1:2]
	v_mov_b32_e32 v8, 0
	s_mov_b32 s33, 0
	s_delay_alu instid0(VALU_DEP_2) | instskip(SKIP_1) | instid1(VALU_DEP_3)
	v_add_co_u32 v3, vcc_lo, s10, v3
	s_wait_alu 0xfffd
	v_add_co_ci_u32_e64 v4, null, s11, v4, vcc_lo
.LBB62_11:                              ;   Parent Loop BB62_9 Depth=1
                                        ; =>  This Inner Loop Header: Depth=2
	global_load_b64 v[9:10], v[3:4], off
	v_add_co_u32 v11, vcc_lo, s12, v1
	s_wait_alu 0xfffd
	v_add_co_ci_u32_e64 v12, null, s13, v2, vcc_lo
	s_wait_loadcnt 0x0
	v_sub_co_u32 v9, s7, v9, s24
	s_wait_alu 0xf1ff
	v_subrev_co_ci_u32_e64 v10, null, 0, v10, s7
	v_add_co_u32 v3, s7, 0x800, v3
	s_delay_alu instid0(VALU_DEP_3) | instskip(SKIP_1) | instid1(VALU_DEP_3)
	v_add_co_u32 v9, vcc_lo, s14, v9
	s_wait_alu 0xfffd
	v_add_co_ci_u32_e64 v10, null, s15, v10, vcc_lo
	v_add_co_u32 v1, vcc_lo, 0x100, v1
	global_load_i8 v11, v[11:12], off
	global_load_i8 v9, v[9:10], off
	s_wait_alu 0xfffd
	v_add_co_ci_u32_e64 v2, null, 0, v2, vcc_lo
	s_wait_alu 0xf1ff
	v_add_co_ci_u32_e64 v4, null, 0, v4, s7
	s_delay_alu instid0(VALU_DEP_2)
	v_cmp_le_i64_e32 vcc_lo, s[28:29], v[1:2]
	s_or_b32 s33, vcc_lo, s33
	s_wait_loadcnt 0x1
	v_cvt_f32_i32_e32 v10, v11
	s_wait_loadcnt 0x0
	v_cvt_f32_i32_e32 v9, v9
	s_delay_alu instid0(VALU_DEP_1)
	v_fmac_f32_e32 v8, v10, v9
	s_and_not1_b32 exec_lo, exec_lo, s33
	s_cbranch_execnz .LBB62_11
; %bb.12:                               ;   in Loop: Header=BB62_9 Depth=1
	s_or_b32 exec_lo, exec_lo, s33
.LBB62_13:                              ;   in Loop: Header=BB62_9 Depth=1
	s_delay_alu instid0(SALU_CYCLE_1)
	s_or_b32 exec_lo, exec_lo, s31
	ds_store_b32 v14, v8
	s_wait_loadcnt_dscnt 0x0
	s_barrier_signal -1
	s_barrier_wait -1
	global_inv scope:SCOPE_SE
	s_and_saveexec_b32 s7, s2
	s_cbranch_execz .LBB62_15
; %bb.14:                               ;   in Loop: Header=BB62_9 Depth=1
	ds_load_2addr_stride64_b32 v[1:2], v14 offset1:4
	ds_load_2addr_stride64_b32 v[3:4], v14 offset0:8 offset1:12
	s_wait_dscnt 0x0
	v_add_f32_e32 v2, v2, v3
	s_delay_alu instid0(VALU_DEP_1) | instskip(NEXT) | instid1(VALU_DEP_1)
	v_add_f32_e32 v2, v2, v4
	v_add_f32_e32 v1, v1, v2
	ds_store_b32 v14, v1
.LBB62_15:                              ;   in Loop: Header=BB62_9 Depth=1
	s_wait_alu 0xfffe
	s_or_b32 exec_lo, exec_lo, s7
	s_wait_loadcnt_dscnt 0x0
	s_barrier_signal -1
	s_barrier_wait -1
	global_inv scope:SCOPE_SE
	s_and_saveexec_b32 s7, s3
	s_cbranch_execz .LBB62_17
; %bb.16:                               ;   in Loop: Header=BB62_9 Depth=1
	ds_load_2addr_stride64_b32 v[1:2], v14 offset1:1
	ds_load_2addr_stride64_b32 v[3:4], v14 offset0:2 offset1:3
	s_wait_dscnt 0x0
	v_add_f32_e32 v2, v2, v3
	s_delay_alu instid0(VALU_DEP_1) | instskip(NEXT) | instid1(VALU_DEP_1)
	v_add_f32_e32 v2, v2, v4
	v_add_f32_e32 v1, v1, v2
	ds_store_b32 v14, v1
.LBB62_17:                              ;   in Loop: Header=BB62_9 Depth=1
	s_wait_alu 0xfffe
	s_or_b32 exec_lo, exec_lo, s7
	s_wait_loadcnt_dscnt 0x0
	s_barrier_signal -1
	s_barrier_wait -1
	global_inv scope:SCOPE_SE
	s_and_saveexec_b32 s7, s4
	s_cbranch_execz .LBB62_19
; %bb.18:                               ;   in Loop: Header=BB62_9 Depth=1
	ds_load_2addr_b32 v[1:2], v14 offset1:16
	ds_load_2addr_b32 v[3:4], v14 offset0:32 offset1:48
	s_wait_dscnt 0x0
	v_add_f32_e32 v2, v2, v3
	s_delay_alu instid0(VALU_DEP_1) | instskip(NEXT) | instid1(VALU_DEP_1)
	v_add_f32_e32 v2, v2, v4
	v_add_f32_e32 v1, v1, v2
	ds_store_b32 v14, v1
.LBB62_19:                              ;   in Loop: Header=BB62_9 Depth=1
	s_wait_alu 0xfffe
	s_or_b32 exec_lo, exec_lo, s7
	s_wait_loadcnt_dscnt 0x0
	s_barrier_signal -1
	s_barrier_wait -1
	global_inv scope:SCOPE_SE
	s_and_saveexec_b32 s7, s5
	s_cbranch_execz .LBB62_21
; %bb.20:                               ;   in Loop: Header=BB62_9 Depth=1
	ds_load_2addr_b32 v[1:2], v14 offset1:4
	ds_load_2addr_b32 v[3:4], v14 offset0:8 offset1:12
	s_wait_dscnt 0x0
	v_add_f32_e32 v2, v2, v3
	s_delay_alu instid0(VALU_DEP_1) | instskip(NEXT) | instid1(VALU_DEP_1)
	v_add_f32_e32 v2, v2, v4
	v_add_f32_e32 v1, v1, v2
	ds_store_b32 v14, v1
.LBB62_21:                              ;   in Loop: Header=BB62_9 Depth=1
	s_wait_alu 0xfffe
	s_or_b32 exec_lo, exec_lo, s7
	s_wait_loadcnt_dscnt 0x0
	s_barrier_signal -1
	s_barrier_wait -1
	global_inv scope:SCOPE_SE
	s_and_saveexec_b32 s7, s6
	s_cbranch_execz .LBB62_23
; %bb.22:                               ;   in Loop: Header=BB62_9 Depth=1
	ds_load_2addr_b32 v[1:2], v7 offset0:1 offset1:2
	ds_load_b32 v3, v7 offset:12
	ds_load_b32 v4, v14
	s_wait_dscnt 0x2
	v_add_f32_e32 v1, v1, v2
	s_wait_dscnt 0x1
	s_delay_alu instid0(VALU_DEP_1) | instskip(SKIP_1) | instid1(VALU_DEP_1)
	v_add_f32_e32 v1, v1, v3
	s_wait_dscnt 0x0
	v_add_f32_e32 v1, v4, v1
	ds_store_b32 v14, v1
.LBB62_23:                              ;   in Loop: Header=BB62_9 Depth=1
	s_wait_alu 0xfffe
	s_or_b32 exec_lo, exec_lo, s7
	s_wait_loadcnt_dscnt 0x0
	s_barrier_signal -1
	s_barrier_wait -1
	global_inv scope:SCOPE_SE
	s_and_saveexec_b32 s7, s6
	s_cbranch_execz .LBB62_8
; %bb.24:                               ;   in Loop: Header=BB62_9 Depth=1
	s_mov_b32 s28, exec_lo
	s_wait_alu 0xfffe
	v_mbcnt_lo_u32_b32 v1, s28, 0
	s_delay_alu instid0(VALU_DEP_1)
	v_cmp_eq_u32_e32 vcc_lo, 0, v1
	s_and_b32 s29, exec_lo, vcc_lo
	s_wait_alu 0xfffe
	s_mov_b32 exec_lo, s29
	s_cbranch_execz .LBB62_8
; %bb.25:                               ;   in Loop: Header=BB62_9 Depth=1
	ds_load_b32 v1, v7
	s_bcnt1_i32_b32 s28, s28
	s_wait_alu 0xfffe
	v_cvt_f32_ubyte0_e32 v2, s28
	s_lshl_b64 s[28:29], s[26:27], 2
	s_wait_alu 0xfffe
	s_add_nc_u64 s[28:29], s[20:21], s[28:29]
	s_wait_dscnt 0x0
	v_mul_f32_e32 v1, s30, v1
	s_delay_alu instid0(VALU_DEP_1)
	v_mul_f32_e32 v1, v1, v2
	global_atomic_add_f32 v7, v1, s[28:29] scope:SCOPE_DEV
	s_branch .LBB62_8
.LBB62_26:
	s_lshl_b64 s[2:3], s[16:17], 3
	s_lshl_b64 s[4:5], s[18:19], 3
	s_wait_alu 0xfffe
	s_add_nc_u64 s[2:3], s[8:9], s[2:3]
	s_add_nc_u64 s[4:5], s[8:9], s[4:5]
	s_clause 0x1
	s_load_b64 s[2:3], s[2:3], 0x0
	s_load_b64 s[4:5], s[4:5], 0x0
	s_wait_kmcnt 0x0
	v_add_co_u32 v1, vcc_lo, s2, v5
	s_wait_alu 0xfffd
	v_add_co_ci_u32_e64 v2, null, s3, v6, vcc_lo
	s_sub_nc_u64 s[4:5], s[4:5], s[24:25]
	s_mov_b32 s3, exec_lo
	v_cmpx_gt_i64_e64 s[4:5], v[1:2]
	s_cbranch_execz .LBB62_35
; %bb.27:
	s_add_nc_u64 s[6:7], s[18:19], -1
	s_add_nc_u64 s[26:27], s[18:19], -2
	s_wait_alu 0xfffe
	v_cmp_lt_i64_e64 s2, s[16:17], s[6:7]
	s_cmp_lg_u64 s[16:17], s[26:27]
	s_mov_b32 s26, 0
	s_cselect_b32 s25, -1, 0
	s_wait_alu 0xfffe
	s_and_b32 s25, s2, s25
	s_branch .LBB62_29
.LBB62_28:                              ;   in Loop: Header=BB62_29 Depth=1
	s_wait_alu 0xfffe
	s_or_b32 exec_lo, exec_lo, s2
	v_add_co_u32 v1, vcc_lo, 0x100, v1
	s_wait_alu 0xfffd
	v_add_co_ci_u32_e64 v2, null, 0, v2, vcc_lo
	s_delay_alu instid0(VALU_DEP_1)
	v_cmp_le_i64_e32 vcc_lo, s[4:5], v[1:2]
	s_or_b32 s26, vcc_lo, s26
	s_wait_alu 0xfffe
	s_and_not1_b32 exec_lo, exec_lo, s26
	s_cbranch_execz .LBB62_35
.LBB62_29:                              ; =>This Loop Header: Depth=1
                                        ;     Child Loop BB62_31 Depth 2
	v_dual_mov_b32 v3, s16 :: v_dual_mov_b32 v4, s17
	v_dual_mov_b32 v5, s6 :: v_dual_mov_b32 v6, s7
	s_wait_alu 0xfffe
	s_and_not1_b32 vcc_lo, exec_lo, s25
	s_wait_alu 0xfffe
	s_cbranch_vccnz .LBB62_33
; %bb.30:                               ;   in Loop: Header=BB62_29 Depth=1
	v_dual_mov_b32 v3, s16 :: v_dual_mov_b32 v4, s17
	v_dual_mov_b32 v5, s6 :: v_dual_mov_b32 v6, s7
	s_mov_b32 s27, 0
.LBB62_31:                              ;   Parent Loop BB62_29 Depth=1
                                        ; =>  This Inner Loop Header: Depth=2
	s_delay_alu instid0(VALU_DEP_1) | instskip(SKIP_1) | instid1(VALU_DEP_2)
	v_add_co_u32 v7, vcc_lo, v5, v3
	s_wait_alu 0xfffd
	v_add_co_ci_u32_e64 v8, null, v6, v4, vcc_lo
	s_delay_alu instid0(VALU_DEP_1) | instskip(NEXT) | instid1(VALU_DEP_1)
	v_lshrrev_b32_e32 v9, 31, v8
	v_add_co_u32 v7, vcc_lo, v7, v9
	s_wait_alu 0xfffd
	v_add_co_ci_u32_e64 v8, null, 0, v8, vcc_lo
	s_delay_alu instid0(VALU_DEP_1) | instskip(NEXT) | instid1(VALU_DEP_1)
	v_ashrrev_i64 v[7:8], 1, v[7:8]
	v_lshlrev_b64_e32 v[9:10], 3, v[7:8]
	s_delay_alu instid0(VALU_DEP_1) | instskip(SKIP_1) | instid1(VALU_DEP_2)
	v_add_co_u32 v9, vcc_lo, s8, v9
	s_wait_alu 0xfffd
	v_add_co_ci_u32_e64 v10, null, s9, v10, vcc_lo
	global_load_b64 v[9:10], v[9:10], off
	s_wait_loadcnt 0x0
	v_sub_co_u32 v9, vcc_lo, v9, s24
	s_wait_alu 0xfffd
	v_subrev_co_ci_u32_e64 v10, null, 0, v10, vcc_lo
	s_delay_alu instid0(VALU_DEP_1) | instskip(SKIP_3) | instid1(VALU_DEP_2)
	v_cmp_lt_i64_e32 vcc_lo, v[1:2], v[9:10]
	s_wait_alu 0xfffd
	v_dual_cndmask_b32 v6, v6, v8 :: v_dual_cndmask_b32 v5, v5, v7
	v_dual_cndmask_b32 v4, v8, v4 :: v_dual_cndmask_b32 v3, v7, v3
	v_add_co_u32 v7, vcc_lo, v5, -1
	s_wait_alu 0xfffd
	s_delay_alu instid0(VALU_DEP_3) | instskip(NEXT) | instid1(VALU_DEP_3)
	v_add_co_ci_u32_e64 v8, null, -1, v6, vcc_lo
	v_cmp_ge_i64_e32 vcc_lo, v[3:4], v[5:6]
	s_delay_alu instid0(VALU_DEP_2)
	v_cmp_eq_u64_e64 s2, v[3:4], v[7:8]
	s_or_b32 s2, vcc_lo, s2
	s_wait_alu 0xfffe
	s_and_b32 s2, exec_lo, s2
	s_wait_alu 0xfffe
	s_or_b32 s27, s2, s27
	s_wait_alu 0xfffe
	s_and_not1_b32 exec_lo, exec_lo, s27
	s_cbranch_execnz .LBB62_31
; %bb.32:                               ;   in Loop: Header=BB62_29 Depth=1
	s_or_b32 exec_lo, exec_lo, s27
.LBB62_33:                              ;   in Loop: Header=BB62_29 Depth=1
	v_lshlrev_b64_e32 v[7:8], 3, v[5:6]
	v_lshlrev_b64_e32 v[9:10], 3, v[1:2]
	s_mov_b32 s2, exec_lo
	s_delay_alu instid0(VALU_DEP_2) | instskip(SKIP_1) | instid1(VALU_DEP_3)
	v_add_co_u32 v7, vcc_lo, s8, v7
	s_wait_alu 0xfffd
	v_add_co_ci_u32_e64 v8, null, s9, v8, vcc_lo
	s_delay_alu instid0(VALU_DEP_3)
	v_add_co_u32 v9, vcc_lo, s10, v9
	s_wait_alu 0xfffd
	v_add_co_ci_u32_e64 v10, null, s11, v10, vcc_lo
	global_load_b64 v[7:8], v[7:8], off
	global_load_b64 v[9:10], v[9:10], off
	s_wait_loadcnt 0x1
	v_sub_co_u32 v7, vcc_lo, v7, s24
	s_wait_alu 0xfffd
	v_subrev_co_ci_u32_e64 v8, null, 0, v8, vcc_lo
	s_delay_alu instid0(VALU_DEP_1)
	v_cmp_lt_i64_e32 vcc_lo, v[1:2], v[7:8]
	s_wait_alu 0xfffd
	v_dual_cndmask_b32 v6, v6, v4 :: v_dual_cndmask_b32 v5, v5, v3
	s_wait_loadcnt 0x0
	v_sub_co_u32 v3, vcc_lo, v9, s24
	s_wait_alu 0xfffd
	v_subrev_co_ci_u32_e64 v4, null, 0, v10, vcc_lo
	s_delay_alu instid0(VALU_DEP_1)
	v_cmpx_ne_u64_e64 v[3:4], v[5:6]
	s_cbranch_execz .LBB62_28
; %bb.34:                               ;   in Loop: Header=BB62_29 Depth=1
	v_add_co_u32 v7, vcc_lo, s12, v1
	s_wait_alu 0xfffd
	v_add_co_ci_u32_e64 v8, null, s13, v2, vcc_lo
	v_add_co_u32 v5, vcc_lo, s14, v5
	s_wait_alu 0xfffd
	v_add_co_ci_u32_e64 v6, null, s15, v6, vcc_lo
	global_load_i8 v7, v[7:8], off
	v_lshlrev_b64_e32 v[3:4], 2, v[3:4]
	global_load_i8 v5, v[5:6], off
	v_add_co_u32 v3, vcc_lo, s20, v3
	s_wait_alu 0xfffd
	v_add_co_ci_u32_e64 v4, null, s21, v4, vcc_lo
	s_wait_loadcnt 0x1
	v_cvt_f32_i32_e32 v6, v7
	s_wait_loadcnt 0x0
	v_cvt_f32_i32_e32 v5, v5
	s_delay_alu instid0(VALU_DEP_2) | instskip(NEXT) | instid1(VALU_DEP_1)
	v_mul_f32_e32 v6, s30, v6
	v_mul_f32_e32 v5, v6, v5
	global_atomic_add_f32 v[3:4], v5, off scope:SCOPE_DEV
	s_branch .LBB62_28
.LBB62_35:
	s_wait_alu 0xfffe
	s_or_b32 exec_lo, exec_lo, s3
	s_mov_b32 s2, 0
.LBB62_36:
	s_wait_alu 0xfffe
	s_and_b32 vcc_lo, exec_lo, s2
	s_wait_alu 0xfffe
	s_cbranch_vccz .LBB62_137
; %bb.37:
	s_load_b32 s2, s[0:1], 0x6c
	s_mov_b32 s25, 0
	s_mov_b64 s[28:29], 0
	s_wait_alu 0xfffe
	s_mov_b32 s7, s25
	s_wait_kmcnt 0x0
	s_and_b32 s6, s2, 0xffff
	s_wait_alu 0xfffe
	v_cmp_lt_u64_e64 s2, s[6:7], s[22:23]
	s_and_b32 vcc_lo, exec_lo, s2
	s_wait_alu 0xfffe
	s_cbranch_vccnz .LBB62_39
; %bb.38:
	v_cvt_f32_u32_e32 v1, s22
	s_sub_co_i32 s3, 0, s22
	s_delay_alu instid0(VALU_DEP_1) | instskip(NEXT) | instid1(TRANS32_DEP_1)
	v_rcp_iflag_f32_e32 v1, v1
	v_mul_f32_e32 v1, 0x4f7ffffe, v1
	s_delay_alu instid0(VALU_DEP_1) | instskip(NEXT) | instid1(VALU_DEP_1)
	v_cvt_u32_f32_e32 v1, v1
	v_readfirstlane_b32 s2, v1
	s_wait_alu 0xfffe
	s_mul_i32 s3, s3, s2
	s_wait_alu 0xfffe
	s_mul_hi_u32 s3, s2, s3
	s_wait_alu 0xfffe
	s_add_co_i32 s2, s2, s3
	s_wait_alu 0xfffe
	s_mul_hi_u32 s2, s6, s2
	s_wait_alu 0xfffe
	s_mul_i32 s3, s2, s22
	s_add_co_i32 s4, s2, 1
	s_wait_alu 0xfffe
	s_sub_co_i32 s3, s6, s3
	s_wait_alu 0xfffe
	s_sub_co_i32 s5, s3, s22
	s_cmp_ge_u32 s3, s22
	s_cselect_b32 s2, s4, s2
	s_wait_alu 0xfffe
	s_cselect_b32 s3, s5, s3
	s_add_co_i32 s4, s2, 1
	s_wait_alu 0xfffe
	s_cmp_ge_u32 s3, s22
	s_cselect_b32 s28, s4, s2
.LBB62_39:
	s_lshl_b64 s[2:3], s[16:17], 3
	v_sub_co_u32 v1, s7, v0, s24
	s_wait_alu 0xfffe
	s_add_nc_u64 s[26:27], s[8:9], s[2:3]
	s_load_b64 s[4:5], s[26:27], 0x0
	s_load_b128 s[0:3], s[0:1], 0x8
	v_sub_co_ci_u32_e64 v2, null, 0, 0, s7
	s_wait_kmcnt 0x0
	v_add_co_u32 v4, vcc_lo, s4, v1
	s_wait_alu 0xfffd
	s_delay_alu instid0(VALU_DEP_2) | instskip(SKIP_1) | instid1(VALU_DEP_3)
	v_add_co_ci_u32_e64 v5, null, s5, v2, vcc_lo
	v_mov_b32_e32 v1, 0
	v_add_co_u32 v2, vcc_lo, 0x300, v4
	s_wait_alu 0xfffd
	s_delay_alu instid0(VALU_DEP_3) | instskip(NEXT) | instid1(VALU_DEP_1)
	v_add_co_ci_u32_e64 v3, null, 0, v5, vcc_lo
	v_cmp_le_i64_e32 vcc_lo, s[0:1], v[2:3]
	s_and_saveexec_b32 s0, vcc_lo
	s_wait_alu 0xfffe
	s_xor_b32 s1, exec_lo, s0
	s_cbranch_execz .LBB62_44
; %bb.40:
	s_lshl_b64 s[34:35], s[18:19], 3
	s_mov_b32 s7, exec_lo
	s_add_nc_u64 s[34:35], s[8:9], s[34:35]
	s_load_b64 s[34:35], s[34:35], 0x0
	s_wait_kmcnt 0x0
	s_sub_nc_u64 s[34:35], s[34:35], s[4:5]
	s_delay_alu instid0(SALU_CYCLE_1)
	v_cmpx_gt_i64_e64 s[34:35], v[0:1]
	s_cbranch_execz .LBB62_43
; %bb.41:
	v_dual_mov_b32 v8, v14 :: v_dual_mov_b32 v7, v1
	v_mov_b32_e32 v6, v0
	s_sub_nc_u64 s[36:37], s[4:5], s[24:25]
	s_mov_b32 s29, 0
	s_wait_alu 0xfffe
	s_add_nc_u64 s[36:37], s[12:13], s[36:37]
.LBB62_42:                              ; =>This Inner Loop Header: Depth=1
	s_wait_alu 0xfffe
	v_add_co_u32 v9, s0, s36, v6
	s_wait_alu 0xf1ff
	v_add_co_ci_u32_e64 v10, null, s37, v7, s0
	v_add_co_u32 v6, s0, 0x100, v6
	s_wait_alu 0xf1ff
	v_add_co_ci_u32_e64 v7, null, 0, v7, s0
	global_load_i8 v9, v[9:10], off
	v_cmp_le_i64_e64 s0, s[34:35], v[6:7]
	s_or_b32 s29, s0, s29
	s_wait_loadcnt 0x0
	v_cvt_f32_i32_e32 v9, v9
	s_delay_alu instid0(VALU_DEP_1)
	v_mul_f32_e32 v9, s30, v9
	ds_store_b32 v8, v9
	v_add_nc_u32_e32 v8, 0x400, v8
	s_wait_alu 0xfffe
	s_and_not1_b32 exec_lo, exec_lo, s29
	s_cbranch_execnz .LBB62_42
.LBB62_43:
	s_or_b32 exec_lo, exec_lo, s7
.LBB62_44:
	s_wait_alu 0xfffe
	s_and_not1_saveexec_b32 s1, s1
	s_cbranch_execz .LBB62_46
; %bb.45:
	v_add_co_u32 v6, s0, s12, v4
	s_wait_alu 0xf1ff
	v_add_co_ci_u32_e64 v7, null, s13, v5, s0
	s_clause 0x3
	global_load_i8 v8, v[6:7], off
	global_load_i8 v9, v[6:7], off offset:256
	global_load_i8 v10, v[6:7], off offset:512
	;; [unrolled: 1-line block ×3, first 2 shown]
	s_wait_loadcnt 0x3
	v_cvt_f32_i32_e32 v7, v8
	s_wait_loadcnt 0x2
	v_cvt_f32_i32_e32 v8, v9
	;; [unrolled: 2-line block ×4, first 2 shown]
	v_dual_mul_f32 v7, s30, v7 :: v_dual_mul_f32 v8, s30, v8
	s_delay_alu instid0(VALU_DEP_2)
	v_dual_mul_f32 v9, s30, v9 :: v_dual_mul_f32 v6, s30, v6
	ds_store_2addr_stride64_b32 v14, v7, v8 offset1:4
	ds_store_2addr_stride64_b32 v14, v9, v6 offset0:8 offset1:12
.LBB62_46:
	s_wait_alu 0xfffe
	s_or_b32 exec_lo, exec_lo, s1
	v_lshl_add_u32 v15, v0, 2, 0x1000
	s_mov_b32 s1, exec_lo
	v_cmpx_gt_i64_e64 s[2:3], v[0:1]
	s_cbranch_execz .LBB62_49
; %bb.47:
	v_mov_b32_e32 v7, v1
	v_lshl_add_u32 v8, v0, 2, 0x1000
	v_dual_mov_b32 v9, 0 :: v_dual_mov_b32 v6, v0
	s_mov_b32 s7, 0
.LBB62_48:                              ; =>This Inner Loop Header: Depth=1
	s_delay_alu instid0(VALU_DEP_1)
	v_add_co_u32 v6, s0, 0x100, v6
	s_wait_alu 0xf1ff
	v_add_co_ci_u32_e64 v7, null, 0, v7, s0
	ds_store_b32 v8, v9
	v_add_nc_u32_e32 v8, 0x400, v8
	v_cmp_le_i64_e64 s0, s[2:3], v[6:7]
	s_wait_alu 0xfffe
	s_or_b32 s7, s0, s7
	s_wait_alu 0xfffe
	s_and_not1_b32 exec_lo, exec_lo, s7
	s_cbranch_execnz .LBB62_48
.LBB62_49:
	s_wait_alu 0xfffe
	s_or_b32 exec_lo, exec_lo, s1
	v_cmp_ge_i64_e64 s7, s[18:19], s[2:3]
	s_sub_nc_u64 s[0:1], s[18:19], s[2:3]
	s_wait_storecnt 0x0
	s_wait_loadcnt_dscnt 0x0
	s_barrier_signal -1
	s_barrier_wait -1
	global_inv scope:SCOPE_SE
	s_and_b32 s7, s7, exec_lo
	s_wait_alu 0xfffe
	s_cselect_b32 s13, s1, 0
	s_cselect_b32 s12, s0, 0
	s_and_saveexec_b32 s0, vcc_lo
	s_wait_alu 0xfffe
	s_xor_b32 s7, exec_lo, s0
	s_cbranch_execz .LBB62_66
; %bb.50:
	s_lshl_b64 s[0:1], s[18:19], 3
	s_mov_b32 s29, exec_lo
	s_wait_alu 0xfffe
	s_add_nc_u64 s[0:1], s[8:9], s[0:1]
	s_load_b64 s[0:1], s[0:1], 0x0
	s_wait_kmcnt 0x0
	s_sub_nc_u64 s[30:31], s[0:1], s[4:5]
	s_wait_alu 0xfffe
	v_cmpx_gt_i64_e64 s[30:31], v[0:1]
	s_cbranch_execz .LBB62_65
; %bb.51:
	s_add_nc_u64 s[34:35], s[18:19], -2
	s_sub_nc_u64 s[36:37], s[0:1], s[24:25]
	s_wait_alu 0xfffe
	s_cmp_lg_u64 s[16:17], s[34:35]
	s_add_nc_u64 s[34:35], s[18:19], -1
	s_cselect_b32 s33, -1, 0
	s_mov_b64 s[38:39], 0
	s_mov_b32 s1, 0
	s_branch .LBB62_54
.LBB62_52:                              ;   in Loop: Header=BB62_54 Depth=1
	s_wait_alu 0xfffe
	s_or_b32 exec_lo, exec_lo, s0
.LBB62_53:                              ;   in Loop: Header=BB62_54 Depth=1
	s_delay_alu instid0(SALU_CYCLE_1)
	s_or_b32 exec_lo, exec_lo, s40
	v_add_co_u32 v2, vcc_lo, s14, v2
	s_wait_alu 0xfffd
	v_add_co_ci_u32_e64 v3, null, s15, v3, vcc_lo
	s_add_nc_u64 s[38:39], s[38:39], 0x100
	global_load_i8 v7, v[2:3], off
	s_wait_alu 0xfffe
	v_add_co_u32 v2, s0, s38, v0
	s_wait_alu 0xf1ff
	v_add_co_ci_u32_e64 v3, null, s39, 0, s0
	s_delay_alu instid0(VALU_DEP_1) | instskip(SKIP_4) | instid1(VALU_DEP_1)
	v_cmp_le_i64_e32 vcc_lo, s[30:31], v[2:3]
	s_or_b32 s1, vcc_lo, s1
	s_wait_loadcnt 0x0
	v_cvt_f32_i32_e32 v7, v7
	s_wait_dscnt 0x0
	v_dual_mul_f32 v3, v6, v7 :: v_dual_lshlrev_b32 v2, 2, v10
	ds_store_b32 v2, v3
	s_wait_alu 0xfffe
	s_and_not1_b32 exec_lo, exec_lo, s1
	s_cbranch_execz .LBB62_65
.LBB62_54:                              ; =>This Loop Header: Depth=1
                                        ;     Child Loop BB62_56 Depth 2
	v_add_co_u32 v6, vcc_lo, s38, v4
	s_wait_alu 0xfffd
	v_add_co_ci_u32_e64 v7, null, s39, v5, vcc_lo
	v_dual_mov_b32 v8, s16 :: v_dual_mov_b32 v9, s17
	s_wait_alu 0xfffe
	v_dual_mov_b32 v10, s34 :: v_dual_mov_b32 v11, s35
	s_and_not1_b32 vcc_lo, exec_lo, s33
	s_wait_alu 0xfffe
	s_cbranch_vccnz .LBB62_58
; %bb.55:                               ;   in Loop: Header=BB62_54 Depth=1
	v_dual_mov_b32 v8, s16 :: v_dual_mov_b32 v9, s17
	v_dual_mov_b32 v10, s34 :: v_dual_mov_b32 v11, s35
	s_mov_b32 s40, 0
.LBB62_56:                              ;   Parent Loop BB62_54 Depth=1
                                        ; =>  This Inner Loop Header: Depth=2
	s_delay_alu instid0(VALU_DEP_1) | instskip(SKIP_1) | instid1(VALU_DEP_2)
	v_add_co_u32 v2, vcc_lo, v10, v8
	s_wait_alu 0xfffd
	v_add_co_ci_u32_e64 v3, null, v11, v9, vcc_lo
	s_delay_alu instid0(VALU_DEP_1) | instskip(NEXT) | instid1(VALU_DEP_1)
	v_lshrrev_b32_e32 v12, 31, v3
	v_add_co_u32 v2, vcc_lo, v2, v12
	s_wait_alu 0xfffd
	v_add_co_ci_u32_e64 v3, null, 0, v3, vcc_lo
	s_delay_alu instid0(VALU_DEP_1) | instskip(NEXT) | instid1(VALU_DEP_1)
	v_ashrrev_i64 v[2:3], 1, v[2:3]
	v_lshlrev_b64_e32 v[12:13], 3, v[2:3]
	s_delay_alu instid0(VALU_DEP_1) | instskip(SKIP_1) | instid1(VALU_DEP_2)
	v_add_co_u32 v12, vcc_lo, s8, v12
	s_wait_alu 0xfffd
	v_add_co_ci_u32_e64 v13, null, s9, v13, vcc_lo
	global_load_b64 v[12:13], v[12:13], off
	s_wait_loadcnt 0x0
	v_sub_co_u32 v12, vcc_lo, v12, s24
	s_wait_alu 0xfffd
	v_subrev_co_ci_u32_e64 v13, null, 0, v13, vcc_lo
	s_delay_alu instid0(VALU_DEP_1) | instskip(SKIP_3) | instid1(VALU_DEP_2)
	v_cmp_lt_i64_e32 vcc_lo, v[6:7], v[12:13]
	s_wait_alu 0xfffd
	v_dual_cndmask_b32 v11, v11, v3 :: v_dual_cndmask_b32 v10, v10, v2
	v_dual_cndmask_b32 v9, v3, v9 :: v_dual_cndmask_b32 v8, v2, v8
	v_add_co_u32 v2, vcc_lo, v10, -1
	s_wait_alu 0xfffd
	s_delay_alu instid0(VALU_DEP_3) | instskip(NEXT) | instid1(VALU_DEP_3)
	v_add_co_ci_u32_e64 v3, null, -1, v11, vcc_lo
	v_cmp_ge_i64_e32 vcc_lo, v[8:9], v[10:11]
	s_delay_alu instid0(VALU_DEP_2)
	v_cmp_eq_u64_e64 s0, v[8:9], v[2:3]
	s_or_b32 s0, vcc_lo, s0
	s_wait_alu 0xfffe
	s_and_b32 s0, exec_lo, s0
	s_wait_alu 0xfffe
	s_or_b32 s40, s0, s40
	s_delay_alu instid0(SALU_CYCLE_1)
	s_and_not1_b32 exec_lo, exec_lo, s40
	s_cbranch_execnz .LBB62_56
; %bb.57:                               ;   in Loop: Header=BB62_54 Depth=1
	s_or_b32 exec_lo, exec_lo, s40
.LBB62_58:                              ;   in Loop: Header=BB62_54 Depth=1
	s_delay_alu instid0(VALU_DEP_1) | instskip(SKIP_1) | instid1(VALU_DEP_2)
	v_lshlrev_b64_e32 v[2:3], 3, v[10:11]
	v_lshlrev_b64_e32 v[12:13], 3, v[6:7]
	v_add_co_u32 v2, vcc_lo, s8, v2
	s_wait_alu 0xfffd
	s_delay_alu instid0(VALU_DEP_3) | instskip(NEXT) | instid1(VALU_DEP_3)
	v_add_co_ci_u32_e64 v3, null, s9, v3, vcc_lo
	v_add_co_u32 v12, vcc_lo, s10, v12
	s_wait_alu 0xfffd
	v_add_co_ci_u32_e64 v13, null, s11, v13, vcc_lo
	global_load_b64 v[2:3], v[2:3], off
	global_load_b64 v[12:13], v[12:13], off
	s_wait_loadcnt 0x1
	v_sub_co_u32 v2, vcc_lo, v2, s24
	s_wait_alu 0xfffd
	v_subrev_co_ci_u32_e64 v3, null, 0, v3, vcc_lo
	s_delay_alu instid0(VALU_DEP_1)
	v_cmp_lt_i64_e32 vcc_lo, v[6:7], v[2:3]
	s_wait_loadcnt 0x0
	v_sub_co_u32 v2, s0, v12, s24
	s_wait_alu 0xf1ff
	v_subrev_co_ci_u32_e64 v3, null, 0, v13, s0
	v_cmp_le_i64_e64 s0, s[36:37], v[6:7]
	s_wait_alu 0xfffd
	v_dual_cndmask_b32 v9, v11, v9 :: v_dual_cndmask_b32 v8, v10, v8
	v_add_co_u32 v10, null, s38, v0
                                        ; implicit-def: $vgpr6
	s_delay_alu instid0(VALU_DEP_2) | instskip(NEXT) | instid1(VALU_DEP_2)
	v_cmp_eq_u64_e32 vcc_lo, v[2:3], v[8:9]
	v_lshlrev_b32_e32 v7, 2, v10
	s_or_b32 s0, vcc_lo, s0
	s_wait_alu 0xfffe
	s_and_saveexec_b32 s40, s0
	s_delay_alu instid0(SALU_CYCLE_1)
	s_xor_b32 s0, exec_lo, s40
; %bb.59:                               ;   in Loop: Header=BB62_54 Depth=1
	ds_load_b32 v6, v7
                                        ; implicit-def: $vgpr7
                                        ; implicit-def: $vgpr8_vgpr9
; %bb.60:                               ;   in Loop: Header=BB62_54 Depth=1
	s_wait_alu 0xfffe
	s_and_not1_saveexec_b32 s40, s0
	s_cbranch_execz .LBB62_53
; %bb.61:                               ;   in Loop: Header=BB62_54 Depth=1
	v_cmp_gt_i64_e32 vcc_lo, s[12:13], v[2:3]
	v_cmp_le_i64_e64 s0, s[18:19], v[2:3]
                                        ; implicit-def: $vgpr6
	s_or_b32 s0, vcc_lo, s0
	s_wait_alu 0xfffe
	s_and_saveexec_b32 s41, s0
	s_delay_alu instid0(SALU_CYCLE_1)
	s_xor_b32 s0, exec_lo, s41
	s_cbranch_execz .LBB62_63
; %bb.62:                               ;   in Loop: Header=BB62_54 Depth=1
	v_add_co_u32 v8, vcc_lo, s14, v8
	s_wait_alu 0xfffd
	v_add_co_ci_u32_e64 v9, null, s15, v9, vcc_lo
	s_wait_dscnt 0x0
	ds_load_b32 v6, v7
	global_load_i8 v9, v[8:9], off
	v_lshlrev_b64_e32 v[7:8], 2, v[2:3]
	s_delay_alu instid0(VALU_DEP_1) | instskip(SKIP_1) | instid1(VALU_DEP_2)
	v_add_co_u32 v7, vcc_lo, s20, v7
	s_wait_alu 0xfffd
	v_add_co_ci_u32_e64 v8, null, s21, v8, vcc_lo
	s_wait_loadcnt 0x0
	v_cvt_f32_i32_e32 v9, v9
	s_wait_dscnt 0x0
	s_delay_alu instid0(VALU_DEP_1)
	v_mul_f32_e32 v9, v6, v9
	global_atomic_add_f32 v[7:8], v9, off scope:SCOPE_DEV
                                        ; implicit-def: $vgpr7
                                        ; implicit-def: $vgpr8_vgpr9
.LBB62_63:                              ;   in Loop: Header=BB62_54 Depth=1
	s_wait_alu 0xfffe
	s_and_not1_saveexec_b32 s0, s0
	s_cbranch_execz .LBB62_52
; %bb.64:                               ;   in Loop: Header=BB62_54 Depth=1
	v_add_co_u32 v8, vcc_lo, s14, v8
	s_wait_alu 0xfffd
	v_add_co_ci_u32_e64 v9, null, s15, v9, vcc_lo
	s_wait_dscnt 0x0
	ds_load_b32 v6, v7
	v_subrev_nc_u32_e32 v7, s12, v2
	global_load_i8 v8, v[8:9], off
	v_lshl_add_u32 v7, v7, 2, 0x1000
	s_wait_loadcnt 0x0
	v_cvt_f32_i32_e32 v8, v8
	s_wait_dscnt 0x0
	s_delay_alu instid0(VALU_DEP_1)
	v_mul_f32_e32 v8, v6, v8
	ds_add_f32 v7, v8
	s_branch .LBB62_52
.LBB62_65:
	s_or_b32 exec_lo, exec_lo, s29
                                        ; implicit-def: $vgpr2_vgpr3
                                        ; implicit-def: $vgpr4
.LBB62_66:
	s_wait_alu 0xfffe
	s_and_not1_saveexec_b32 s1, s7
	s_cbranch_execz .LBB62_108
; %bb.67:
	s_add_nc_u64 s[30:31], s[18:19], -1
	s_add_nc_u64 s[34:35], s[18:19], -2
	v_dual_mov_b32 v8, s16 :: v_dual_mov_b32 v9, s17
	s_wait_alu 0xfffe
	v_dual_mov_b32 v10, s30 :: v_dual_mov_b32 v11, s31
	s_cmp_lg_u64 s[16:17], s[34:35]
	s_cselect_b32 s7, -1, 0
	s_cmp_eq_u64 s[16:17], s[34:35]
	s_cbranch_scc1 .LBB62_71
; %bb.68:
	v_dual_mov_b32 v8, s16 :: v_dual_mov_b32 v9, s17
	v_dual_mov_b32 v10, s30 :: v_dual_mov_b32 v11, s31
	s_mov_b32 s29, 0
.LBB62_69:                              ; =>This Inner Loop Header: Depth=1
	s_delay_alu instid0(VALU_DEP_1) | instskip(SKIP_1) | instid1(VALU_DEP_2)
	v_add_co_u32 v6, vcc_lo, v10, v8
	s_wait_alu 0xfffd
	v_add_co_ci_u32_e64 v7, null, v11, v9, vcc_lo
	s_delay_alu instid0(VALU_DEP_1) | instskip(NEXT) | instid1(VALU_DEP_1)
	v_lshrrev_b32_e32 v12, 31, v7
	v_add_co_u32 v6, vcc_lo, v6, v12
	s_wait_alu 0xfffd
	v_add_co_ci_u32_e64 v7, null, 0, v7, vcc_lo
	s_delay_alu instid0(VALU_DEP_1) | instskip(NEXT) | instid1(VALU_DEP_1)
	v_ashrrev_i64 v[6:7], 1, v[6:7]
	v_lshlrev_b64_e32 v[12:13], 3, v[6:7]
	s_delay_alu instid0(VALU_DEP_1) | instskip(SKIP_1) | instid1(VALU_DEP_2)
	v_add_co_u32 v12, vcc_lo, s8, v12
	s_wait_alu 0xfffd
	v_add_co_ci_u32_e64 v13, null, s9, v13, vcc_lo
	global_load_b64 v[12:13], v[12:13], off
	s_wait_loadcnt 0x0
	v_sub_co_u32 v12, vcc_lo, v12, s24
	s_wait_alu 0xfffd
	v_subrev_co_ci_u32_e64 v13, null, 0, v13, vcc_lo
	s_delay_alu instid0(VALU_DEP_1) | instskip(SKIP_3) | instid1(VALU_DEP_2)
	v_cmp_lt_i64_e32 vcc_lo, v[4:5], v[12:13]
	s_wait_alu 0xfffd
	v_dual_cndmask_b32 v11, v11, v7 :: v_dual_cndmask_b32 v10, v10, v6
	v_dual_cndmask_b32 v9, v7, v9 :: v_dual_cndmask_b32 v8, v6, v8
	v_add_co_u32 v6, vcc_lo, v10, -1
	s_wait_alu 0xfffd
	s_delay_alu instid0(VALU_DEP_3) | instskip(NEXT) | instid1(VALU_DEP_3)
	v_add_co_ci_u32_e64 v7, null, -1, v11, vcc_lo
	v_cmp_ge_i64_e32 vcc_lo, v[8:9], v[10:11]
	s_delay_alu instid0(VALU_DEP_2)
	v_cmp_eq_u64_e64 s0, v[8:9], v[6:7]
	s_or_b32 s0, vcc_lo, s0
	s_wait_alu 0xfffe
	s_and_b32 s0, exec_lo, s0
	s_wait_alu 0xfffe
	s_or_b32 s29, s0, s29
	s_wait_alu 0xfffe
	s_and_not1_b32 exec_lo, exec_lo, s29
	s_cbranch_execnz .LBB62_69
; %bb.70:
	s_or_b32 exec_lo, exec_lo, s29
.LBB62_71:
	v_lshlrev_b64_e32 v[6:7], 3, v[10:11]
	s_mov_b32 s29, exec_lo
	s_delay_alu instid0(VALU_DEP_1) | instskip(SKIP_1) | instid1(VALU_DEP_2)
	v_add_co_u32 v6, vcc_lo, s8, v6
	s_wait_alu 0xfffd
	v_add_co_ci_u32_e64 v7, null, s9, v7, vcc_lo
	global_load_b64 v[12:13], v[6:7], off
	v_lshlrev_b64_e32 v[6:7], 3, v[4:5]
	s_delay_alu instid0(VALU_DEP_1) | instskip(SKIP_1) | instid1(VALU_DEP_2)
	v_add_co_u32 v6, vcc_lo, s10, v6
	s_wait_alu 0xfffd
	v_add_co_ci_u32_e64 v7, null, s11, v7, vcc_lo
	s_lshl_b64 s[10:11], s[18:19], 3
	s_wait_alu 0xfffe
	s_add_nc_u64 s[10:11], s[8:9], s[10:11]
	global_load_b64 v[16:17], v[6:7], off
	s_wait_loadcnt 0x1
	v_sub_co_u32 v12, vcc_lo, v12, s24
	s_wait_alu 0xfffd
	v_subrev_co_ci_u32_e64 v13, null, 0, v13, vcc_lo
	s_delay_alu instid0(VALU_DEP_1)
	v_cmp_lt_i64_e32 vcc_lo, v[4:5], v[12:13]
	s_wait_alu 0xfffd
	v_dual_cndmask_b32 v11, v11, v9 :: v_dual_cndmask_b32 v10, v10, v8
	s_wait_loadcnt 0x0
	v_sub_co_u32 v8, vcc_lo, v16, s24
	s_wait_alu 0xfffd
	v_subrev_co_ci_u32_e64 v9, null, 0, v17, vcc_lo
	s_delay_alu instid0(VALU_DEP_1)
	v_cmpx_ne_u64_e64 v[8:9], v[10:11]
	s_cbranch_execz .LBB62_77
; %bb.72:
	s_load_b64 s[34:35], s[10:11], 0x0
	s_wait_kmcnt 0x0
	s_sub_nc_u64 s[34:35], s[34:35], s[24:25]
	s_wait_alu 0xfffe
	v_cmp_gt_i64_e32 vcc_lo, s[34:35], v[4:5]
	s_and_b32 exec_lo, exec_lo, vcc_lo
	s_cbranch_execz .LBB62_77
; %bb.73:
	v_cmp_gt_i64_e32 vcc_lo, s[12:13], v[8:9]
	v_cmp_le_i64_e64 s0, s[18:19], v[8:9]
	s_or_b32 s0, vcc_lo, s0
	s_wait_alu 0xfffe
	s_and_saveexec_b32 s33, s0
	s_delay_alu instid0(SALU_CYCLE_1)
	s_xor_b32 s0, exec_lo, s33
	s_cbranch_execz .LBB62_75
; %bb.74:
	v_add_co_u32 v10, vcc_lo, s14, v10
	s_wait_alu 0xfffd
	v_add_co_ci_u32_e64 v11, null, s15, v11, vcc_lo
	ds_load_b32 v13, v14
	global_load_i8 v12, v[10:11], off
	v_lshlrev_b64_e32 v[10:11], 2, v[8:9]
	s_delay_alu instid0(VALU_DEP_1) | instskip(SKIP_1) | instid1(VALU_DEP_2)
	v_add_co_u32 v10, vcc_lo, s20, v10
	s_wait_alu 0xfffd
	v_add_co_ci_u32_e64 v11, null, s21, v11, vcc_lo
	s_wait_loadcnt 0x0
	v_cvt_f32_i32_e32 v12, v12
	s_wait_dscnt 0x0
	s_delay_alu instid0(VALU_DEP_1)
	v_mul_f32_e32 v12, v13, v12
	global_atomic_add_f32 v[10:11], v12, off scope:SCOPE_DEV
                                        ; implicit-def: $vgpr10_vgpr11
.LBB62_75:
	s_wait_alu 0xfffe
	s_and_not1_saveexec_b32 s0, s0
	s_cbranch_execz .LBB62_77
; %bb.76:
	v_add_co_u32 v10, vcc_lo, s14, v10
	s_wait_alu 0xfffd
	v_add_co_ci_u32_e64 v11, null, s15, v11, vcc_lo
	v_subrev_nc_u32_e32 v12, s12, v8
	global_load_i8 v10, v[10:11], off
	ds_load_b32 v11, v14
	v_lshl_add_u32 v12, v12, 2, 0x1000
	s_wait_loadcnt 0x0
	v_cvt_f32_i32_e32 v10, v10
	s_wait_dscnt 0x0
	s_delay_alu instid0(VALU_DEP_1)
	v_mul_f32_e32 v10, v11, v10
	ds_add_f32 v12, v10
.LBB62_77:
	s_or_b32 exec_lo, exec_lo, s29
	v_add_co_u32 v8, vcc_lo, s14, v8
	s_wait_alu 0xfffd
	v_add_co_ci_u32_e64 v9, null, s15, v9, vcc_lo
	ds_load_b32 v10, v14
	v_cndmask_b32_e64 v16, 0, 1, s7
	v_mov_b32_e32 v12, s30
	global_load_i8 v8, v[8:9], off
	v_mov_b32_e32 v13, s31
	s_wait_loadcnt 0x0
	v_cvt_f32_i32_e32 v11, v8
	v_add_co_u32 v8, vcc_lo, 0x100, v4
	s_wait_alu 0xfffd
	v_add_co_ci_u32_e64 v9, null, 0, v5, vcc_lo
	s_wait_dscnt 0x0
	v_dual_mul_f32 v17, v10, v11 :: v_dual_mov_b32 v10, s16
	v_mov_b32_e32 v11, s17
	s_and_not1_b32 vcc_lo, exec_lo, s7
	ds_store_b32 v14, v17
	s_wait_alu 0xfffe
	s_cbranch_vccnz .LBB62_81
; %bb.78:
	v_dual_mov_b32 v10, s16 :: v_dual_mov_b32 v11, s17
	v_dual_mov_b32 v12, s30 :: v_dual_mov_b32 v13, s31
	s_mov_b32 s7, 0
.LBB62_79:                              ; =>This Inner Loop Header: Depth=1
	s_delay_alu instid0(VALU_DEP_1) | instskip(SKIP_1) | instid1(VALU_DEP_2)
	v_add_co_u32 v17, vcc_lo, v12, v10
	s_wait_alu 0xfffd
	v_add_co_ci_u32_e64 v18, null, v13, v11, vcc_lo
	s_delay_alu instid0(VALU_DEP_1) | instskip(NEXT) | instid1(VALU_DEP_1)
	v_lshrrev_b32_e32 v19, 31, v18
	v_add_co_u32 v17, vcc_lo, v17, v19
	s_wait_alu 0xfffd
	v_add_co_ci_u32_e64 v18, null, 0, v18, vcc_lo
	s_delay_alu instid0(VALU_DEP_1) | instskip(NEXT) | instid1(VALU_DEP_1)
	v_ashrrev_i64 v[17:18], 1, v[17:18]
	v_lshlrev_b64_e32 v[19:20], 3, v[17:18]
	s_delay_alu instid0(VALU_DEP_1) | instskip(SKIP_1) | instid1(VALU_DEP_2)
	v_add_co_u32 v19, vcc_lo, s8, v19
	s_wait_alu 0xfffd
	v_add_co_ci_u32_e64 v20, null, s9, v20, vcc_lo
	global_load_b64 v[19:20], v[19:20], off
	s_wait_loadcnt 0x0
	v_sub_co_u32 v19, vcc_lo, v19, s24
	s_wait_alu 0xfffd
	v_subrev_co_ci_u32_e64 v20, null, 0, v20, vcc_lo
	s_delay_alu instid0(VALU_DEP_1) | instskip(SKIP_3) | instid1(VALU_DEP_2)
	v_cmp_lt_i64_e32 vcc_lo, v[8:9], v[19:20]
	s_wait_alu 0xfffd
	v_dual_cndmask_b32 v13, v13, v18 :: v_dual_cndmask_b32 v12, v12, v17
	v_dual_cndmask_b32 v11, v18, v11 :: v_dual_cndmask_b32 v10, v17, v10
	v_add_co_u32 v17, vcc_lo, v12, -1
	s_wait_alu 0xfffd
	s_delay_alu instid0(VALU_DEP_3) | instskip(NEXT) | instid1(VALU_DEP_3)
	v_add_co_ci_u32_e64 v18, null, -1, v13, vcc_lo
	v_cmp_ge_i64_e32 vcc_lo, v[10:11], v[12:13]
	s_delay_alu instid0(VALU_DEP_2)
	v_cmp_eq_u64_e64 s0, v[10:11], v[17:18]
	s_or_b32 s0, vcc_lo, s0
	s_wait_alu 0xfffe
	s_and_b32 s0, exec_lo, s0
	s_wait_alu 0xfffe
	s_or_b32 s7, s0, s7
	s_wait_alu 0xfffe
	s_and_not1_b32 exec_lo, exec_lo, s7
	s_cbranch_execnz .LBB62_79
; %bb.80:
	s_or_b32 exec_lo, exec_lo, s7
.LBB62_81:
	v_lshlrev_b64_e32 v[17:18], 3, v[12:13]
	s_mov_b32 s7, exec_lo
	s_delay_alu instid0(VALU_DEP_1) | instskip(SKIP_1) | instid1(VALU_DEP_2)
	v_add_co_u32 v17, vcc_lo, s8, v17
	s_wait_alu 0xfffd
	v_add_co_ci_u32_e64 v18, null, s9, v18, vcc_lo
	global_load_b64 v[17:18], v[17:18], off
	global_load_b64 v[19:20], v[6:7], off offset:2048
	s_wait_loadcnt 0x1
	v_sub_co_u32 v17, vcc_lo, v17, s24
	s_wait_alu 0xfffd
	v_subrev_co_ci_u32_e64 v18, null, 0, v18, vcc_lo
	s_delay_alu instid0(VALU_DEP_1)
	v_cmp_lt_i64_e32 vcc_lo, v[8:9], v[17:18]
	s_wait_alu 0xfffd
	v_dual_cndmask_b32 v13, v13, v11 :: v_dual_cndmask_b32 v12, v12, v10
	s_wait_loadcnt 0x0
	v_sub_co_u32 v10, vcc_lo, v19, s24
	s_wait_alu 0xfffd
	v_subrev_co_ci_u32_e64 v11, null, 0, v20, vcc_lo
	s_delay_alu instid0(VALU_DEP_1)
	v_cmpx_ne_u64_e64 v[10:11], v[12:13]
	s_cbranch_execz .LBB62_87
; %bb.82:
	s_load_b64 s[34:35], s[10:11], 0x0
	s_wait_kmcnt 0x0
	s_sub_nc_u64 s[34:35], s[34:35], s[24:25]
	s_wait_alu 0xfffe
	v_cmp_gt_i64_e32 vcc_lo, s[34:35], v[8:9]
	s_and_b32 exec_lo, exec_lo, vcc_lo
	s_cbranch_execz .LBB62_87
; %bb.83:
	v_cmp_gt_i64_e32 vcc_lo, s[12:13], v[10:11]
	v_cmp_le_i64_e64 s0, s[18:19], v[10:11]
	s_or_b32 s0, vcc_lo, s0
	s_wait_alu 0xfffe
	s_and_saveexec_b32 s29, s0
	s_wait_alu 0xfffe
	s_xor_b32 s0, exec_lo, s29
	s_cbranch_execz .LBB62_85
; %bb.84:
	v_add_co_u32 v8, vcc_lo, s14, v12
	s_wait_alu 0xfffd
	v_add_co_ci_u32_e64 v9, null, s15, v13, vcc_lo
	ds_load_b32 v13, v14 offset:1024
	global_load_i8 v12, v[8:9], off
	v_lshlrev_b64_e32 v[8:9], 2, v[10:11]
	s_delay_alu instid0(VALU_DEP_1) | instskip(SKIP_1) | instid1(VALU_DEP_2)
	v_add_co_u32 v8, vcc_lo, s20, v8
	s_wait_alu 0xfffd
	v_add_co_ci_u32_e64 v9, null, s21, v9, vcc_lo
	s_wait_loadcnt 0x0
	v_cvt_f32_i32_e32 v12, v12
	s_wait_dscnt 0x0
	s_delay_alu instid0(VALU_DEP_1)
	v_mul_f32_e32 v12, v13, v12
	global_atomic_add_f32 v[8:9], v12, off scope:SCOPE_DEV
                                        ; implicit-def: $vgpr12_vgpr13
.LBB62_85:
	s_wait_alu 0xfffe
	s_and_not1_saveexec_b32 s0, s0
	s_cbranch_execz .LBB62_87
; %bb.86:
	v_add_co_u32 v8, vcc_lo, s14, v12
	s_wait_alu 0xfffd
	v_add_co_ci_u32_e64 v9, null, s15, v13, vcc_lo
	v_subrev_nc_u32_e32 v12, s12, v10
	global_load_i8 v8, v[8:9], off
	ds_load_b32 v9, v14 offset:1024
	v_lshl_add_u32 v12, v12, 2, 0x1000
	s_wait_loadcnt 0x0
	v_cvt_f32_i32_e32 v8, v8
	s_wait_dscnt 0x0
	s_delay_alu instid0(VALU_DEP_1)
	v_mul_f32_e32 v8, v9, v8
	ds_add_f32 v12, v8
.LBB62_87:
	s_wait_alu 0xfffe
	s_or_b32 exec_lo, exec_lo, s7
	v_add_co_u32 v8, vcc_lo, s14, v10
	s_wait_alu 0xfffd
	v_add_co_ci_u32_e64 v9, null, s15, v11, vcc_lo
	v_add_co_u32 v4, vcc_lo, 0x200, v4
	s_wait_alu 0xfffd
	v_add_co_ci_u32_e64 v5, null, 0, v5, vcc_lo
	global_load_i8 v8, v[8:9], off
	ds_load_b32 v9, v14 offset:1024
	v_cmp_ne_u32_e32 vcc_lo, 1, v16
	v_dual_mov_b32 v10, s30 :: v_dual_mov_b32 v11, s31
	s_and_b32 vcc_lo, exec_lo, vcc_lo
	s_wait_loadcnt 0x0
	v_cvt_f32_i32_e32 v8, v8
	s_wait_dscnt 0x0
	s_delay_alu instid0(VALU_DEP_1)
	v_mul_f32_e32 v12, v9, v8
	v_dual_mov_b32 v8, s16 :: v_dual_mov_b32 v9, s17
	ds_store_b32 v14, v12 offset:1024
	s_wait_alu 0xfffe
	s_cbranch_vccnz .LBB62_91
; %bb.88:
	v_dual_mov_b32 v8, s16 :: v_dual_mov_b32 v9, s17
	v_dual_mov_b32 v10, s30 :: v_dual_mov_b32 v11, s31
	s_mov_b32 s7, 0
.LBB62_89:                              ; =>This Inner Loop Header: Depth=1
	s_delay_alu instid0(VALU_DEP_1) | instskip(SKIP_1) | instid1(VALU_DEP_2)
	v_add_co_u32 v12, vcc_lo, v10, v8
	s_wait_alu 0xfffd
	v_add_co_ci_u32_e64 v13, null, v11, v9, vcc_lo
	s_delay_alu instid0(VALU_DEP_1) | instskip(NEXT) | instid1(VALU_DEP_1)
	v_lshrrev_b32_e32 v17, 31, v13
	v_add_co_u32 v12, vcc_lo, v12, v17
	s_wait_alu 0xfffd
	v_add_co_ci_u32_e64 v13, null, 0, v13, vcc_lo
	s_delay_alu instid0(VALU_DEP_1) | instskip(NEXT) | instid1(VALU_DEP_1)
	v_ashrrev_i64 v[12:13], 1, v[12:13]
	v_lshlrev_b64_e32 v[17:18], 3, v[12:13]
	s_delay_alu instid0(VALU_DEP_1) | instskip(SKIP_1) | instid1(VALU_DEP_2)
	v_add_co_u32 v17, vcc_lo, s8, v17
	s_wait_alu 0xfffd
	v_add_co_ci_u32_e64 v18, null, s9, v18, vcc_lo
	global_load_b64 v[17:18], v[17:18], off
	s_wait_loadcnt 0x0
	v_sub_co_u32 v17, vcc_lo, v17, s24
	s_wait_alu 0xfffd
	v_subrev_co_ci_u32_e64 v18, null, 0, v18, vcc_lo
	s_delay_alu instid0(VALU_DEP_1) | instskip(SKIP_3) | instid1(VALU_DEP_2)
	v_cmp_lt_i64_e32 vcc_lo, v[4:5], v[17:18]
	s_wait_alu 0xfffd
	v_dual_cndmask_b32 v11, v11, v13 :: v_dual_cndmask_b32 v10, v10, v12
	v_dual_cndmask_b32 v9, v13, v9 :: v_dual_cndmask_b32 v8, v12, v8
	v_add_co_u32 v12, vcc_lo, v10, -1
	s_wait_alu 0xfffd
	s_delay_alu instid0(VALU_DEP_3) | instskip(NEXT) | instid1(VALU_DEP_3)
	v_add_co_ci_u32_e64 v13, null, -1, v11, vcc_lo
	v_cmp_ge_i64_e32 vcc_lo, v[8:9], v[10:11]
	s_delay_alu instid0(VALU_DEP_2)
	v_cmp_eq_u64_e64 s0, v[8:9], v[12:13]
	s_or_b32 s0, vcc_lo, s0
	s_wait_alu 0xfffe
	s_and_b32 s0, exec_lo, s0
	s_wait_alu 0xfffe
	s_or_b32 s7, s0, s7
	s_wait_alu 0xfffe
	s_and_not1_b32 exec_lo, exec_lo, s7
	s_cbranch_execnz .LBB62_89
; %bb.90:
	s_or_b32 exec_lo, exec_lo, s7
.LBB62_91:
	v_lshlrev_b64_e32 v[12:13], 3, v[10:11]
	s_mov_b32 s7, exec_lo
	s_delay_alu instid0(VALU_DEP_1) | instskip(SKIP_1) | instid1(VALU_DEP_2)
	v_add_co_u32 v12, vcc_lo, s8, v12
	s_wait_alu 0xfffd
	v_add_co_ci_u32_e64 v13, null, s9, v13, vcc_lo
	global_load_b64 v[12:13], v[12:13], off
	global_load_b64 v[17:18], v[6:7], off offset:4096
	s_wait_loadcnt 0x1
	v_sub_co_u32 v12, vcc_lo, v12, s24
	s_wait_alu 0xfffd
	v_subrev_co_ci_u32_e64 v13, null, 0, v13, vcc_lo
	s_delay_alu instid0(VALU_DEP_1)
	v_cmp_lt_i64_e32 vcc_lo, v[4:5], v[12:13]
	s_wait_alu 0xfffd
	v_dual_cndmask_b32 v11, v11, v9 :: v_dual_cndmask_b32 v10, v10, v8
	s_wait_loadcnt 0x0
	v_sub_co_u32 v8, vcc_lo, v17, s24
	s_wait_alu 0xfffd
	v_subrev_co_ci_u32_e64 v9, null, 0, v18, vcc_lo
	s_delay_alu instid0(VALU_DEP_1)
	v_cmpx_ne_u64_e64 v[8:9], v[10:11]
	s_cbranch_execz .LBB62_97
; %bb.92:
	s_load_b64 s[34:35], s[10:11], 0x0
	s_wait_kmcnt 0x0
	s_sub_nc_u64 s[34:35], s[34:35], s[24:25]
	s_wait_alu 0xfffe
	v_cmp_gt_i64_e32 vcc_lo, s[34:35], v[4:5]
	s_and_b32 exec_lo, exec_lo, vcc_lo
	s_cbranch_execz .LBB62_97
; %bb.93:
	v_cmp_gt_i64_e32 vcc_lo, s[12:13], v[8:9]
	v_cmp_le_i64_e64 s0, s[18:19], v[8:9]
	s_or_b32 s0, vcc_lo, s0
	s_wait_alu 0xfffe
	s_and_saveexec_b32 s29, s0
	s_wait_alu 0xfffe
	s_xor_b32 s0, exec_lo, s29
	s_cbranch_execz .LBB62_95
; %bb.94:
	v_add_co_u32 v4, vcc_lo, s14, v10
	s_wait_alu 0xfffd
	v_add_co_ci_u32_e64 v5, null, s15, v11, vcc_lo
	ds_load_b32 v11, v14 offset:2048
	global_load_i8 v10, v[4:5], off
	v_lshlrev_b64_e32 v[4:5], 2, v[8:9]
	s_delay_alu instid0(VALU_DEP_1) | instskip(SKIP_1) | instid1(VALU_DEP_2)
	v_add_co_u32 v4, vcc_lo, s20, v4
	s_wait_alu 0xfffd
	v_add_co_ci_u32_e64 v5, null, s21, v5, vcc_lo
	s_wait_loadcnt 0x0
	v_cvt_f32_i32_e32 v10, v10
	s_wait_dscnt 0x0
	s_delay_alu instid0(VALU_DEP_1)
	v_mul_f32_e32 v10, v11, v10
	global_atomic_add_f32 v[4:5], v10, off scope:SCOPE_DEV
                                        ; implicit-def: $vgpr10_vgpr11
.LBB62_95:
	s_wait_alu 0xfffe
	s_and_not1_saveexec_b32 s0, s0
	s_cbranch_execz .LBB62_97
; %bb.96:
	v_add_co_u32 v4, vcc_lo, s14, v10
	s_wait_alu 0xfffd
	v_add_co_ci_u32_e64 v5, null, s15, v11, vcc_lo
	v_subrev_nc_u32_e32 v10, s12, v8
	global_load_i8 v4, v[4:5], off
	ds_load_b32 v5, v14 offset:2048
	v_lshl_add_u32 v10, v10, 2, 0x1000
	s_wait_loadcnt 0x0
	v_cvt_f32_i32_e32 v4, v4
	s_wait_dscnt 0x0
	s_delay_alu instid0(VALU_DEP_1)
	v_mul_f32_e32 v4, v5, v4
	ds_add_f32 v10, v4
.LBB62_97:
	s_wait_alu 0xfffe
	s_or_b32 exec_lo, exec_lo, s7
	v_add_co_u32 v4, vcc_lo, s14, v8
	s_wait_alu 0xfffd
	v_add_co_ci_u32_e64 v5, null, s15, v9, vcc_lo
	v_cmp_ne_u32_e32 vcc_lo, 1, v16
	v_dual_mov_b32 v8, s30 :: v_dual_mov_b32 v9, s31
	global_load_i8 v4, v[4:5], off
	ds_load_b32 v5, v14 offset:2048
	s_and_b32 vcc_lo, exec_lo, vcc_lo
	s_wait_loadcnt 0x0
	v_cvt_f32_i32_e32 v4, v4
	s_wait_dscnt 0x0
	s_delay_alu instid0(VALU_DEP_1)
	v_mul_f32_e32 v10, v5, v4
	v_dual_mov_b32 v4, s16 :: v_dual_mov_b32 v5, s17
	ds_store_b32 v14, v10 offset:2048
	s_wait_alu 0xfffe
	s_cbranch_vccnz .LBB62_101
; %bb.98:
	v_dual_mov_b32 v4, s16 :: v_dual_mov_b32 v5, s17
	v_dual_mov_b32 v8, s30 :: v_dual_mov_b32 v9, s31
	s_mov_b32 s7, 0
.LBB62_99:                              ; =>This Inner Loop Header: Depth=1
	s_delay_alu instid0(VALU_DEP_1) | instskip(SKIP_1) | instid1(VALU_DEP_2)
	v_add_co_u32 v10, vcc_lo, v8, v4
	s_wait_alu 0xfffd
	v_add_co_ci_u32_e64 v11, null, v9, v5, vcc_lo
	s_delay_alu instid0(VALU_DEP_1) | instskip(NEXT) | instid1(VALU_DEP_1)
	v_lshrrev_b32_e32 v12, 31, v11
	v_add_co_u32 v10, vcc_lo, v10, v12
	s_wait_alu 0xfffd
	v_add_co_ci_u32_e64 v11, null, 0, v11, vcc_lo
	s_delay_alu instid0(VALU_DEP_1) | instskip(NEXT) | instid1(VALU_DEP_1)
	v_ashrrev_i64 v[10:11], 1, v[10:11]
	v_lshlrev_b64_e32 v[12:13], 3, v[10:11]
	s_delay_alu instid0(VALU_DEP_1) | instskip(SKIP_1) | instid1(VALU_DEP_2)
	v_add_co_u32 v12, vcc_lo, s8, v12
	s_wait_alu 0xfffd
	v_add_co_ci_u32_e64 v13, null, s9, v13, vcc_lo
	global_load_b64 v[12:13], v[12:13], off
	s_wait_loadcnt 0x0
	v_sub_co_u32 v12, vcc_lo, v12, s24
	s_wait_alu 0xfffd
	v_subrev_co_ci_u32_e64 v13, null, 0, v13, vcc_lo
	s_delay_alu instid0(VALU_DEP_1) | instskip(SKIP_3) | instid1(VALU_DEP_2)
	v_cmp_lt_i64_e32 vcc_lo, v[2:3], v[12:13]
	s_wait_alu 0xfffd
	v_dual_cndmask_b32 v9, v9, v11 :: v_dual_cndmask_b32 v8, v8, v10
	v_dual_cndmask_b32 v5, v11, v5 :: v_dual_cndmask_b32 v4, v10, v4
	v_add_co_u32 v10, vcc_lo, v8, -1
	s_wait_alu 0xfffd
	s_delay_alu instid0(VALU_DEP_3) | instskip(NEXT) | instid1(VALU_DEP_3)
	v_add_co_ci_u32_e64 v11, null, -1, v9, vcc_lo
	v_cmp_ge_i64_e32 vcc_lo, v[4:5], v[8:9]
	s_delay_alu instid0(VALU_DEP_2)
	v_cmp_eq_u64_e64 s0, v[4:5], v[10:11]
	s_or_b32 s0, vcc_lo, s0
	s_wait_alu 0xfffe
	s_and_b32 s0, exec_lo, s0
	s_wait_alu 0xfffe
	s_or_b32 s7, s0, s7
	s_wait_alu 0xfffe
	s_and_not1_b32 exec_lo, exec_lo, s7
	s_cbranch_execnz .LBB62_99
; %bb.100:
	s_or_b32 exec_lo, exec_lo, s7
.LBB62_101:
	v_lshlrev_b64_e32 v[10:11], 3, v[8:9]
	s_mov_b32 s7, exec_lo
	s_delay_alu instid0(VALU_DEP_1) | instskip(SKIP_1) | instid1(VALU_DEP_2)
	v_add_co_u32 v10, vcc_lo, s8, v10
	s_wait_alu 0xfffd
	v_add_co_ci_u32_e64 v11, null, s9, v11, vcc_lo
	global_load_b64 v[10:11], v[10:11], off
	global_load_b64 v[12:13], v[6:7], off offset:6144
	s_wait_loadcnt 0x1
	v_sub_co_u32 v6, vcc_lo, v10, s24
	s_wait_alu 0xfffd
	v_subrev_co_ci_u32_e64 v7, null, 0, v11, vcc_lo
	s_delay_alu instid0(VALU_DEP_1)
	v_cmp_lt_i64_e32 vcc_lo, v[2:3], v[6:7]
	s_wait_alu 0xfffd
	v_dual_cndmask_b32 v7, v9, v5 :: v_dual_cndmask_b32 v6, v8, v4
	s_wait_loadcnt 0x0
	v_sub_co_u32 v4, vcc_lo, v12, s24
	s_wait_alu 0xfffd
	v_subrev_co_ci_u32_e64 v5, null, 0, v13, vcc_lo
	s_delay_alu instid0(VALU_DEP_1)
	v_cmpx_ne_u64_e64 v[4:5], v[6:7]
	s_cbranch_execz .LBB62_107
; %bb.102:
	s_load_b64 s[10:11], s[10:11], 0x0
	s_wait_kmcnt 0x0
	s_sub_nc_u64 s[10:11], s[10:11], s[24:25]
	s_wait_alu 0xfffe
	v_cmp_gt_i64_e32 vcc_lo, s[10:11], v[2:3]
	s_and_b32 exec_lo, exec_lo, vcc_lo
	s_cbranch_execz .LBB62_107
; %bb.103:
	v_cmp_gt_i64_e32 vcc_lo, s[12:13], v[4:5]
	v_cmp_le_i64_e64 s0, s[18:19], v[4:5]
	s_or_b32 s0, vcc_lo, s0
	s_wait_alu 0xfffe
	s_and_saveexec_b32 s10, s0
	s_wait_alu 0xfffe
	s_xor_b32 s0, exec_lo, s10
	s_cbranch_execz .LBB62_105
; %bb.104:
	v_add_co_u32 v2, vcc_lo, s14, v6
	s_wait_alu 0xfffd
	v_add_co_ci_u32_e64 v3, null, s15, v7, vcc_lo
	ds_load_b32 v7, v14 offset:3072
	global_load_i8 v6, v[2:3], off
	v_lshlrev_b64_e32 v[2:3], 2, v[4:5]
	s_delay_alu instid0(VALU_DEP_1) | instskip(SKIP_1) | instid1(VALU_DEP_2)
	v_add_co_u32 v2, vcc_lo, s20, v2
	s_wait_alu 0xfffd
	v_add_co_ci_u32_e64 v3, null, s21, v3, vcc_lo
	s_wait_loadcnt 0x0
	v_cvt_f32_i32_e32 v6, v6
	s_wait_dscnt 0x0
	s_delay_alu instid0(VALU_DEP_1)
	v_mul_f32_e32 v6, v7, v6
	global_atomic_add_f32 v[2:3], v6, off scope:SCOPE_DEV
                                        ; implicit-def: $vgpr6_vgpr7
.LBB62_105:
	s_wait_alu 0xfffe
	s_and_not1_saveexec_b32 s0, s0
	s_cbranch_execz .LBB62_107
; %bb.106:
	v_add_co_u32 v2, vcc_lo, s14, v6
	s_wait_alu 0xfffd
	v_add_co_ci_u32_e64 v3, null, s15, v7, vcc_lo
	v_subrev_nc_u32_e32 v6, s12, v4
	global_load_i8 v2, v[2:3], off
	ds_load_b32 v3, v14 offset:3072
	v_lshl_add_u32 v6, v6, 2, 0x1000
	s_wait_loadcnt 0x0
	v_cvt_f32_i32_e32 v2, v2
	s_wait_dscnt 0x0
	s_delay_alu instid0(VALU_DEP_1)
	v_mul_f32_e32 v2, v3, v2
	ds_add_f32 v6, v2
.LBB62_107:
	s_wait_alu 0xfffe
	s_or_b32 exec_lo, exec_lo, s7
	v_add_co_u32 v2, vcc_lo, s14, v4
	s_wait_alu 0xfffd
	v_add_co_ci_u32_e64 v3, null, s15, v5, vcc_lo
	global_load_i8 v2, v[2:3], off
	ds_load_b32 v3, v14 offset:3072
	s_wait_loadcnt 0x0
	v_cvt_f32_i32_e32 v2, v2
	s_wait_dscnt 0x0
	s_delay_alu instid0(VALU_DEP_1)
	v_mul_f32_e32 v2, v3, v2
	ds_store_b32 v14, v2 offset:3072
.LBB62_108:
	s_wait_alu 0xfffe
	s_or_b32 exec_lo, exec_lo, s1
	v_cmp_lt_i64_e64 s0, s[18:19], s[2:3]
	s_mov_b32 s1, exec_lo
	s_wait_storecnt 0x0
	s_wait_loadcnt_dscnt 0x0
	s_barrier_signal -1
	s_barrier_wait -1
	global_inv scope:SCOPE_SE
	s_and_b32 s0, s0, exec_lo
	s_cselect_b32 s13, s19, s3
	s_cselect_b32 s12, s18, s2
	s_wait_alu 0xfffe
	s_sub_nc_u64 s[10:11], s[12:13], s[22:23]
	s_wait_alu 0xfffe
	v_cmpx_gt_i64_e64 s[10:11], v[0:1]
	s_cbranch_execz .LBB62_111
; %bb.109:
	v_cmp_gt_i64_e64 s0, s[18:19], s[2:3]
	v_dual_mov_b32 v5, v1 :: v_dual_lshlrev_b32 v2, 2, v0
	v_mov_b32_e32 v4, v0
	s_and_b32 s0, s0, exec_lo
	s_cselect_b32 s15, s19, s3
	s_cselect_b32 s14, s18, s2
	s_lshl_b64 s[2:3], s[2:3], 2
	s_wait_alu 0xfffe
	s_lshl_b64 s[14:15], s[14:15], 2
	s_wait_alu 0xfffe
	v_add_co_u32 v2, s0, s14, v2
	s_wait_alu 0xf1ff
	v_add_co_ci_u32_e64 v3, null, s15, 0, s0
	s_delay_alu instid0(VALU_DEP_2) | instskip(SKIP_1) | instid1(VALU_DEP_2)
	v_sub_co_u32 v2, vcc_lo, v2, s2
	s_wait_alu 0xfffd
	v_subrev_co_ci_u32_e64 v3, null, s3, v3, vcc_lo
	s_mov_b32 s2, 0
	v_add_co_u32 v2, vcc_lo, s20, v2
	s_wait_alu 0xfffd
	v_add_co_ci_u32_e64 v3, null, s21, v3, vcc_lo
.LBB62_110:                             ; =>This Inner Loop Header: Depth=1
	ds_load_b32 v6, v15
	v_add_co_u32 v4, vcc_lo, 0x100, v4
	s_wait_alu 0xfffd
	v_add_co_ci_u32_e64 v5, null, 0, v5, vcc_lo
	v_add_nc_u32_e32 v15, 0x400, v15
	s_delay_alu instid0(VALU_DEP_2)
	v_cmp_le_i64_e32 vcc_lo, s[10:11], v[4:5]
	s_wait_alu 0xfffe
	s_or_b32 s2, vcc_lo, s2
	s_wait_dscnt 0x0
	global_atomic_add_f32 v[2:3], v6, off scope:SCOPE_DEV
	v_add_co_u32 v2, s0, 0x400, v2
	s_wait_alu 0xf1ff
	v_add_co_ci_u32_e64 v3, null, 0, v3, s0
	s_wait_alu 0xfffe
	s_and_not1_b32 exec_lo, exec_lo, s2
	s_cbranch_execnz .LBB62_110
.LBB62_111:
	s_or_b32 exec_lo, exec_lo, s1
	s_add_co_i32 s0, s28, -1
	v_add_co_u32 v6, s2, s16, v0
	s_wait_alu 0xfffe
	s_ashr_i32 s1, s0, 1
	v_add_co_ci_u32_e64 v7, null, s17, 0, s2
	s_wait_alu 0xfffe
	s_or_b32 s0, s1, s0
	s_wait_loadcnt 0x0
	s_wait_storecnt 0x0
	s_wait_alu 0xfffe
	s_ashr_i32 s1, s0, 2
	s_barrier_signal -1
	s_wait_alu 0xfffe
	s_or_b32 s0, s1, s0
	s_barrier_wait -1
	s_wait_alu 0xfffe
	s_ashr_i32 s1, s0, 4
	global_inv scope:SCOPE_SE
	s_wait_alu 0xfffe
	s_or_b32 s0, s1, s0
	s_wait_alu 0xfffe
	s_ashr_i32 s1, s0, 8
	s_wait_alu 0xfffe
	s_or_b32 s0, s1, s0
	s_wait_alu 0xfffe
	s_ashr_i32 s1, s0, 16
	s_wait_alu 0xfffe
	s_or_b32 s1, s1, s0
	s_mov_b32 s0, -1
	s_wait_alu 0xfffe
	s_add_co_i32 s1, s1, 1
	s_wait_alu 0xfffe
	s_ashr_i32 s2, s1, 1
	s_wait_alu 0xfffe
	s_cmp_gt_i32 s2, 1
	s_cbranch_scc1 .LBB62_120
; %bb.112:
	s_mov_b32 s0, exec_lo
	v_cmpx_gt_i64_e64 s[18:19], v[6:7]
	s_cbranch_execz .LBB62_119
; %bb.113:
	s_sub_co_i32 s1, s12, s18
	v_dual_mov_b32 v9, v7 :: v_dual_mov_b32 v8, v6
	s_lshl_b32 s7, s4, 2
	s_wait_alu 0xfffe
	s_lshl_b32 s1, s1, 2
	s_mov_b32 s3, 0
	s_wait_alu 0xfffe
	s_addk_co_i32 s1, 0x1000
	s_sub_co_i32 s7, 0, s7
	s_branch .LBB62_115
.LBB62_114:                             ;   in Loop: Header=BB62_115 Depth=1
	s_wait_alu 0xfffe
	s_or_b32 exec_lo, exec_lo, s11
	v_lshl_add_u32 v2, v8, 2, s1
	ds_load_b32 v4, v2
	v_lshlrev_b64_e32 v[2:3], 2, v[8:9]
	s_delay_alu instid0(VALU_DEP_1) | instskip(SKIP_1) | instid1(VALU_DEP_2)
	v_add_co_u32 v2, vcc_lo, s20, v2
	s_wait_alu 0xfffd
	v_add_co_ci_u32_e64 v3, null, s21, v3, vcc_lo
	v_add_co_u32 v8, vcc_lo, v8, s6
	s_wait_alu 0xfffd
	v_add_co_ci_u32_e64 v9, null, 0, v9, vcc_lo
	s_delay_alu instid0(VALU_DEP_1)
	v_cmp_le_i64_e32 vcc_lo, s[18:19], v[8:9]
	s_wait_dscnt 0x0
	v_add_f32_e32 v4, v12, v4
	s_or_b32 s3, vcc_lo, s3
	global_atomic_add_f32 v[2:3], v4, off scope:SCOPE_DEV
	s_wait_alu 0xfffe
	s_and_not1_b32 exec_lo, exec_lo, s3
	s_cbranch_execz .LBB62_119
.LBB62_115:                             ; =>This Loop Header: Depth=1
                                        ;     Child Loop BB62_117 Depth 2
	v_lshlrev_b64_e32 v[2:3], 3, v[8:9]
	v_mov_b32_e32 v12, 0
	s_mov_b32 s11, exec_lo
	s_delay_alu instid0(VALU_DEP_2) | instskip(SKIP_1) | instid1(VALU_DEP_3)
	v_add_co_u32 v2, vcc_lo, s8, v2
	s_wait_alu 0xfffd
	v_add_co_ci_u32_e64 v3, null, s9, v3, vcc_lo
	global_load_b128 v[2:5], v[2:3], off
	s_wait_loadcnt 0x0
	v_cmpx_lt_i64_e64 v[2:3], v[4:5]
	s_cbranch_execz .LBB62_114
; %bb.116:                              ;   in Loop: Header=BB62_115 Depth=1
	v_sub_co_u32 v4, vcc_lo, v4, s4
	s_wait_alu 0xfffd
	v_subrev_co_ci_u32_e64 v5, null, s5, v5, vcc_lo
	v_sub_co_u32 v10, vcc_lo, v2, s4
	s_wait_alu 0xfffd
	v_subrev_co_ci_u32_e64 v11, null, s5, v3, vcc_lo
	s_wait_alu 0xfffe
	v_lshl_add_u32 v2, v2, 2, s7
	v_mov_b32_e32 v12, 0
	s_mov_b32 s12, 0
.LBB62_117:                             ;   Parent Loop BB62_115 Depth=1
                                        ; =>  This Inner Loop Header: Depth=2
	ds_load_b32 v3, v2
	v_add_co_u32 v10, vcc_lo, v10, 1
	s_wait_alu 0xfffd
	v_add_co_ci_u32_e64 v11, null, 0, v11, vcc_lo
	v_add_nc_u32_e32 v2, 4, v2
	s_delay_alu instid0(VALU_DEP_2)
	v_cmp_ge_i64_e32 vcc_lo, v[10:11], v[4:5]
	s_wait_alu 0xfffe
	s_or_b32 s12, vcc_lo, s12
	s_wait_dscnt 0x0
	v_add_f32_e32 v12, v12, v3
	s_wait_alu 0xfffe
	s_and_not1_b32 exec_lo, exec_lo, s12
	s_cbranch_execnz .LBB62_117
; %bb.118:                              ;   in Loop: Header=BB62_115 Depth=1
	s_or_b32 exec_lo, exec_lo, s12
	s_branch .LBB62_114
.LBB62_119:
	s_wait_alu 0xfffe
	s_or_b32 exec_lo, exec_lo, s0
	s_mov_b32 s0, 0
.LBB62_120:
	s_wait_alu 0xfffe
	s_and_not1_b32 vcc_lo, exec_lo, s0
	s_wait_alu 0xfffe
	s_cbranch_vccnz .LBB62_137
; %bb.121:
	s_cvt_f32_u32 s0, s2
	s_sub_co_i32 s1, 0, s2
	s_wait_alu 0xfffe
	s_delay_alu instid0(SALU_CYCLE_1) | instskip(NEXT) | instid1(TRANS32_DEP_1)
	v_rcp_iflag_f32_e32 v2, s0
	v_readfirstlane_b32 s0, v2
	s_mul_f32 s0, s0, 0x4f7ffffe
	s_wait_alu 0xfffe
	s_delay_alu instid0(SALU_CYCLE_2) | instskip(SKIP_1) | instid1(SALU_CYCLE_2)
	s_cvt_u32_f32 s0, s0
	s_wait_alu 0xfffe
	s_mul_i32 s3, s1, s0
	s_wait_alu 0xfffe
	s_mul_hi_u32 s3, s0, s3
	s_wait_alu 0xfffe
	s_add_co_i32 s0, s0, s3
	s_mov_b32 s3, 0
	s_wait_alu 0xfffe
	v_mul_hi_u32 v2, v0, s0
	s_mov_b32 s0, exec_lo
	s_delay_alu instid0(VALU_DEP_1) | instskip(NEXT) | instid1(VALU_DEP_1)
	v_mul_lo_u32 v3, v2, s2
	v_sub_nc_u32_e32 v3, v0, v3
	s_delay_alu instid0(VALU_DEP_1) | instskip(SKIP_2) | instid1(VALU_DEP_2)
	v_subrev_nc_u32_e32 v5, s2, v3
	v_cmp_le_u32_e32 vcc_lo, s2, v3
	s_wait_alu 0xfffd
	v_dual_cndmask_b32 v3, v3, v5 :: v_dual_add_nc_u32 v4, 1, v2
	s_delay_alu instid0(VALU_DEP_1) | instskip(NEXT) | instid1(VALU_DEP_2)
	v_dual_cndmask_b32 v2, v2, v4 :: v_dual_mov_b32 v5, 0
	v_cmp_le_u32_e32 vcc_lo, s2, v3
	s_delay_alu instid0(VALU_DEP_2) | instskip(SKIP_1) | instid1(VALU_DEP_1)
	v_add_nc_u32_e32 v4, 1, v2
	s_wait_alu 0xfffd
	v_cndmask_b32_e32 v4, v2, v4, vcc_lo
	s_delay_alu instid0(VALU_DEP_1) | instskip(NEXT) | instid1(VALU_DEP_1)
	v_lshlrev_b64_e32 v[2:3], 3, v[4:5]
	v_add_co_u32 v2, vcc_lo, s26, v2
	s_wait_alu 0xfffd
	s_delay_alu instid0(VALU_DEP_2)
	v_add_co_ci_u32_e64 v3, null, s27, v3, vcc_lo
	global_load_b128 v[8:11], v[2:3], off
	s_wait_loadcnt 0x0
	v_sub_co_u32 v2, vcc_lo, v8, s4
	s_wait_alu 0xfffd
	v_subrev_co_ci_u32_e64 v3, null, s5, v9, vcc_lo
	v_sub_co_u32 v12, vcc_lo, v10, s4
	s_wait_alu 0xfffd
	v_subrev_co_ci_u32_e64 v13, null, s5, v11, vcc_lo
	v_mov_b32_e32 v8, v5
	s_delay_alu instid0(VALU_DEP_3) | instskip(SKIP_1) | instid1(VALU_DEP_3)
	v_sub_co_u32 v15, vcc_lo, v12, v2
	s_wait_alu 0xfffd
	v_sub_co_ci_u32_e64 v9, null, v13, v3, vcc_lo
                                        ; implicit-def: $vgpr10_vgpr11
	s_delay_alu instid0(VALU_DEP_1)
	v_cmpx_ne_u64_e32 0, v[8:9]
	s_wait_alu 0xfffe
	s_xor_b32 s6, exec_lo, s0
	s_cbranch_execz .LBB62_123
; %bb.122:
	s_add_nc_u64 s[4:5], s[2:3], 0
	s_mov_b32 s15, s3
	s_wait_alu 0xfffe
	s_xor_b64 s[4:5], s[4:5], 0
	s_mov_b32 s19, s3
	s_wait_alu 0xfffe
	s_cvt_f32_u32 s0, s4
	s_cvt_f32_u32 s7, s5
	s_sub_nc_u64 s[12:13], 0, s[4:5]
	v_ashrrev_i32_e32 v17, 31, v9
	s_wait_alu 0xfffe
	s_fmamk_f32 s0, s7, 0x4f800000, s0
	s_delay_alu instid0(VALU_DEP_1) | instskip(SKIP_1) | instid1(SALU_CYCLE_1)
	v_add_co_u32 v8, vcc_lo, v15, v17
	s_wait_alu 0xfffe
	v_s_rcp_f32 s0, s0
	s_wait_alu 0xfffd
	v_add_co_ci_u32_e64 v9, null, v9, v17, vcc_lo
	v_xor_b32_e32 v18, v8, v17
	s_delay_alu instid0(VALU_DEP_2) | instskip(NEXT) | instid1(TRANS32_DEP_1)
	v_xor_b32_e32 v19, v9, v17
	s_mul_f32 s0, s0, 0x5f7ffffc
	s_wait_alu 0xfffe
	s_delay_alu instid0(SALU_CYCLE_2) | instskip(SKIP_1) | instid1(SALU_CYCLE_2)
	s_mul_f32 s7, s0, 0x2f800000
	s_wait_alu 0xfffe
	s_trunc_f32 s7, s7
	s_wait_alu 0xfffe
	s_delay_alu instid0(SALU_CYCLE_2) | instskip(SKIP_2) | instid1(SALU_CYCLE_1)
	s_fmamk_f32 s0, s7, 0xcf800000, s0
	s_cvt_u32_f32 s9, s7
	s_wait_alu 0xfffe
	s_cvt_u32_f32 s8, s0
	s_wait_alu 0xfffe
	s_delay_alu instid0(SALU_CYCLE_2)
	s_mul_u64 s[16:17], s[12:13], s[8:9]
	s_wait_alu 0xfffe
	s_mul_hi_u32 s25, s8, s17
	s_mul_i32 s24, s8, s17
	s_mul_hi_u32 s14, s8, s16
	s_mul_i32 s7, s9, s16
	s_wait_alu 0xfffe
	s_add_nc_u64 s[14:15], s[14:15], s[24:25]
	s_mul_hi_u32 s0, s9, s16
	s_mul_hi_u32 s11, s9, s17
	s_wait_alu 0xfffe
	s_add_co_u32 s7, s14, s7
	s_add_co_ci_u32 s18, s15, s0
	s_mul_i32 s16, s9, s17
	s_add_co_ci_u32 s17, s11, 0
	s_wait_alu 0xfffe
	s_add_nc_u64 s[14:15], s[18:19], s[16:17]
	s_mov_b32 s17, s3
	s_wait_alu 0xfffe
	s_add_co_u32 s8, s8, s14
	s_cselect_b32 s0, -1, 0
	s_wait_alu 0xfffe
	s_cmp_lg_u32 s0, 0
	s_add_co_ci_u32 s9, s9, s15
	s_mov_b32 s15, s3
	s_wait_alu 0xfffe
	s_mul_u64 s[12:13], s[12:13], s[8:9]
	s_wait_alu 0xfffe
	s_mul_hi_u32 s19, s8, s13
	s_mul_i32 s18, s8, s13
	s_mul_hi_u32 s16, s8, s12
	s_mul_i32 s3, s9, s12
	s_wait_alu 0xfffe
	s_add_nc_u64 s[16:17], s[16:17], s[18:19]
	s_mul_hi_u32 s0, s9, s12
	s_mul_hi_u32 s7, s9, s13
	s_wait_alu 0xfffe
	s_add_co_u32 s3, s16, s3
	s_add_co_ci_u32 s14, s17, s0
	s_mul_i32 s12, s9, s13
	s_add_co_ci_u32 s13, s7, 0
	s_wait_alu 0xfffe
	s_add_nc_u64 s[12:13], s[14:15], s[12:13]
	s_wait_alu 0xfffe
	s_add_co_u32 s0, s8, s12
	s_cselect_b32 s3, -1, 0
	s_wait_alu 0xfffe
	v_mul_hi_u32 v20, v18, s0
	s_cmp_lg_u32 s3, 0
	v_mad_co_u64_u32 v[10:11], null, v19, s0, 0
	s_add_co_ci_u32 s3, s9, s13
	s_wait_alu 0xfffe
	v_mad_co_u64_u32 v[8:9], null, v18, s3, 0
	v_mad_co_u64_u32 v[15:16], null, v19, s3, 0
	s_delay_alu instid0(VALU_DEP_2) | instskip(SKIP_1) | instid1(VALU_DEP_3)
	v_add_co_u32 v8, vcc_lo, v20, v8
	s_wait_alu 0xfffd
	v_add_co_ci_u32_e64 v9, null, 0, v9, vcc_lo
	s_delay_alu instid0(VALU_DEP_2) | instskip(SKIP_1) | instid1(VALU_DEP_2)
	v_add_co_u32 v8, vcc_lo, v8, v10
	s_wait_alu 0xfffd
	v_add_co_ci_u32_e32 v8, vcc_lo, v9, v11, vcc_lo
	s_wait_alu 0xfffd
	v_add_co_ci_u32_e32 v9, vcc_lo, 0, v16, vcc_lo
	s_delay_alu instid0(VALU_DEP_2) | instskip(SKIP_1) | instid1(VALU_DEP_2)
	v_add_co_u32 v10, vcc_lo, v8, v15
	s_wait_alu 0xfffd
	v_add_co_ci_u32_e64 v11, null, 0, v9, vcc_lo
	s_delay_alu instid0(VALU_DEP_2) | instskip(SKIP_1) | instid1(VALU_DEP_3)
	v_mul_lo_u32 v15, s5, v10
	v_mad_co_u64_u32 v[8:9], null, s4, v10, 0
	v_mul_lo_u32 v16, s4, v11
	s_delay_alu instid0(VALU_DEP_2) | instskip(NEXT) | instid1(VALU_DEP_2)
	v_sub_co_u32 v8, vcc_lo, v18, v8
	v_add3_u32 v9, v9, v16, v15
	v_add_co_u32 v16, s0, v10, 2
	s_wait_alu 0xf1ff
	v_add_co_ci_u32_e64 v18, null, 0, v11, s0
	s_delay_alu instid0(VALU_DEP_3) | instskip(SKIP_3) | instid1(VALU_DEP_3)
	v_sub_nc_u32_e32 v15, v19, v9
	v_sub_co_u32 v20, s0, v8, s4
	s_wait_alu 0xfffd
	v_sub_co_ci_u32_e64 v9, null, v19, v9, vcc_lo
	v_subrev_co_ci_u32_e64 v15, null, s5, v15, vcc_lo
	s_delay_alu instid0(VALU_DEP_3) | instskip(SKIP_1) | instid1(VALU_DEP_2)
	v_cmp_le_u32_e32 vcc_lo, s4, v20
	s_wait_alu 0xf1ff
	v_subrev_co_ci_u32_e64 v15, null, 0, v15, s0
	s_wait_alu 0xfffd
	v_cndmask_b32_e64 v19, 0, -1, vcc_lo
	v_cmp_eq_u32_e64 s0, s5, v9
	s_delay_alu instid0(VALU_DEP_3)
	v_cmp_le_u32_e32 vcc_lo, s5, v15
	s_wait_alu 0xfffd
	v_cndmask_b32_e64 v20, 0, -1, vcc_lo
	v_cmp_le_u32_e32 vcc_lo, s4, v8
	s_wait_alu 0xfffd
	v_cndmask_b32_e64 v8, 0, -1, vcc_lo
	;; [unrolled: 3-line block ×3, first 2 shown]
	v_cmp_eq_u32_e32 vcc_lo, s5, v15
	s_wait_alu 0xf1ff
	s_delay_alu instid0(VALU_DEP_2)
	v_cndmask_b32_e64 v8, v21, v8, s0
	s_wait_alu 0xfffd
	v_cndmask_b32_e32 v15, v20, v19, vcc_lo
	v_add_co_u32 v19, vcc_lo, v10, 1
	s_wait_alu 0xfffd
	v_add_co_ci_u32_e64 v20, null, 0, v11, vcc_lo
	s_delay_alu instid0(VALU_DEP_3) | instskip(SKIP_1) | instid1(VALU_DEP_2)
	v_cmp_ne_u32_e32 vcc_lo, 0, v15
	s_wait_alu 0xfffd
	v_cndmask_b32_e32 v9, v20, v18, vcc_lo
	v_cndmask_b32_e32 v15, v19, v16, vcc_lo
	v_cmp_ne_u32_e32 vcc_lo, 0, v8
	s_wait_alu 0xfffd
	s_delay_alu instid0(VALU_DEP_2) | instskip(NEXT) | instid1(VALU_DEP_1)
	v_dual_cndmask_b32 v8, v11, v9 :: v_dual_cndmask_b32 v9, v10, v15
                                        ; implicit-def: $vgpr15
	v_xor_b32_e32 v8, v8, v17
	s_delay_alu instid0(VALU_DEP_2) | instskip(NEXT) | instid1(VALU_DEP_1)
	v_xor_b32_e32 v9, v9, v17
	v_sub_co_u32 v10, vcc_lo, v9, v17
	s_wait_alu 0xfffd
	s_delay_alu instid0(VALU_DEP_3)
	v_sub_co_ci_u32_e64 v11, null, v8, v17, vcc_lo
.LBB62_123:
	s_wait_alu 0xfffe
	s_and_not1_saveexec_b32 s0, s6
	s_cbranch_execz .LBB62_125
; %bb.124:
	v_cvt_f32_u32_e32 v8, s2
	s_delay_alu instid0(VALU_DEP_1) | instskip(NEXT) | instid1(TRANS32_DEP_1)
	v_rcp_iflag_f32_e32 v8, v8
	v_mul_f32_e32 v8, 0x4f7ffffe, v8
	s_delay_alu instid0(VALU_DEP_1) | instskip(NEXT) | instid1(VALU_DEP_1)
	v_cvt_u32_f32_e32 v8, v8
	v_mul_lo_u32 v9, s1, v8
	s_delay_alu instid0(VALU_DEP_1) | instskip(NEXT) | instid1(VALU_DEP_1)
	v_mul_hi_u32 v9, v8, v9
	v_add_nc_u32_e32 v8, v8, v9
	s_delay_alu instid0(VALU_DEP_1) | instskip(NEXT) | instid1(VALU_DEP_1)
	v_mul_hi_u32 v8, v15, v8
	v_mul_lo_u32 v9, v8, s2
	v_add_nc_u32_e32 v10, 1, v8
	s_delay_alu instid0(VALU_DEP_2) | instskip(NEXT) | instid1(VALU_DEP_1)
	v_sub_nc_u32_e32 v9, v15, v9
	v_subrev_nc_u32_e32 v11, s2, v9
	v_cmp_le_u32_e32 vcc_lo, s2, v9
	s_wait_alu 0xfffd
	s_delay_alu instid0(VALU_DEP_2) | instskip(SKIP_1) | instid1(VALU_DEP_2)
	v_dual_cndmask_b32 v9, v9, v11 :: v_dual_cndmask_b32 v8, v8, v10
	v_mov_b32_e32 v11, 0
	v_cmp_le_u32_e32 vcc_lo, s2, v9
	s_delay_alu instid0(VALU_DEP_3) | instskip(SKIP_1) | instid1(VALU_DEP_1)
	v_add_nc_u32_e32 v10, 1, v8
	s_wait_alu 0xfffd
	v_cndmask_b32_e32 v10, v8, v10, vcc_lo
.LBB62_125:
	s_wait_alu 0xfffe
	s_or_b32 exec_lo, exec_lo, s0
	v_mov_b32_e32 v15, 0
	s_mov_b32 s0, exec_lo
	v_cmpx_gt_i64_e64 s[22:23], v[4:5]
	s_cbranch_execz .LBB62_133
; %bb.126:
	s_add_co_i32 s1, s2, -1
	s_wait_alu 0xfffe
	v_dual_mov_b32 v15, 0 :: v_dual_and_b32 v4, s1, v0
	s_mov_b32 s1, exec_lo
	s_delay_alu instid0(VALU_DEP_1)
	v_lshlrev_b32_e32 v16, 2, v4
	v_cmpx_lt_i64_e32 0, v[10:11]
	s_cbranch_execz .LBB62_130
; %bb.127:
	v_dual_mov_b32 v15, 0 :: v_dual_mov_b32 v8, v10
	s_delay_alu instid0(VALU_DEP_3)
	v_lshl_add_u32 v5, v2, 2, v16
	v_mov_b32_e32 v9, v11
	s_lshl_b32 s4, s2, 2
	s_mov_b32 s3, 0
.LBB62_128:                             ; =>This Inner Loop Header: Depth=1
	ds_load_b32 v17, v5
	v_add_co_u32 v8, vcc_lo, v8, -1
	s_wait_alu 0xfffd
	v_add_co_ci_u32_e64 v9, null, -1, v9, vcc_lo
	s_wait_alu 0xfffe
	v_add_nc_u32_e32 v5, s4, v5
	s_delay_alu instid0(VALU_DEP_2)
	v_cmp_eq_u64_e32 vcc_lo, 0, v[8:9]
	s_or_b32 s3, vcc_lo, s3
	s_wait_dscnt 0x0
	v_add_f32_e32 v15, v15, v17
	s_wait_alu 0xfffe
	s_and_not1_b32 exec_lo, exec_lo, s3
	s_cbranch_execnz .LBB62_128
; %bb.129:
	s_or_b32 exec_lo, exec_lo, s3
.LBB62_130:
	s_wait_alu 0xfffe
	s_or_b32 exec_lo, exec_lo, s1
	v_mad_co_u64_u32 v[2:3], null, v10, s2, v[2:3]
	v_mov_b32_e32 v5, 0
	s_mov_b32 s1, exec_lo
	s_delay_alu instid0(VALU_DEP_2) | instskip(NEXT) | instid1(VALU_DEP_3)
	v_mad_co_u64_u32 v[8:9], null, v11, s2, v[3:4]
	v_sub_co_u32 v9, vcc_lo, v12, v2
	s_wait_alu 0xfffd
	s_delay_alu instid0(VALU_DEP_2) | instskip(NEXT) | instid1(VALU_DEP_1)
	v_sub_co_ci_u32_e64 v10, null, v13, v8, vcc_lo
	v_cmpx_gt_i64_e64 v[9:10], v[4:5]
	s_cbranch_execz .LBB62_132
; %bb.131:
	v_lshl_add_u32 v2, v2, 2, v16
	ds_load_b32 v2, v2
	s_wait_dscnt 0x0
	v_add_f32_e32 v15, v15, v2
.LBB62_132:
	s_wait_alu 0xfffe
	s_or_b32 exec_lo, exec_lo, s1
.LBB62_133:
	s_wait_alu 0xfffe
	s_or_b32 exec_lo, exec_lo, s0
	s_wait_storecnt 0x0
	s_barrier_signal -1
	s_barrier_wait -1
	global_inv scope:SCOPE_SE
	ds_store_b32 v14, v15
	s_wait_loadcnt_dscnt 0x0
	s_barrier_signal -1
	s_barrier_wait -1
	global_inv scope:SCOPE_SE
	s_mov_b32 s0, exec_lo
	v_cmpx_gt_i64_e64 s[22:23], v[0:1]
	s_cbranch_execz .LBB62_137
; %bb.134:
	v_mul_lo_u32 v1, s2, v0
	s_delay_alu instid0(VALU_DEP_1)
	v_dual_mov_b32 v1, 0 :: v_dual_lshlrev_b32 v2, 2, v1
.LBB62_135:                             ; =>This Inner Loop Header: Depth=1
	ds_load_b32 v3, v2
	v_add_nc_u32_e32 v2, 4, v2
	s_add_co_i32 s2, s2, -1
	s_wait_alu 0xfffe
	s_cmp_eq_u32 s2, 0
	s_wait_dscnt 0x0
	v_add_f32_e32 v1, v1, v3
	s_cbranch_scc0 .LBB62_135
; %bb.136:
	v_lshlrev_b32_e32 v0, 2, v0
	s_lshl_b32 s0, s10, 2
	v_lshlrev_b64_e32 v[2:3], 2, v[6:7]
	s_wait_alu 0xfffe
	s_delay_alu instid0(VALU_DEP_2)
	v_add3_u32 v0, 0x1000, s0, v0
	ds_load_b32 v0, v0
	s_wait_dscnt 0x0
	v_add_f32_e32 v4, v1, v0
	v_add_co_u32 v0, vcc_lo, s20, v2
	s_wait_alu 0xfffd
	v_add_co_ci_u32_e64 v1, null, s21, v3, vcc_lo
	global_atomic_add_f32 v[0:1], v4, off scope:SCOPE_DEV
.LBB62_137:
	s_endpgm
	.section	.rodata,"a",@progbits
	.p2align	6, 0x0
	.amdhsa_kernel _ZN9rocsparseL27csrmvn_symm_adaptive_kernelIllaaffEEvbT_S1_PKS1_NS_24const_host_device_scalarIT4_EES3_PKT0_PKT1_PKT2_S6_PT3_21rocsparse_index_base_b
		.amdhsa_group_segment_fixed_size 4096
		.amdhsa_private_segment_fixed_size 0
		.amdhsa_kernarg_size 352
		.amdhsa_user_sgpr_count 2
		.amdhsa_user_sgpr_dispatch_ptr 0
		.amdhsa_user_sgpr_queue_ptr 0
		.amdhsa_user_sgpr_kernarg_segment_ptr 1
		.amdhsa_user_sgpr_dispatch_id 0
		.amdhsa_user_sgpr_private_segment_size 0
		.amdhsa_wavefront_size32 1
		.amdhsa_uses_dynamic_stack 0
		.amdhsa_enable_private_segment 0
		.amdhsa_system_sgpr_workgroup_id_x 1
		.amdhsa_system_sgpr_workgroup_id_y 0
		.amdhsa_system_sgpr_workgroup_id_z 0
		.amdhsa_system_sgpr_workgroup_info 0
		.amdhsa_system_vgpr_workitem_id 0
		.amdhsa_next_free_vgpr 22
		.amdhsa_next_free_sgpr 42
		.amdhsa_reserve_vcc 1
		.amdhsa_float_round_mode_32 0
		.amdhsa_float_round_mode_16_64 0
		.amdhsa_float_denorm_mode_32 3
		.amdhsa_float_denorm_mode_16_64 3
		.amdhsa_fp16_overflow 0
		.amdhsa_workgroup_processor_mode 1
		.amdhsa_memory_ordered 1
		.amdhsa_forward_progress 1
		.amdhsa_inst_pref_size 76
		.amdhsa_round_robin_scheduling 0
		.amdhsa_exception_fp_ieee_invalid_op 0
		.amdhsa_exception_fp_denorm_src 0
		.amdhsa_exception_fp_ieee_div_zero 0
		.amdhsa_exception_fp_ieee_overflow 0
		.amdhsa_exception_fp_ieee_underflow 0
		.amdhsa_exception_fp_ieee_inexact 0
		.amdhsa_exception_int_div_zero 0
	.end_amdhsa_kernel
	.section	.text._ZN9rocsparseL27csrmvn_symm_adaptive_kernelIllaaffEEvbT_S1_PKS1_NS_24const_host_device_scalarIT4_EES3_PKT0_PKT1_PKT2_S6_PT3_21rocsparse_index_base_b,"axG",@progbits,_ZN9rocsparseL27csrmvn_symm_adaptive_kernelIllaaffEEvbT_S1_PKS1_NS_24const_host_device_scalarIT4_EES3_PKT0_PKT1_PKT2_S6_PT3_21rocsparse_index_base_b,comdat
.Lfunc_end62:
	.size	_ZN9rocsparseL27csrmvn_symm_adaptive_kernelIllaaffEEvbT_S1_PKS1_NS_24const_host_device_scalarIT4_EES3_PKT0_PKT1_PKT2_S6_PT3_21rocsparse_index_base_b, .Lfunc_end62-_ZN9rocsparseL27csrmvn_symm_adaptive_kernelIllaaffEEvbT_S1_PKS1_NS_24const_host_device_scalarIT4_EES3_PKT0_PKT1_PKT2_S6_PT3_21rocsparse_index_base_b
                                        ; -- End function
	.set _ZN9rocsparseL27csrmvn_symm_adaptive_kernelIllaaffEEvbT_S1_PKS1_NS_24const_host_device_scalarIT4_EES3_PKT0_PKT1_PKT2_S6_PT3_21rocsparse_index_base_b.num_vgpr, 22
	.set _ZN9rocsparseL27csrmvn_symm_adaptive_kernelIllaaffEEvbT_S1_PKS1_NS_24const_host_device_scalarIT4_EES3_PKT0_PKT1_PKT2_S6_PT3_21rocsparse_index_base_b.num_agpr, 0
	.set _ZN9rocsparseL27csrmvn_symm_adaptive_kernelIllaaffEEvbT_S1_PKS1_NS_24const_host_device_scalarIT4_EES3_PKT0_PKT1_PKT2_S6_PT3_21rocsparse_index_base_b.numbered_sgpr, 42
	.set _ZN9rocsparseL27csrmvn_symm_adaptive_kernelIllaaffEEvbT_S1_PKS1_NS_24const_host_device_scalarIT4_EES3_PKT0_PKT1_PKT2_S6_PT3_21rocsparse_index_base_b.num_named_barrier, 0
	.set _ZN9rocsparseL27csrmvn_symm_adaptive_kernelIllaaffEEvbT_S1_PKS1_NS_24const_host_device_scalarIT4_EES3_PKT0_PKT1_PKT2_S6_PT3_21rocsparse_index_base_b.private_seg_size, 0
	.set _ZN9rocsparseL27csrmvn_symm_adaptive_kernelIllaaffEEvbT_S1_PKS1_NS_24const_host_device_scalarIT4_EES3_PKT0_PKT1_PKT2_S6_PT3_21rocsparse_index_base_b.uses_vcc, 1
	.set _ZN9rocsparseL27csrmvn_symm_adaptive_kernelIllaaffEEvbT_S1_PKS1_NS_24const_host_device_scalarIT4_EES3_PKT0_PKT1_PKT2_S6_PT3_21rocsparse_index_base_b.uses_flat_scratch, 0
	.set _ZN9rocsparseL27csrmvn_symm_adaptive_kernelIllaaffEEvbT_S1_PKS1_NS_24const_host_device_scalarIT4_EES3_PKT0_PKT1_PKT2_S6_PT3_21rocsparse_index_base_b.has_dyn_sized_stack, 0
	.set _ZN9rocsparseL27csrmvn_symm_adaptive_kernelIllaaffEEvbT_S1_PKS1_NS_24const_host_device_scalarIT4_EES3_PKT0_PKT1_PKT2_S6_PT3_21rocsparse_index_base_b.has_recursion, 0
	.set _ZN9rocsparseL27csrmvn_symm_adaptive_kernelIllaaffEEvbT_S1_PKS1_NS_24const_host_device_scalarIT4_EES3_PKT0_PKT1_PKT2_S6_PT3_21rocsparse_index_base_b.has_indirect_call, 0
	.section	.AMDGPU.csdata,"",@progbits
; Kernel info:
; codeLenInByte = 9700
; TotalNumSgprs: 44
; NumVgprs: 22
; ScratchSize: 0
; MemoryBound: 0
; FloatMode: 240
; IeeeMode: 1
; LDSByteSize: 4096 bytes/workgroup (compile time only)
; SGPRBlocks: 0
; VGPRBlocks: 2
; NumSGPRsForWavesPerEU: 44
; NumVGPRsForWavesPerEU: 22
; Occupancy: 16
; WaveLimiterHint : 1
; COMPUTE_PGM_RSRC2:SCRATCH_EN: 0
; COMPUTE_PGM_RSRC2:USER_SGPR: 2
; COMPUTE_PGM_RSRC2:TRAP_HANDLER: 0
; COMPUTE_PGM_RSRC2:TGID_X_EN: 1
; COMPUTE_PGM_RSRC2:TGID_Y_EN: 0
; COMPUTE_PGM_RSRC2:TGID_Z_EN: 0
; COMPUTE_PGM_RSRC2:TIDIG_COMP_CNT: 0
	.section	.text._ZL33csrmvn_symm_large_adaptive_kernelIllaaffEvbT_PKS0_N9rocsparse24const_host_device_scalarIT4_EES2_PKT0_PKT1_PKT2_S6_PT3_21rocsparse_index_base_b,"axG",@progbits,_ZL33csrmvn_symm_large_adaptive_kernelIllaaffEvbT_PKS0_N9rocsparse24const_host_device_scalarIT4_EES2_PKT0_PKT1_PKT2_S6_PT3_21rocsparse_index_base_b,comdat
	.globl	_ZL33csrmvn_symm_large_adaptive_kernelIllaaffEvbT_PKS0_N9rocsparse24const_host_device_scalarIT4_EES2_PKT0_PKT1_PKT2_S6_PT3_21rocsparse_index_base_b ; -- Begin function _ZL33csrmvn_symm_large_adaptive_kernelIllaaffEvbT_PKS0_N9rocsparse24const_host_device_scalarIT4_EES2_PKT0_PKT1_PKT2_S6_PT3_21rocsparse_index_base_b
	.p2align	8
	.type	_ZL33csrmvn_symm_large_adaptive_kernelIllaaffEvbT_PKS0_N9rocsparse24const_host_device_scalarIT4_EES2_PKT0_PKT1_PKT2_S6_PT3_21rocsparse_index_base_b,@function
_ZL33csrmvn_symm_large_adaptive_kernelIllaaffEvbT_PKS0_N9rocsparse24const_host_device_scalarIT4_EES2_PKT0_PKT1_PKT2_S6_PT3_21rocsparse_index_base_b: ; @_ZL33csrmvn_symm_large_adaptive_kernelIllaaffEvbT_PKS0_N9rocsparse24const_host_device_scalarIT4_EES2_PKT0_PKT1_PKT2_S6_PT3_21rocsparse_index_base_b
; %bb.0:
	s_clause 0x2
	s_load_b64 s[6:7], s[0:1], 0x50
	s_load_b64 s[20:21], s[0:1], 0x18
	;; [unrolled: 1-line block ×3, first 2 shown]
	s_wait_kmcnt 0x0
	s_bitcmp1_b32 s7, 0
	s_cselect_b32 s4, -1, 0
	s_delay_alu instid0(SALU_CYCLE_1)
	s_and_b32 vcc_lo, exec_lo, s4
	s_xor_b32 s4, s4, -1
	s_cbranch_vccnz .LBB63_2
; %bb.1:
	s_load_b32 s20, s[20:21], 0x0
.LBB63_2:
	s_and_not1_b32 vcc_lo, exec_lo, s4
	s_cbranch_vccnz .LBB63_4
; %bb.3:
	s_load_b32 s2, s[2:3], 0x0
.LBB63_4:
	s_wait_kmcnt 0x0
	s_cmp_neq_f32 s20, 0
	s_mov_b32 s7, 0
	s_cselect_b32 s3, -1, 0
	s_cmp_neq_f32 s2, 1.0
	s_cselect_b32 s2, -1, 0
	s_delay_alu instid0(SALU_CYCLE_1) | instskip(NEXT) | instid1(SALU_CYCLE_1)
	s_or_b32 s2, s3, s2
	s_and_not1_b32 vcc_lo, exec_lo, s2
	s_cbranch_vccnz .LBB63_34
; %bb.5:
	s_load_b64 s[4:5], s[0:1], 0x10
	s_mov_b32 s2, ttmp9
	s_ashr_i32 s3, ttmp9, 31
	v_dual_mov_b32 v5, 0 :: v_dual_lshlrev_b32 v4, 2, v0
	s_lshl_b64 s[2:3], s[2:3], 3
	ds_store_2addr_stride64_b32 v4, v5, v5 offset1:4
	ds_store_2addr_stride64_b32 v4, v5, v5 offset0:8 offset1:12
	s_wait_dscnt 0x0
	s_barrier_signal -1
	s_barrier_wait -1
	global_inv scope:SCOPE_SE
	s_wait_kmcnt 0x0
	s_add_nc_u64 s[2:3], s[4:5], s[2:3]
	s_load_b128 s[16:19], s[2:3], 0x0
	s_clause 0x1
	s_load_b256 s[8:15], s[0:1], 0x20
	s_load_b64 s[22:23], s[0:1], 0x48
	v_sub_co_u32 v6, s1, v0, s6
	s_delay_alu instid0(VALU_DEP_1)
	v_sub_co_ci_u32_e64 v7, null, 0, 0, s1
	s_wait_kmcnt 0x0
	v_cmp_ge_i64_e64 s0, s[16:17], s[18:19]
	s_and_b32 vcc_lo, exec_lo, s0
	s_cbranch_vccnz .LBB63_25
; %bb.6:
	v_cmp_gt_u32_e64 s0, 0x100, v0
	v_cmp_gt_u32_e64 s1, 64, v0
	;; [unrolled: 1-line block ×4, first 2 shown]
	v_cmp_eq_u32_e64 s4, 0, v0
	s_mov_b64 s[24:25], s[16:17]
	s_branch .LBB63_8
.LBB63_7:                               ;   in Loop: Header=BB63_8 Depth=1
	s_wait_alu 0xfffe
	s_or_b32 exec_lo, exec_lo, s5
	s_add_nc_u64 s[24:25], s[24:25], 1
	s_wait_alu 0xfffe
	v_cmp_ge_i64_e64 s5, s[24:25], s[18:19]
	s_and_b32 vcc_lo, exec_lo, s5
	s_wait_alu 0xfffe
	s_cbranch_vccnz .LBB63_25
.LBB63_8:                               ; =>This Loop Header: Depth=1
                                        ;     Child Loop BB63_10 Depth 2
	s_lshl_b64 s[26:27], s[24:25], 3
	v_mov_b32_e32 v8, 0
	s_wait_alu 0xfffe
	s_add_nc_u64 s[26:27], s[8:9], s[26:27]
	s_mov_b32 s21, exec_lo
	s_load_b128 s[28:31], s[26:27], 0x0
	s_wait_kmcnt 0x0
	v_add_co_u32 v0, vcc_lo, s28, v6
	s_wait_alu 0xfffd
	v_add_co_ci_u32_e64 v1, null, s29, v7, vcc_lo
	s_sub_nc_u64 s[26:27], s[30:31], s[6:7]
	s_wait_alu 0xfffe
	v_cmpx_gt_i64_e64 s[26:27], v[0:1]
	s_cbranch_execz .LBB63_12
; %bb.9:                                ;   in Loop: Header=BB63_8 Depth=1
	v_lshlrev_b64_e32 v[2:3], 3, v[0:1]
	v_mov_b32_e32 v8, 0
	s_mov_b32 s28, 0
	s_delay_alu instid0(VALU_DEP_2) | instskip(SKIP_1) | instid1(VALU_DEP_3)
	v_add_co_u32 v2, vcc_lo, s10, v2
	s_wait_alu 0xfffd
	v_add_co_ci_u32_e64 v3, null, s11, v3, vcc_lo
.LBB63_10:                              ;   Parent Loop BB63_8 Depth=1
                                        ; =>  This Inner Loop Header: Depth=2
	global_load_b64 v[9:10], v[2:3], off
	v_add_co_u32 v11, vcc_lo, s12, v0
	s_wait_alu 0xfffd
	v_add_co_ci_u32_e64 v12, null, s13, v1, vcc_lo
	s_wait_loadcnt 0x0
	v_sub_co_u32 v9, s5, v9, s6
	s_wait_alu 0xf1ff
	v_subrev_co_ci_u32_e64 v10, null, 0, v10, s5
	v_add_co_u32 v2, s5, 0x800, v2
	s_delay_alu instid0(VALU_DEP_3) | instskip(SKIP_1) | instid1(VALU_DEP_3)
	v_add_co_u32 v9, vcc_lo, s14, v9
	s_wait_alu 0xfffd
	v_add_co_ci_u32_e64 v10, null, s15, v10, vcc_lo
	v_add_co_u32 v0, vcc_lo, 0x100, v0
	global_load_i8 v11, v[11:12], off
	global_load_i8 v9, v[9:10], off
	s_wait_alu 0xfffd
	v_add_co_ci_u32_e64 v1, null, 0, v1, vcc_lo
	s_wait_alu 0xf1ff
	v_add_co_ci_u32_e64 v3, null, 0, v3, s5
	s_delay_alu instid0(VALU_DEP_2)
	v_cmp_le_i64_e32 vcc_lo, s[26:27], v[0:1]
	s_wait_alu 0xfffe
	s_or_b32 s28, vcc_lo, s28
	s_wait_loadcnt 0x1
	v_cvt_f32_i32_e32 v10, v11
	s_wait_loadcnt 0x0
	v_cvt_f32_i32_e32 v9, v9
	s_delay_alu instid0(VALU_DEP_1)
	v_fmac_f32_e32 v8, v10, v9
	s_wait_alu 0xfffe
	s_and_not1_b32 exec_lo, exec_lo, s28
	s_cbranch_execnz .LBB63_10
; %bb.11:                               ;   in Loop: Header=BB63_8 Depth=1
	s_or_b32 exec_lo, exec_lo, s28
.LBB63_12:                              ;   in Loop: Header=BB63_8 Depth=1
	s_delay_alu instid0(SALU_CYCLE_1)
	s_or_b32 exec_lo, exec_lo, s21
	ds_store_b32 v4, v8
	s_wait_loadcnt_dscnt 0x0
	s_barrier_signal -1
	s_barrier_wait -1
	global_inv scope:SCOPE_SE
	s_and_saveexec_b32 s5, s0
	s_cbranch_execz .LBB63_14
; %bb.13:                               ;   in Loop: Header=BB63_8 Depth=1
	ds_load_2addr_stride64_b32 v[0:1], v4 offset1:4
	ds_load_2addr_stride64_b32 v[2:3], v4 offset0:8 offset1:12
	s_wait_dscnt 0x0
	v_add_f32_e32 v1, v1, v2
	s_delay_alu instid0(VALU_DEP_1) | instskip(NEXT) | instid1(VALU_DEP_1)
	v_add_f32_e32 v1, v1, v3
	v_add_f32_e32 v0, v0, v1
	ds_store_b32 v4, v0
.LBB63_14:                              ;   in Loop: Header=BB63_8 Depth=1
	s_wait_alu 0xfffe
	s_or_b32 exec_lo, exec_lo, s5
	s_wait_loadcnt_dscnt 0x0
	s_barrier_signal -1
	s_barrier_wait -1
	global_inv scope:SCOPE_SE
	s_and_saveexec_b32 s5, s1
	s_cbranch_execz .LBB63_16
; %bb.15:                               ;   in Loop: Header=BB63_8 Depth=1
	ds_load_2addr_stride64_b32 v[0:1], v4 offset1:1
	ds_load_2addr_stride64_b32 v[2:3], v4 offset0:2 offset1:3
	s_wait_dscnt 0x0
	v_add_f32_e32 v1, v1, v2
	s_delay_alu instid0(VALU_DEP_1) | instskip(NEXT) | instid1(VALU_DEP_1)
	v_add_f32_e32 v1, v1, v3
	v_add_f32_e32 v0, v0, v1
	ds_store_b32 v4, v0
.LBB63_16:                              ;   in Loop: Header=BB63_8 Depth=1
	s_wait_alu 0xfffe
	s_or_b32 exec_lo, exec_lo, s5
	s_wait_loadcnt_dscnt 0x0
	s_barrier_signal -1
	s_barrier_wait -1
	global_inv scope:SCOPE_SE
	s_and_saveexec_b32 s5, s2
	s_cbranch_execz .LBB63_18
; %bb.17:                               ;   in Loop: Header=BB63_8 Depth=1
	ds_load_2addr_b32 v[0:1], v4 offset1:16
	ds_load_2addr_b32 v[2:3], v4 offset0:32 offset1:48
	s_wait_dscnt 0x0
	v_add_f32_e32 v1, v1, v2
	s_delay_alu instid0(VALU_DEP_1) | instskip(NEXT) | instid1(VALU_DEP_1)
	v_add_f32_e32 v1, v1, v3
	v_add_f32_e32 v0, v0, v1
	ds_store_b32 v4, v0
.LBB63_18:                              ;   in Loop: Header=BB63_8 Depth=1
	s_wait_alu 0xfffe
	s_or_b32 exec_lo, exec_lo, s5
	s_wait_loadcnt_dscnt 0x0
	s_barrier_signal -1
	s_barrier_wait -1
	global_inv scope:SCOPE_SE
	s_and_saveexec_b32 s5, s3
	s_cbranch_execz .LBB63_20
; %bb.19:                               ;   in Loop: Header=BB63_8 Depth=1
	ds_load_2addr_b32 v[0:1], v4 offset1:4
	ds_load_2addr_b32 v[2:3], v4 offset0:8 offset1:12
	s_wait_dscnt 0x0
	v_add_f32_e32 v1, v1, v2
	s_delay_alu instid0(VALU_DEP_1) | instskip(NEXT) | instid1(VALU_DEP_1)
	v_add_f32_e32 v1, v1, v3
	v_add_f32_e32 v0, v0, v1
	ds_store_b32 v4, v0
.LBB63_20:                              ;   in Loop: Header=BB63_8 Depth=1
	s_wait_alu 0xfffe
	s_or_b32 exec_lo, exec_lo, s5
	s_wait_loadcnt_dscnt 0x0
	s_barrier_signal -1
	s_barrier_wait -1
	global_inv scope:SCOPE_SE
	s_and_saveexec_b32 s5, s4
	s_cbranch_execz .LBB63_22
; %bb.21:                               ;   in Loop: Header=BB63_8 Depth=1
	ds_load_2addr_b32 v[0:1], v5 offset0:1 offset1:2
	ds_load_b32 v2, v5 offset:12
	ds_load_b32 v3, v4
	s_wait_dscnt 0x2
	v_add_f32_e32 v0, v0, v1
	s_wait_dscnt 0x1
	s_delay_alu instid0(VALU_DEP_1) | instskip(SKIP_1) | instid1(VALU_DEP_1)
	v_add_f32_e32 v0, v0, v2
	s_wait_dscnt 0x0
	v_add_f32_e32 v0, v3, v0
	ds_store_b32 v4, v0
.LBB63_22:                              ;   in Loop: Header=BB63_8 Depth=1
	s_wait_alu 0xfffe
	s_or_b32 exec_lo, exec_lo, s5
	s_wait_loadcnt_dscnt 0x0
	s_barrier_signal -1
	s_barrier_wait -1
	global_inv scope:SCOPE_SE
	s_and_saveexec_b32 s5, s4
	s_cbranch_execz .LBB63_7
; %bb.23:                               ;   in Loop: Header=BB63_8 Depth=1
	s_mov_b32 s21, exec_lo
	s_wait_alu 0xfffe
	v_mbcnt_lo_u32_b32 v0, s21, 0
	s_delay_alu instid0(VALU_DEP_1)
	v_cmp_eq_u32_e32 vcc_lo, 0, v0
	s_and_b32 s26, exec_lo, vcc_lo
	s_wait_alu 0xfffe
	s_mov_b32 exec_lo, s26
	s_cbranch_execz .LBB63_7
; %bb.24:                               ;   in Loop: Header=BB63_8 Depth=1
	ds_load_b32 v0, v5
	s_bcnt1_i32_b32 s21, s21
	s_lshl_b64 s[26:27], s[24:25], 2
	s_wait_alu 0xfffe
	v_cvt_f32_ubyte0_e32 v1, s21
	s_add_nc_u64 s[26:27], s[22:23], s[26:27]
	s_wait_dscnt 0x0
	v_mul_f32_e32 v0, s20, v0
	s_delay_alu instid0(VALU_DEP_1)
	v_mul_f32_e32 v0, v0, v1
	global_atomic_add_f32 v5, v0, s[26:27] scope:SCOPE_DEV
	s_branch .LBB63_7
.LBB63_25:
	s_lshl_b64 s[0:1], s[16:17], 3
	s_lshl_b64 s[2:3], s[18:19], 3
	s_wait_alu 0xfffe
	s_add_nc_u64 s[0:1], s[8:9], s[0:1]
	s_add_nc_u64 s[2:3], s[8:9], s[2:3]
	s_clause 0x1
	s_load_b64 s[0:1], s[0:1], 0x0
	s_load_b64 s[2:3], s[2:3], 0x0
	s_wait_kmcnt 0x0
	v_add_co_u32 v0, vcc_lo, s0, v6
	s_wait_alu 0xfffd
	v_add_co_ci_u32_e64 v1, null, s1, v7, vcc_lo
	s_sub_nc_u64 s[2:3], s[2:3], s[6:7]
	s_mov_b32 s0, exec_lo
	v_cmpx_gt_i64_e64 s[2:3], v[0:1]
	s_cbranch_execz .LBB63_34
; %bb.26:
	s_add_nc_u64 s[4:5], s[18:19], -1
	s_add_nc_u64 s[0:1], s[18:19], -2
	s_wait_alu 0xfffe
	v_cmp_lt_i64_e64 s7, s[16:17], s[4:5]
	s_cmp_lg_u64 s[16:17], s[0:1]
	s_cselect_b32 s0, -1, 0
	s_wait_alu 0xfffe
	s_and_b32 s1, s7, s0
	s_mov_b32 s7, 0
	s_branch .LBB63_28
.LBB63_27:                              ;   in Loop: Header=BB63_28 Depth=1
	s_wait_alu 0xfffe
	s_or_b32 exec_lo, exec_lo, s0
	v_add_co_u32 v0, vcc_lo, 0x100, v0
	s_wait_alu 0xfffd
	v_add_co_ci_u32_e64 v1, null, 0, v1, vcc_lo
	s_delay_alu instid0(VALU_DEP_1)
	v_cmp_le_i64_e32 vcc_lo, s[2:3], v[0:1]
	s_or_b32 s7, vcc_lo, s7
	s_wait_alu 0xfffe
	s_and_not1_b32 exec_lo, exec_lo, s7
	s_cbranch_execz .LBB63_34
.LBB63_28:                              ; =>This Loop Header: Depth=1
                                        ;     Child Loop BB63_30 Depth 2
	v_dual_mov_b32 v2, s16 :: v_dual_mov_b32 v3, s17
	v_dual_mov_b32 v4, s4 :: v_dual_mov_b32 v5, s5
	s_wait_alu 0xfffe
	s_and_not1_b32 vcc_lo, exec_lo, s1
	s_wait_alu 0xfffe
	s_cbranch_vccnz .LBB63_32
; %bb.29:                               ;   in Loop: Header=BB63_28 Depth=1
	v_dual_mov_b32 v2, s16 :: v_dual_mov_b32 v3, s17
	v_dual_mov_b32 v4, s4 :: v_dual_mov_b32 v5, s5
	s_mov_b32 s18, 0
.LBB63_30:                              ;   Parent Loop BB63_28 Depth=1
                                        ; =>  This Inner Loop Header: Depth=2
	s_delay_alu instid0(VALU_DEP_1) | instskip(SKIP_1) | instid1(VALU_DEP_2)
	v_add_co_u32 v6, vcc_lo, v4, v2
	s_wait_alu 0xfffd
	v_add_co_ci_u32_e64 v7, null, v5, v3, vcc_lo
	s_delay_alu instid0(VALU_DEP_1) | instskip(NEXT) | instid1(VALU_DEP_1)
	v_lshrrev_b32_e32 v8, 31, v7
	v_add_co_u32 v6, vcc_lo, v6, v8
	s_wait_alu 0xfffd
	v_add_co_ci_u32_e64 v7, null, 0, v7, vcc_lo
	s_delay_alu instid0(VALU_DEP_1) | instskip(NEXT) | instid1(VALU_DEP_1)
	v_ashrrev_i64 v[6:7], 1, v[6:7]
	v_lshlrev_b64_e32 v[8:9], 3, v[6:7]
	s_delay_alu instid0(VALU_DEP_1) | instskip(SKIP_1) | instid1(VALU_DEP_2)
	v_add_co_u32 v8, vcc_lo, s8, v8
	s_wait_alu 0xfffd
	v_add_co_ci_u32_e64 v9, null, s9, v9, vcc_lo
	global_load_b64 v[8:9], v[8:9], off
	s_wait_loadcnt 0x0
	v_sub_co_u32 v8, vcc_lo, v8, s6
	s_wait_alu 0xfffd
	v_subrev_co_ci_u32_e64 v9, null, 0, v9, vcc_lo
	s_delay_alu instid0(VALU_DEP_1) | instskip(SKIP_3) | instid1(VALU_DEP_2)
	v_cmp_lt_i64_e32 vcc_lo, v[0:1], v[8:9]
	s_wait_alu 0xfffd
	v_dual_cndmask_b32 v5, v5, v7 :: v_dual_cndmask_b32 v4, v4, v6
	v_dual_cndmask_b32 v3, v7, v3 :: v_dual_cndmask_b32 v2, v6, v2
	v_add_co_u32 v6, vcc_lo, v4, -1
	s_wait_alu 0xfffd
	s_delay_alu instid0(VALU_DEP_3) | instskip(NEXT) | instid1(VALU_DEP_3)
	v_add_co_ci_u32_e64 v7, null, -1, v5, vcc_lo
	v_cmp_ge_i64_e32 vcc_lo, v[2:3], v[4:5]
	s_delay_alu instid0(VALU_DEP_2)
	v_cmp_eq_u64_e64 s0, v[2:3], v[6:7]
	s_or_b32 s0, vcc_lo, s0
	s_wait_alu 0xfffe
	s_and_b32 s0, exec_lo, s0
	s_wait_alu 0xfffe
	s_or_b32 s18, s0, s18
	s_wait_alu 0xfffe
	s_and_not1_b32 exec_lo, exec_lo, s18
	s_cbranch_execnz .LBB63_30
; %bb.31:                               ;   in Loop: Header=BB63_28 Depth=1
	s_or_b32 exec_lo, exec_lo, s18
.LBB63_32:                              ;   in Loop: Header=BB63_28 Depth=1
	v_lshlrev_b64_e32 v[6:7], 3, v[4:5]
	v_lshlrev_b64_e32 v[8:9], 3, v[0:1]
	s_mov_b32 s0, exec_lo
	s_delay_alu instid0(VALU_DEP_2) | instskip(SKIP_1) | instid1(VALU_DEP_3)
	v_add_co_u32 v6, vcc_lo, s8, v6
	s_wait_alu 0xfffd
	v_add_co_ci_u32_e64 v7, null, s9, v7, vcc_lo
	s_delay_alu instid0(VALU_DEP_3)
	v_add_co_u32 v8, vcc_lo, s10, v8
	s_wait_alu 0xfffd
	v_add_co_ci_u32_e64 v9, null, s11, v9, vcc_lo
	global_load_b64 v[6:7], v[6:7], off
	global_load_b64 v[8:9], v[8:9], off
	s_wait_loadcnt 0x1
	v_sub_co_u32 v6, vcc_lo, v6, s6
	s_wait_alu 0xfffd
	v_subrev_co_ci_u32_e64 v7, null, 0, v7, vcc_lo
	s_delay_alu instid0(VALU_DEP_1)
	v_cmp_lt_i64_e32 vcc_lo, v[0:1], v[6:7]
	s_wait_alu 0xfffd
	v_dual_cndmask_b32 v5, v5, v3 :: v_dual_cndmask_b32 v4, v4, v2
	s_wait_loadcnt 0x0
	v_sub_co_u32 v2, vcc_lo, v8, s6
	s_wait_alu 0xfffd
	v_subrev_co_ci_u32_e64 v3, null, 0, v9, vcc_lo
	s_delay_alu instid0(VALU_DEP_1)
	v_cmpx_ne_u64_e64 v[2:3], v[4:5]
	s_cbranch_execz .LBB63_27
; %bb.33:                               ;   in Loop: Header=BB63_28 Depth=1
	v_add_co_u32 v6, vcc_lo, s12, v0
	s_wait_alu 0xfffd
	v_add_co_ci_u32_e64 v7, null, s13, v1, vcc_lo
	v_add_co_u32 v4, vcc_lo, s14, v4
	s_wait_alu 0xfffd
	v_add_co_ci_u32_e64 v5, null, s15, v5, vcc_lo
	global_load_i8 v6, v[6:7], off
	v_lshlrev_b64_e32 v[2:3], 2, v[2:3]
	global_load_i8 v4, v[4:5], off
	v_add_co_u32 v2, vcc_lo, s22, v2
	s_wait_alu 0xfffd
	v_add_co_ci_u32_e64 v3, null, s23, v3, vcc_lo
	s_wait_loadcnt 0x1
	v_cvt_f32_i32_e32 v5, v6
	s_wait_loadcnt 0x0
	v_cvt_f32_i32_e32 v4, v4
	s_delay_alu instid0(VALU_DEP_2) | instskip(NEXT) | instid1(VALU_DEP_1)
	v_mul_f32_e32 v5, s20, v5
	v_mul_f32_e32 v4, v5, v4
	global_atomic_add_f32 v[2:3], v4, off scope:SCOPE_DEV
	s_branch .LBB63_27
.LBB63_34:
	s_endpgm
	.section	.rodata,"a",@progbits
	.p2align	6, 0x0
	.amdhsa_kernel _ZL33csrmvn_symm_large_adaptive_kernelIllaaffEvbT_PKS0_N9rocsparse24const_host_device_scalarIT4_EES2_PKT0_PKT1_PKT2_S6_PT3_21rocsparse_index_base_b
		.amdhsa_group_segment_fixed_size 4096
		.amdhsa_private_segment_fixed_size 0
		.amdhsa_kernarg_size 88
		.amdhsa_user_sgpr_count 2
		.amdhsa_user_sgpr_dispatch_ptr 0
		.amdhsa_user_sgpr_queue_ptr 0
		.amdhsa_user_sgpr_kernarg_segment_ptr 1
		.amdhsa_user_sgpr_dispatch_id 0
		.amdhsa_user_sgpr_private_segment_size 0
		.amdhsa_wavefront_size32 1
		.amdhsa_uses_dynamic_stack 0
		.amdhsa_enable_private_segment 0
		.amdhsa_system_sgpr_workgroup_id_x 1
		.amdhsa_system_sgpr_workgroup_id_y 0
		.amdhsa_system_sgpr_workgroup_id_z 0
		.amdhsa_system_sgpr_workgroup_info 0
		.amdhsa_system_vgpr_workitem_id 0
		.amdhsa_next_free_vgpr 13
		.amdhsa_next_free_sgpr 32
		.amdhsa_reserve_vcc 1
		.amdhsa_float_round_mode_32 0
		.amdhsa_float_round_mode_16_64 0
		.amdhsa_float_denorm_mode_32 3
		.amdhsa_float_denorm_mode_16_64 3
		.amdhsa_fp16_overflow 0
		.amdhsa_workgroup_processor_mode 1
		.amdhsa_memory_ordered 1
		.amdhsa_forward_progress 1
		.amdhsa_inst_pref_size 16
		.amdhsa_round_robin_scheduling 0
		.amdhsa_exception_fp_ieee_invalid_op 0
		.amdhsa_exception_fp_denorm_src 0
		.amdhsa_exception_fp_ieee_div_zero 0
		.amdhsa_exception_fp_ieee_overflow 0
		.amdhsa_exception_fp_ieee_underflow 0
		.amdhsa_exception_fp_ieee_inexact 0
		.amdhsa_exception_int_div_zero 0
	.end_amdhsa_kernel
	.section	.text._ZL33csrmvn_symm_large_adaptive_kernelIllaaffEvbT_PKS0_N9rocsparse24const_host_device_scalarIT4_EES2_PKT0_PKT1_PKT2_S6_PT3_21rocsparse_index_base_b,"axG",@progbits,_ZL33csrmvn_symm_large_adaptive_kernelIllaaffEvbT_PKS0_N9rocsparse24const_host_device_scalarIT4_EES2_PKT0_PKT1_PKT2_S6_PT3_21rocsparse_index_base_b,comdat
.Lfunc_end63:
	.size	_ZL33csrmvn_symm_large_adaptive_kernelIllaaffEvbT_PKS0_N9rocsparse24const_host_device_scalarIT4_EES2_PKT0_PKT1_PKT2_S6_PT3_21rocsparse_index_base_b, .Lfunc_end63-_ZL33csrmvn_symm_large_adaptive_kernelIllaaffEvbT_PKS0_N9rocsparse24const_host_device_scalarIT4_EES2_PKT0_PKT1_PKT2_S6_PT3_21rocsparse_index_base_b
                                        ; -- End function
	.set _ZL33csrmvn_symm_large_adaptive_kernelIllaaffEvbT_PKS0_N9rocsparse24const_host_device_scalarIT4_EES2_PKT0_PKT1_PKT2_S6_PT3_21rocsparse_index_base_b.num_vgpr, 13
	.set _ZL33csrmvn_symm_large_adaptive_kernelIllaaffEvbT_PKS0_N9rocsparse24const_host_device_scalarIT4_EES2_PKT0_PKT1_PKT2_S6_PT3_21rocsparse_index_base_b.num_agpr, 0
	.set _ZL33csrmvn_symm_large_adaptive_kernelIllaaffEvbT_PKS0_N9rocsparse24const_host_device_scalarIT4_EES2_PKT0_PKT1_PKT2_S6_PT3_21rocsparse_index_base_b.numbered_sgpr, 32
	.set _ZL33csrmvn_symm_large_adaptive_kernelIllaaffEvbT_PKS0_N9rocsparse24const_host_device_scalarIT4_EES2_PKT0_PKT1_PKT2_S6_PT3_21rocsparse_index_base_b.num_named_barrier, 0
	.set _ZL33csrmvn_symm_large_adaptive_kernelIllaaffEvbT_PKS0_N9rocsparse24const_host_device_scalarIT4_EES2_PKT0_PKT1_PKT2_S6_PT3_21rocsparse_index_base_b.private_seg_size, 0
	.set _ZL33csrmvn_symm_large_adaptive_kernelIllaaffEvbT_PKS0_N9rocsparse24const_host_device_scalarIT4_EES2_PKT0_PKT1_PKT2_S6_PT3_21rocsparse_index_base_b.uses_vcc, 1
	.set _ZL33csrmvn_symm_large_adaptive_kernelIllaaffEvbT_PKS0_N9rocsparse24const_host_device_scalarIT4_EES2_PKT0_PKT1_PKT2_S6_PT3_21rocsparse_index_base_b.uses_flat_scratch, 0
	.set _ZL33csrmvn_symm_large_adaptive_kernelIllaaffEvbT_PKS0_N9rocsparse24const_host_device_scalarIT4_EES2_PKT0_PKT1_PKT2_S6_PT3_21rocsparse_index_base_b.has_dyn_sized_stack, 0
	.set _ZL33csrmvn_symm_large_adaptive_kernelIllaaffEvbT_PKS0_N9rocsparse24const_host_device_scalarIT4_EES2_PKT0_PKT1_PKT2_S6_PT3_21rocsparse_index_base_b.has_recursion, 0
	.set _ZL33csrmvn_symm_large_adaptive_kernelIllaaffEvbT_PKS0_N9rocsparse24const_host_device_scalarIT4_EES2_PKT0_PKT1_PKT2_S6_PT3_21rocsparse_index_base_b.has_indirect_call, 0
	.section	.AMDGPU.csdata,"",@progbits
; Kernel info:
; codeLenInByte = 2024
; TotalNumSgprs: 34
; NumVgprs: 13
; ScratchSize: 0
; MemoryBound: 0
; FloatMode: 240
; IeeeMode: 1
; LDSByteSize: 4096 bytes/workgroup (compile time only)
; SGPRBlocks: 0
; VGPRBlocks: 1
; NumSGPRsForWavesPerEU: 34
; NumVGPRsForWavesPerEU: 13
; Occupancy: 16
; WaveLimiterHint : 1
; COMPUTE_PGM_RSRC2:SCRATCH_EN: 0
; COMPUTE_PGM_RSRC2:USER_SGPR: 2
; COMPUTE_PGM_RSRC2:TRAP_HANDLER: 0
; COMPUTE_PGM_RSRC2:TGID_X_EN: 1
; COMPUTE_PGM_RSRC2:TGID_Y_EN: 0
; COMPUTE_PGM_RSRC2:TGID_Z_EN: 0
; COMPUTE_PGM_RSRC2:TIDIG_COMP_CNT: 0
	.section	.text._ZN9rocsparseL22csrmvn_adaptive_kernelIiiDF16_DF16_ffEEvbT_PKS1_PjPKT0_NS_24const_host_device_scalarIT4_EES3_S7_PKT1_PKT2_SA_PT3_21rocsparse_index_base_b,"axG",@progbits,_ZN9rocsparseL22csrmvn_adaptive_kernelIiiDF16_DF16_ffEEvbT_PKS1_PjPKT0_NS_24const_host_device_scalarIT4_EES3_S7_PKT1_PKT2_SA_PT3_21rocsparse_index_base_b,comdat
	.globl	_ZN9rocsparseL22csrmvn_adaptive_kernelIiiDF16_DF16_ffEEvbT_PKS1_PjPKT0_NS_24const_host_device_scalarIT4_EES3_S7_PKT1_PKT2_SA_PT3_21rocsparse_index_base_b ; -- Begin function _ZN9rocsparseL22csrmvn_adaptive_kernelIiiDF16_DF16_ffEEvbT_PKS1_PjPKT0_NS_24const_host_device_scalarIT4_EES3_S7_PKT1_PKT2_SA_PT3_21rocsparse_index_base_b
	.p2align	8
	.type	_ZN9rocsparseL22csrmvn_adaptive_kernelIiiDF16_DF16_ffEEvbT_PKS1_PjPKT0_NS_24const_host_device_scalarIT4_EES3_S7_PKT1_PKT2_SA_PT3_21rocsparse_index_base_b,@function
_ZN9rocsparseL22csrmvn_adaptive_kernelIiiDF16_DF16_ffEEvbT_PKS1_PjPKT0_NS_24const_host_device_scalarIT4_EES3_S7_PKT1_PKT2_SA_PT3_21rocsparse_index_base_b: ; @_ZN9rocsparseL22csrmvn_adaptive_kernelIiiDF16_DF16_ffEEvbT_PKS1_PjPKT0_NS_24const_host_device_scalarIT4_EES3_S7_PKT1_PKT2_SA_PT3_21rocsparse_index_base_b
; %bb.0:
	s_clause 0x2
	s_load_b64 s[30:31], s[0:1], 0x58
	s_load_b64 s[28:29], s[0:1], 0x20
	;; [unrolled: 1-line block ×3, first 2 shown]
	s_wait_kmcnt 0x0
	s_bitcmp1_b32 s31, 0
	s_cselect_b32 s2, -1, 0
	s_delay_alu instid0(SALU_CYCLE_1)
	s_and_b32 vcc_lo, exec_lo, s2
	s_xor_b32 s2, s2, -1
	s_cbranch_vccnz .LBB64_2
; %bb.1:
	s_load_b32 s28, s[28:29], 0x0
.LBB64_2:
	s_and_not1_b32 vcc_lo, exec_lo, s2
	s_cbranch_vccnz .LBB64_4
; %bb.3:
	s_load_b32 s20, s[20:21], 0x0
.LBB64_4:
	s_wait_kmcnt 0x0
	s_cmp_neq_f32 s28, 0
	s_cselect_b32 s2, -1, 0
	s_cmp_neq_f32 s20, 1.0
	s_cselect_b32 s3, -1, 0
	s_delay_alu instid0(SALU_CYCLE_1) | instskip(NEXT) | instid1(SALU_CYCLE_1)
	s_or_b32 s2, s2, s3
	s_and_not1_b32 vcc_lo, exec_lo, s2
	s_cbranch_vccnz .LBB64_114
; %bb.5:
	s_clause 0x2
	s_load_b64 s[2:3], s[0:1], 0x8
	s_load_b64 s[4:5], s[0:1], 0x18
	;; [unrolled: 1-line block ×3, first 2 shown]
	s_mov_b32 s36, ttmp9
	s_ashr_i32 s37, ttmp9, 31
	s_delay_alu instid0(SALU_CYCLE_1)
	s_lshl_b64 s[38:39], s[36:37], 2
	s_wait_kmcnt 0x0
	s_add_nc_u64 s[2:3], s[2:3], s[38:39]
	s_load_b64 s[24:25], s[2:3], 0x0
	s_load_b256 s[12:19], s[0:1], 0x28
	s_wait_kmcnt 0x0
	s_ashr_i32 s3, s24, 31
	s_mov_b32 s2, s24
	s_delay_alu instid0(SALU_CYCLE_1)
	s_lshl_b64 s[34:35], s[2:3], 2
	s_add_nc_u64 s[2:3], s[4:5], s[38:39]
	s_add_nc_u64 s[26:27], s[12:13], s[34:35]
	s_load_b32 s21, s[2:3], 0x0
	s_load_b32 s29, s[26:27], 0x0
	s_sub_co_i32 s3, s25, s24
	s_mov_b32 s2, -1
	s_cmp_lt_i32 s3, 2
	s_cbranch_scc0 .LBB64_70
; %bb.6:
	s_cmp_lg_u32 s3, 1
	v_cmp_gt_u32_e64 s2, 0x80, v0
	s_cselect_b32 s4, -1, 0
	s_wait_kmcnt 0x0
	s_cmp_lg_u32 s21, 0
	v_cmp_gt_u32_e64 s3, 64, v0
	s_cselect_b32 s5, -1, 0
	v_cmp_gt_u32_e64 s6, 8, v0
	s_or_b32 s5, s4, s5
	v_cmp_gt_u32_e64 s4, 32, v0
	s_and_b32 vcc_lo, exec_lo, s5
	v_cmp_gt_u32_e64 s5, 16, v0
	v_cmp_gt_u32_e64 s7, 4, v0
	;; [unrolled: 1-line block ×3, first 2 shown]
	v_cmp_eq_u32_e64 s9, 0, v0
	s_mov_b32 s10, -1
	s_cbranch_vccnz .LBB64_34
; %bb.7:
	s_cmp_neq_f32 s20, 0
	v_subrev_nc_u32_e32 v6, s30, v0
	v_dual_mov_b32 v8, 0 :: v_dual_lshlrev_b32 v7, 2, v0
	s_cselect_b32 s31, -1, 0
	s_mov_b32 s40, s24
	s_branch .LBB64_10
.LBB64_8:                               ;   in Loop: Header=BB64_10 Depth=1
	s_wait_dscnt 0x0
	global_store_b32 v8, v1, s[10:11]
.LBB64_9:                               ;   in Loop: Header=BB64_10 Depth=1
	s_wait_alu 0xfffe
	s_or_b32 exec_lo, exec_lo, s33
	s_add_co_i32 s40, s40, 1
	s_delay_alu instid0(SALU_CYCLE_1)
	s_cmp_ge_i32 s40, s25
	s_cbranch_scc1 .LBB64_33
.LBB64_10:                              ; =>This Loop Header: Depth=1
                                        ;     Child Loop BB64_12 Depth 2
	s_ashr_i32 s41, s40, 31
	v_mov_b32_e32 v9, 0
	s_lshl_b64 s[42:43], s[40:41], 2
	s_delay_alu instid0(SALU_CYCLE_1)
	s_add_nc_u64 s[10:11], s[12:13], s[42:43]
	s_load_b64 s[10:11], s[10:11], 0x0
	s_wait_kmcnt 0x0
	v_add_nc_u32_e32 v1, s10, v6
	s_sub_co_i32 s33, s11, s30
	s_mov_b32 s11, exec_lo
	s_wait_alu 0xfffe
	s_delay_alu instid0(VALU_DEP_1)
	v_cmpx_gt_i32_e64 s33, v1
	s_cbranch_execz .LBB64_14
; %bb.11:                               ;   in Loop: Header=BB64_10 Depth=1
	v_ashrrev_i32_e32 v2, 31, v1
	s_mov_b32 s37, 0
	s_delay_alu instid0(VALU_DEP_1) | instskip(SKIP_1) | instid1(VALU_DEP_2)
	v_lshlrev_b64_e32 v[3:4], 1, v[1:2]
	v_lshlrev_b64_e32 v[9:10], 2, v[1:2]
	v_add_co_u32 v2, vcc_lo, s16, v3
	s_wait_alu 0xfffd
	s_delay_alu instid0(VALU_DEP_3) | instskip(NEXT) | instid1(VALU_DEP_3)
	v_add_co_ci_u32_e64 v3, null, s17, v4, vcc_lo
	v_add_co_u32 v4, vcc_lo, s14, v9
	s_wait_alu 0xfffd
	v_add_co_ci_u32_e64 v5, null, s15, v10, vcc_lo
	v_mov_b32_e32 v9, 0
.LBB64_12:                              ;   Parent Loop BB64_10 Depth=1
                                        ; =>  This Inner Loop Header: Depth=2
	global_load_b32 v10, v[4:5], off
	global_load_u16 v12, v[2:3], off
	v_add_nc_u32_e32 v1, 0x100, v1
	s_delay_alu instid0(VALU_DEP_1) | instskip(SKIP_3) | instid1(VALU_DEP_1)
	v_cmp_le_i32_e64 s10, s33, v1
	s_or_b32 s37, s10, s37
	s_wait_loadcnt 0x1
	v_subrev_nc_u32_e32 v10, s30, v10
	v_ashrrev_i32_e32 v11, 31, v10
	s_delay_alu instid0(VALU_DEP_1) | instskip(NEXT) | instid1(VALU_DEP_1)
	v_lshlrev_b64_e32 v[10:11], 1, v[10:11]
	v_add_co_u32 v10, vcc_lo, s18, v10
	s_wait_alu 0xfffd
	s_delay_alu instid0(VALU_DEP_2)
	v_add_co_ci_u32_e64 v11, null, s19, v11, vcc_lo
	v_add_co_u32 v2, vcc_lo, 0x200, v2
	s_wait_alu 0xfffd
	v_add_co_ci_u32_e64 v3, null, 0, v3, vcc_lo
	global_load_u16 v10, v[10:11], off
	s_wait_loadcnt 0x1
	v_cvt_f32_f16_e32 v11, v12
	v_add_co_u32 v4, vcc_lo, 0x400, v4
	s_wait_alu 0xfffd
	v_add_co_ci_u32_e64 v5, null, 0, v5, vcc_lo
	s_delay_alu instid0(VALU_DEP_3) | instskip(SKIP_1) | instid1(VALU_DEP_1)
	v_mul_f32_e32 v11, s28, v11
	s_wait_loadcnt 0x0
	v_fma_mix_f32 v9, v11, v10, v9 op_sel_hi:[0,1,0]
	s_and_not1_b32 exec_lo, exec_lo, s37
	s_cbranch_execnz .LBB64_12
; %bb.13:                               ;   in Loop: Header=BB64_10 Depth=1
	s_or_b32 exec_lo, exec_lo, s37
.LBB64_14:                              ;   in Loop: Header=BB64_10 Depth=1
	s_wait_alu 0xfffe
	s_or_b32 exec_lo, exec_lo, s11
	ds_store_b32 v7, v9
	s_wait_dscnt 0x0
	s_barrier_signal -1
	s_barrier_wait -1
	global_inv scope:SCOPE_SE
	s_and_saveexec_b32 s10, s2
	s_cbranch_execz .LBB64_16
; %bb.15:                               ;   in Loop: Header=BB64_10 Depth=1
	ds_load_2addr_stride64_b32 v[1:2], v7 offset1:2
	s_wait_dscnt 0x0
	v_add_f32_e32 v1, v1, v2
	ds_store_b32 v7, v1
.LBB64_16:                              ;   in Loop: Header=BB64_10 Depth=1
	s_wait_alu 0xfffe
	s_or_b32 exec_lo, exec_lo, s10
	s_wait_loadcnt_dscnt 0x0
	s_barrier_signal -1
	s_barrier_wait -1
	global_inv scope:SCOPE_SE
	s_and_saveexec_b32 s10, s3
	s_cbranch_execz .LBB64_18
; %bb.17:                               ;   in Loop: Header=BB64_10 Depth=1
	ds_load_2addr_stride64_b32 v[1:2], v7 offset1:1
	s_wait_dscnt 0x0
	v_add_f32_e32 v1, v1, v2
	ds_store_b32 v7, v1
.LBB64_18:                              ;   in Loop: Header=BB64_10 Depth=1
	s_wait_alu 0xfffe
	s_or_b32 exec_lo, exec_lo, s10
	s_wait_loadcnt_dscnt 0x0
	s_barrier_signal -1
	s_barrier_wait -1
	global_inv scope:SCOPE_SE
	s_and_saveexec_b32 s10, s4
	s_cbranch_execz .LBB64_20
; %bb.19:                               ;   in Loop: Header=BB64_10 Depth=1
	ds_load_2addr_b32 v[1:2], v7 offset1:32
	s_wait_dscnt 0x0
	v_add_f32_e32 v1, v1, v2
	ds_store_b32 v7, v1
.LBB64_20:                              ;   in Loop: Header=BB64_10 Depth=1
	s_wait_alu 0xfffe
	s_or_b32 exec_lo, exec_lo, s10
	s_wait_loadcnt_dscnt 0x0
	s_barrier_signal -1
	s_barrier_wait -1
	global_inv scope:SCOPE_SE
	s_and_saveexec_b32 s10, s5
	s_cbranch_execz .LBB64_22
; %bb.21:                               ;   in Loop: Header=BB64_10 Depth=1
	ds_load_2addr_b32 v[1:2], v7 offset1:16
	s_wait_dscnt 0x0
	v_add_f32_e32 v1, v1, v2
	ds_store_b32 v7, v1
.LBB64_22:                              ;   in Loop: Header=BB64_10 Depth=1
	;; [unrolled: 14-line block ×5, first 2 shown]
	s_wait_alu 0xfffe
	s_or_b32 exec_lo, exec_lo, s10
	s_wait_loadcnt_dscnt 0x0
	s_barrier_signal -1
	s_barrier_wait -1
	global_inv scope:SCOPE_SE
	s_and_saveexec_b32 s10, s9
	s_cbranch_execz .LBB64_30
; %bb.29:                               ;   in Loop: Header=BB64_10 Depth=1
	ds_load_b64 v[1:2], v8
	s_wait_dscnt 0x0
	v_add_f32_e32 v1, v1, v2
	ds_store_b32 v8, v1
.LBB64_30:                              ;   in Loop: Header=BB64_10 Depth=1
	s_wait_alu 0xfffe
	s_or_b32 exec_lo, exec_lo, s10
	s_wait_loadcnt_dscnt 0x0
	s_barrier_signal -1
	s_barrier_wait -1
	global_inv scope:SCOPE_SE
	s_and_saveexec_b32 s33, s9
	s_cbranch_execz .LBB64_9
; %bb.31:                               ;   in Loop: Header=BB64_10 Depth=1
	ds_load_b32 v1, v8
	s_and_not1_b32 vcc_lo, exec_lo, s31
	s_add_nc_u64 s[10:11], s[22:23], s[42:43]
	s_wait_alu 0xfffe
	s_cbranch_vccnz .LBB64_8
; %bb.32:                               ;   in Loop: Header=BB64_10 Depth=1
	global_load_b32 v2, v8, s[10:11]
	s_wait_loadcnt_dscnt 0x0
	v_fmac_f32_e32 v1, s20, v2
	s_branch .LBB64_8
.LBB64_33:
	s_mov_b32 s10, 0
.LBB64_34:
	s_wait_alu 0xfffe
	s_and_b32 vcc_lo, exec_lo, s10
	s_wait_alu 0xfffe
	s_cbranch_vccz .LBB64_69
; %bb.35:
	s_load_b64 s[6:7], s[0:1], 0x10
	v_mov_b32_e32 v7, 0
	v_or_b32_e32 v1, s21, v0
	s_sub_co_i32 s8, s36, s21
	s_mov_b32 s2, exec_lo
	s_wait_kmcnt 0x0
	s_add_nc_u64 s[4:5], s[6:7], s[38:39]
	global_load_b32 v6, v7, s[4:5]
	v_cmpx_eq_u32_e32 0, v1
	s_cbranch_execz .LBB64_39
; %bb.36:
	v_mov_b32_e32 v1, 0
	s_add_nc_u64 s[10:11], s[22:23], s[34:35]
	s_mov_b32 s3, exec_lo
	s_delay_alu instid0(SALU_CYCLE_1)
	v_mbcnt_lo_u32_b32 v3, s3, 0
	global_load_b32 v2, v1, s[10:11]
	s_add_f32 s10, s20, -1.0
	s_mov_b32 s11, exec_lo
	s_wait_loadcnt 0x0
	s_wait_storecnt 0x0
	global_inv scope:SCOPE_DEV
	v_cmpx_eq_u32_e32 0, v3
	s_cbranch_execz .LBB64_38
; %bb.37:
	s_bcnt1_i32_b32 s3, s3
	s_ashr_i32 s9, s8, 31
	s_wait_alu 0xfffe
	s_and_b32 s3, s3, 1
	s_lshl_b64 s[36:37], s[8:9], 2
	s_wait_alu 0xfffe
	v_mov_b32_e32 v3, s3
	s_add_nc_u64 s[36:37], s[6:7], s[36:37]
	global_atomic_xor_b32 v1, v3, s[36:37] scope:SCOPE_DEV
.LBB64_38:
	s_wait_alu 0xfffe
	s_or_b32 exec_lo, exec_lo, s11
	v_mul_f32_e32 v7, s10, v2
.LBB64_39:
	s_or_b32 exec_lo, exec_lo, s2
	s_load_b32 s2, s[26:27], 0x4
	s_mul_i32 s3, s21, 0xc00
	s_sub_co_i32 s9, s29, s30
	s_wait_alu 0xfffe
	s_add_co_i32 s9, s9, s3
	s_mov_b32 s3, exec_lo
	v_add_nc_u32_e32 v1, s9, v0
	s_wait_kmcnt 0x0
	s_sub_co_i32 s2, s2, s30
	s_wait_alu 0xfffe
	s_delay_alu instid0(VALU_DEP_1)
	v_cmpx_gt_i32_e64 s2, v1
	s_cbranch_execz .LBB64_43
; %bb.40:
	v_ashrrev_i32_e32 v2, 31, v1
	s_addk_co_i32 s9, 0xc00
	s_mov_b32 s10, 0
	s_wait_alu 0xfffe
	s_min_i32 s9, s9, s2
	v_lshlrev_b64_e32 v[3:4], 1, v[1:2]
	v_lshlrev_b64_e32 v[8:9], 2, v[1:2]
	s_delay_alu instid0(VALU_DEP_2) | instskip(SKIP_1) | instid1(VALU_DEP_3)
	v_add_co_u32 v2, vcc_lo, s16, v3
	s_wait_alu 0xfffd
	v_add_co_ci_u32_e64 v3, null, s17, v4, vcc_lo
	s_delay_alu instid0(VALU_DEP_3)
	v_add_co_u32 v4, vcc_lo, s14, v8
	s_wait_alu 0xfffd
	v_add_co_ci_u32_e64 v5, null, s15, v9, vcc_lo
.LBB64_41:                              ; =>This Inner Loop Header: Depth=1
	global_load_b32 v8, v[4:5], off
	global_load_u16 v10, v[2:3], off
	v_add_nc_u32_e32 v1, 0x100, v1
	s_wait_alu 0xfffe
	s_delay_alu instid0(VALU_DEP_1) | instskip(SKIP_3) | instid1(VALU_DEP_1)
	v_cmp_le_i32_e64 s2, s9, v1
	s_or_b32 s10, s2, s10
	s_wait_loadcnt 0x1
	v_subrev_nc_u32_e32 v8, s30, v8
	v_ashrrev_i32_e32 v9, 31, v8
	s_delay_alu instid0(VALU_DEP_1) | instskip(NEXT) | instid1(VALU_DEP_1)
	v_lshlrev_b64_e32 v[8:9], 1, v[8:9]
	v_add_co_u32 v8, vcc_lo, s18, v8
	s_wait_alu 0xfffd
	s_delay_alu instid0(VALU_DEP_2)
	v_add_co_ci_u32_e64 v9, null, s19, v9, vcc_lo
	v_add_co_u32 v2, vcc_lo, 0x200, v2
	s_wait_alu 0xfffd
	v_add_co_ci_u32_e64 v3, null, 0, v3, vcc_lo
	global_load_u16 v8, v[8:9], off
	s_wait_loadcnt 0x1
	v_cvt_f32_f16_e32 v9, v10
	v_add_co_u32 v4, vcc_lo, 0x400, v4
	s_wait_alu 0xfffd
	v_add_co_ci_u32_e64 v5, null, 0, v5, vcc_lo
	s_delay_alu instid0(VALU_DEP_3) | instskip(SKIP_1) | instid1(VALU_DEP_1)
	v_mul_f32_e32 v9, s28, v9
	s_wait_loadcnt 0x0
	v_fma_mix_f32 v7, v9, v8, v7 op_sel_hi:[0,1,0]
	s_wait_alu 0xfffe
	s_and_not1_b32 exec_lo, exec_lo, s10
	s_cbranch_execnz .LBB64_41
; %bb.42:
	s_or_b32 exec_lo, exec_lo, s10
.LBB64_43:
	s_delay_alu instid0(SALU_CYCLE_1)
	s_or_b32 exec_lo, exec_lo, s3
	v_lshlrev_b32_e32 v1, 2, v0
	s_mov_b32 s2, exec_lo
	ds_store_b32 v1, v7
	s_wait_storecnt 0x0
	s_wait_loadcnt_dscnt 0x0
	s_barrier_signal -1
	s_barrier_wait -1
	global_inv scope:SCOPE_SE
	v_cmpx_gt_u32_e32 0x80, v0
	s_cbranch_execz .LBB64_45
; %bb.44:
	ds_load_2addr_stride64_b32 v[2:3], v1 offset1:2
	s_wait_dscnt 0x0
	v_add_f32_e32 v2, v2, v3
	ds_store_b32 v1, v2
.LBB64_45:
	s_wait_alu 0xfffe
	s_or_b32 exec_lo, exec_lo, s2
	s_delay_alu instid0(SALU_CYCLE_1)
	s_mov_b32 s2, exec_lo
	s_wait_loadcnt_dscnt 0x0
	s_barrier_signal -1
	s_barrier_wait -1
	global_inv scope:SCOPE_SE
	v_cmpx_gt_u32_e32 64, v0
	s_cbranch_execz .LBB64_47
; %bb.46:
	ds_load_2addr_stride64_b32 v[2:3], v1 offset1:1
	s_wait_dscnt 0x0
	v_add_f32_e32 v2, v2, v3
	ds_store_b32 v1, v2
.LBB64_47:
	s_wait_alu 0xfffe
	s_or_b32 exec_lo, exec_lo, s2
	s_delay_alu instid0(SALU_CYCLE_1)
	s_mov_b32 s2, exec_lo
	s_wait_loadcnt_dscnt 0x0
	s_barrier_signal -1
	s_barrier_wait -1
	global_inv scope:SCOPE_SE
	v_cmpx_gt_u32_e32 32, v0
	s_cbranch_execz .LBB64_49
; %bb.48:
	ds_load_2addr_b32 v[2:3], v1 offset1:32
	s_wait_dscnt 0x0
	v_add_f32_e32 v2, v2, v3
	ds_store_b32 v1, v2
.LBB64_49:
	s_wait_alu 0xfffe
	s_or_b32 exec_lo, exec_lo, s2
	s_delay_alu instid0(SALU_CYCLE_1)
	s_mov_b32 s2, exec_lo
	s_wait_loadcnt_dscnt 0x0
	s_barrier_signal -1
	s_barrier_wait -1
	global_inv scope:SCOPE_SE
	v_cmpx_gt_u32_e32 16, v0
	s_cbranch_execz .LBB64_51
; %bb.50:
	ds_load_2addr_b32 v[2:3], v1 offset1:16
	s_wait_dscnt 0x0
	v_add_f32_e32 v2, v2, v3
	ds_store_b32 v1, v2
.LBB64_51:
	;; [unrolled: 16-line block ×5, first 2 shown]
	s_wait_alu 0xfffe
	s_or_b32 exec_lo, exec_lo, s2
	v_cmp_eq_u32_e32 vcc_lo, 0, v0
	s_wait_loadcnt_dscnt 0x0
	s_barrier_signal -1
	s_barrier_wait -1
	global_inv scope:SCOPE_SE
	s_and_saveexec_b32 s2, vcc_lo
	s_cbranch_execz .LBB64_59
; %bb.58:
	v_mov_b32_e32 v3, 0
	ds_load_b64 v[1:2], v3
	s_wait_dscnt 0x0
	v_add_f32_e32 v1, v1, v2
	ds_store_b32 v3, v1
.LBB64_59:
	s_wait_alu 0xfffe
	s_or_b32 exec_lo, exec_lo, s2
	s_wait_loadcnt_dscnt 0x0
	s_barrier_signal -1
	s_barrier_wait -1
	global_inv scope:SCOPE_SE
	s_and_saveexec_b32 s10, vcc_lo
	s_cbranch_execz .LBB64_68
; %bb.60:
	s_cmp_eq_u32 s21, 0
	s_cbranch_scc1 .LBB64_66
; %bb.61:
	s_ashr_i32 s9, s8, 31
	v_mov_b32_e32 v1, 0
	s_wait_alu 0xfffe
	s_lshl_b64 s[2:3], s[8:9], 2
	s_wait_alu 0xfffe
	s_add_nc_u64 s[2:3], s[6:7], s[2:3]
	s_branch .LBB64_63
.LBB64_62:                              ;   in Loop: Header=BB64_63 Depth=1
	s_wait_alu 0xfffe
	s_or_b32 exec_lo, exec_lo, s6
	s_wait_loadcnt 0x0
	v_readfirstlane_b32 s6, v2
	s_wait_alu 0xf1ff
	s_delay_alu instid0(VALU_DEP_1)
	v_cmp_eq_u32_e32 vcc_lo, s6, v6
	s_cbranch_vccz .LBB64_65
.LBB64_63:                              ; =>This Inner Loop Header: Depth=1
	v_mbcnt_lo_u32_b32 v2, exec_lo, 0
	s_delay_alu instid0(VALU_DEP_1)
	v_cmp_eq_u32_e32 vcc_lo, 0, v2
                                        ; implicit-def: $vgpr2
	s_and_saveexec_b32 s6, vcc_lo
	s_cbranch_execz .LBB64_62
; %bb.64:                               ;   in Loop: Header=BB64_63 Depth=1
	global_load_b32 v2, v1, s[2:3] scope:SCOPE_DEV
	s_branch .LBB64_62
.LBB64_65:
	v_mov_b32_e32 v1, 0
	global_load_u16 v2, v1, s[4:5]
	s_wait_loadcnt 0x0
	v_xor_b32_e32 v2, 1, v2
	global_store_b16 v1, v2, s[4:5]
.LBB64_66:
	s_mov_b32 s2, exec_lo
	s_wait_alu 0xfffe
	v_mbcnt_lo_u32_b32 v1, s2, 0
	s_delay_alu instid0(VALU_DEP_1)
	v_cmp_eq_u32_e32 vcc_lo, 0, v1
	s_and_b32 s3, exec_lo, vcc_lo
	s_wait_alu 0xfffe
	s_mov_b32 exec_lo, s3
	s_cbranch_execz .LBB64_68
; %bb.67:
	s_bcnt1_i32_b32 s2, s2
	s_wait_alu 0xfffe
	v_cvt_f32_ubyte0_e32 v3, s2
	v_mov_b32_e32 v1, 0
	s_add_nc_u64 s[2:3], s[22:23], s[34:35]
	ds_load_b32 v2, v1
	s_wait_dscnt 0x0
	v_mul_f32_e32 v2, v2, v3
	global_atomic_add_f32 v1, v2, s[2:3] scope:SCOPE_DEV
.LBB64_68:
	s_wait_alu 0xfffe
	s_or_b32 exec_lo, exec_lo, s10
.LBB64_69:
	s_mov_b32 s2, 0
.LBB64_70:
	s_wait_alu 0xfffe
	s_and_not1_b32 vcc_lo, exec_lo, s2
	s_wait_alu 0xfffe
	s_cbranch_vccnz .LBB64_114
; %bb.71:
	s_load_b32 s0, s[0:1], 0x4
	v_subrev_nc_u32_e32 v1, s30, v0
	s_wait_kmcnt 0x0
	s_delay_alu instid0(VALU_DEP_1) | instskip(NEXT) | instid1(VALU_DEP_1)
	v_add_nc_u32_e32 v1, s29, v1
	v_add_nc_u32_e32 v2, 0x300, v1
	s_delay_alu instid0(VALU_DEP_1)
	v_cmp_le_i32_e32 vcc_lo, s0, v2
	s_and_saveexec_b32 s0, vcc_lo
	s_wait_alu 0xfffe
	s_xor_b32 s0, exec_lo, s0
	s_cbranch_execz .LBB64_76
; %bb.72:
	s_ashr_i32 s3, s25, 31
	s_mov_b32 s2, s25
	s_wait_alu 0xfffe
	s_lshl_b64 s[2:3], s[2:3], 2
	s_wait_alu 0xfffe
	s_add_nc_u64 s[2:3], s[12:13], s[2:3]
	s_load_b32 s1, s[2:3], 0x0
	s_mov_b32 s2, exec_lo
	s_wait_kmcnt 0x0
	s_sub_co_i32 s1, s1, s30
	s_wait_alu 0xfffe
	v_cmpx_gt_i32_e64 s1, v1
	s_cbranch_execz .LBB64_75
; %bb.73:
	v_lshlrev_b32_e32 v3, 2, v0
	s_mov_b32 s3, 0
.LBB64_74:                              ; =>This Inner Loop Header: Depth=1
	v_ashrrev_i32_e32 v2, 31, v1
	s_delay_alu instid0(VALU_DEP_1) | instskip(NEXT) | instid1(VALU_DEP_1)
	v_lshlrev_b64_e32 v[4:5], 2, v[1:2]
	v_add_co_u32 v4, vcc_lo, s14, v4
	s_wait_alu 0xfffd
	s_delay_alu instid0(VALU_DEP_2) | instskip(SKIP_3) | instid1(VALU_DEP_2)
	v_add_co_ci_u32_e64 v5, null, s15, v5, vcc_lo
	global_load_b32 v6, v[4:5], off
	v_lshlrev_b64_e32 v[4:5], 1, v[1:2]
	v_add_nc_u32_e32 v1, 0x100, v1
	v_add_co_u32 v4, vcc_lo, s16, v4
	s_wait_alu 0xfffd
	s_delay_alu instid0(VALU_DEP_3) | instskip(SKIP_3) | instid1(VALU_DEP_1)
	v_add_co_ci_u32_e64 v5, null, s17, v5, vcc_lo
	global_load_u16 v2, v[4:5], off
	s_wait_loadcnt 0x1
	v_subrev_nc_u32_e32 v6, s30, v6
	v_ashrrev_i32_e32 v7, 31, v6
	s_delay_alu instid0(VALU_DEP_1) | instskip(SKIP_2) | instid1(VALU_DEP_2)
	v_lshlrev_b64_e32 v[6:7], 1, v[6:7]
	s_wait_loadcnt 0x0
	v_cvt_f32_f16_e32 v2, v2
	v_add_co_u32 v4, vcc_lo, s18, v6
	s_wait_alu 0xfffd
	s_delay_alu instid0(VALU_DEP_3) | instskip(NEXT) | instid1(VALU_DEP_3)
	v_add_co_ci_u32_e64 v5, null, s19, v7, vcc_lo
	v_mul_f32_e32 v2, s28, v2
	v_cmp_le_i32_e32 vcc_lo, s1, v1
	global_load_u16 v4, v[4:5], off
	s_wait_alu 0xfffe
	s_or_b32 s3, vcc_lo, s3
	s_wait_loadcnt 0x0
	v_cvt_f32_f16_e32 v4, v4
	s_delay_alu instid0(VALU_DEP_1)
	v_mul_f32_e32 v2, v2, v4
	ds_store_b32 v3, v2
	v_add_nc_u32_e32 v3, 0x400, v3
	s_wait_alu 0xfffe
	s_and_not1_b32 exec_lo, exec_lo, s3
	s_cbranch_execnz .LBB64_74
.LBB64_75:
	s_or_b32 exec_lo, exec_lo, s2
                                        ; implicit-def: $vgpr1
.LBB64_76:
	s_wait_alu 0xfffe
	s_or_saveexec_b32 s0, s0
	v_lshlrev_b32_e32 v6, 2, v0
	s_wait_alu 0xfffe
	s_xor_b32 exec_lo, exec_lo, s0
	s_cbranch_execz .LBB64_78
; %bb.77:
	v_ashrrev_i32_e32 v2, 31, v1
	s_delay_alu instid0(VALU_DEP_1) | instskip(SKIP_1) | instid1(VALU_DEP_2)
	v_lshlrev_b64_e32 v[3:4], 2, v[1:2]
	v_lshlrev_b64_e32 v[1:2], 1, v[1:2]
	v_add_co_u32 v3, vcc_lo, s14, v3
	s_wait_alu 0xfffd
	s_delay_alu instid0(VALU_DEP_3) | instskip(NEXT) | instid1(VALU_DEP_3)
	v_add_co_ci_u32_e64 v4, null, s15, v4, vcc_lo
	v_add_co_u32 v1, vcc_lo, s16, v1
	s_wait_alu 0xfffd
	v_add_co_ci_u32_e64 v2, null, s17, v2, vcc_lo
	s_clause 0x3
	global_load_b32 v5, v[3:4], off
	global_load_b32 v7, v[3:4], off offset:1024
	global_load_b32 v8, v[3:4], off offset:2048
	;; [unrolled: 1-line block ×3, first 2 shown]
	s_wait_loadcnt 0x3
	v_subrev_nc_u32_e32 v3, s30, v5
	s_wait_loadcnt 0x2
	v_subrev_nc_u32_e32 v7, s30, v7
	;; [unrolled: 2-line block ×4, first 2 shown]
	s_clause 0x3
	global_load_u16 v5, v[1:2], off
	global_load_u16 v13, v[1:2], off offset:512
	global_load_u16 v14, v[1:2], off offset:1024
	;; [unrolled: 1-line block ×3, first 2 shown]
	v_ashrrev_i32_e32 v4, 31, v3
	v_ashrrev_i32_e32 v8, 31, v7
	v_ashrrev_i32_e32 v10, 31, v9
	v_ashrrev_i32_e32 v12, 31, v11
	s_delay_alu instid0(VALU_DEP_4) | instskip(NEXT) | instid1(VALU_DEP_4)
	v_lshlrev_b64_e32 v[3:4], 1, v[3:4]
	v_lshlrev_b64_e32 v[1:2], 1, v[7:8]
	s_delay_alu instid0(VALU_DEP_4) | instskip(NEXT) | instid1(VALU_DEP_4)
	v_lshlrev_b64_e32 v[7:8], 1, v[9:10]
	v_lshlrev_b64_e32 v[9:10], 1, v[11:12]
	s_delay_alu instid0(VALU_DEP_4)
	v_add_co_u32 v3, vcc_lo, s18, v3
	s_wait_alu 0xfffd
	v_add_co_ci_u32_e64 v4, null, s19, v4, vcc_lo
	v_add_co_u32 v1, vcc_lo, s18, v1
	s_wait_alu 0xfffd
	v_add_co_ci_u32_e64 v2, null, s19, v2, vcc_lo
	v_add_co_u32 v7, vcc_lo, s18, v7
	s_wait_alu 0xfffd
	v_add_co_ci_u32_e64 v8, null, s19, v8, vcc_lo
	v_add_co_u32 v9, vcc_lo, s18, v9
	s_wait_alu 0xfffd
	v_add_co_ci_u32_e64 v10, null, s19, v10, vcc_lo
	s_clause 0x3
	global_load_u16 v3, v[3:4], off
	global_load_u16 v1, v[1:2], off
	;; [unrolled: 1-line block ×4, first 2 shown]
	s_wait_loadcnt 0x7
	v_cvt_f32_f16_e32 v5, v5
	s_wait_loadcnt 0x6
	v_cvt_f32_f16_e32 v7, v13
	;; [unrolled: 2-line block ×4, first 2 shown]
	s_delay_alu instid0(VALU_DEP_2) | instskip(NEXT) | instid1(VALU_DEP_2)
	v_dual_mul_f32 v5, s28, v5 :: v_dual_mul_f32 v8, s28, v8
	v_mul_f32_e32 v9, s28, v9
	s_wait_loadcnt 0x3
	v_cvt_f32_f16_e32 v3, v3
	s_wait_loadcnt 0x2
	v_cvt_f32_f16_e32 v1, v1
	;; [unrolled: 2-line block ×3, first 2 shown]
	v_mul_f32_e32 v7, s28, v7
	s_wait_loadcnt 0x0
	v_cvt_f32_f16_e32 v4, v4
	s_delay_alu instid0(VALU_DEP_3) | instskip(NEXT) | instid1(VALU_DEP_2)
	v_dual_mul_f32 v3, v5, v3 :: v_dual_mul_f32 v2, v8, v2
	v_dual_mul_f32 v1, v7, v1 :: v_dual_mul_f32 v4, v9, v4
	ds_store_2addr_stride64_b32 v6, v3, v1 offset1:4
	ds_store_2addr_stride64_b32 v6, v2, v4 offset0:8 offset1:12
.LBB64_78:
	s_or_b32 exec_lo, exec_lo, s0
	s_cmp_lt_i32 s21, 2
	s_mov_b32 s0, -1
	s_wait_storecnt 0x0
	s_wait_loadcnt_dscnt 0x0
	s_barrier_signal -1
	s_barrier_wait -1
	global_inv scope:SCOPE_SE
	s_cbranch_scc0 .LBB64_89
; %bb.79:
	v_add_nc_u32_e32 v1, s24, v0
	s_mov_b32 s1, exec_lo
	s_delay_alu instid0(VALU_DEP_1)
	v_cmpx_gt_i32_e64 s25, v1
	s_cbranch_execz .LBB64_88
; %bb.80:
	s_cmp_neq_f32 s20, 0
	s_mov_b32 s3, 0
	s_cselect_b32 s2, -1, 0
	s_lshl_b32 s0, s29, 2
	s_wait_alu 0xfffe
	s_sub_co_i32 s4, 0, s0
	s_branch .LBB64_82
.LBB64_81:                              ;   in Loop: Header=BB64_82 Depth=1
	v_add_nc_u32_e32 v1, 0x100, v1
	v_add_co_u32 v2, s0, s22, v2
	s_wait_alu 0xf1ff
	v_add_co_ci_u32_e64 v3, null, s23, v3, s0
	s_delay_alu instid0(VALU_DEP_3)
	v_cmp_le_i32_e32 vcc_lo, s25, v1
	global_store_b32 v[2:3], v7, off
	s_or_b32 s3, vcc_lo, s3
	s_wait_alu 0xfffe
	s_and_not1_b32 exec_lo, exec_lo, s3
	s_cbranch_execz .LBB64_88
.LBB64_82:                              ; =>This Loop Header: Depth=1
                                        ;     Child Loop BB64_84 Depth 2
	v_ashrrev_i32_e32 v2, 31, v1
	v_mov_b32_e32 v7, 0
	s_mov_b32 s0, exec_lo
	s_delay_alu instid0(VALU_DEP_2) | instskip(NEXT) | instid1(VALU_DEP_1)
	v_lshlrev_b64_e32 v[2:3], 2, v[1:2]
	v_add_co_u32 v4, vcc_lo, s12, v2
	s_wait_alu 0xfffd
	s_delay_alu instid0(VALU_DEP_2)
	v_add_co_ci_u32_e64 v5, null, s13, v3, vcc_lo
	global_load_b64 v[4:5], v[4:5], off
	s_wait_loadcnt 0x0
	v_cmpx_lt_i32_e64 v4, v5
	s_cbranch_execz .LBB64_86
; %bb.83:                               ;   in Loop: Header=BB64_82 Depth=1
	v_subrev_nc_u32_e32 v5, s29, v5
	v_subrev_nc_u32_e32 v8, s29, v4
	v_lshl_add_u32 v4, v4, 2, s4
	v_mov_b32_e32 v7, 0
	s_mov_b32 s5, 0
.LBB64_84:                              ;   Parent Loop BB64_82 Depth=1
                                        ; =>  This Inner Loop Header: Depth=2
	ds_load_b32 v9, v4
	v_add_nc_u32_e32 v8, 1, v8
	s_wait_dscnt 0x0
	v_dual_add_f32 v7, v7, v9 :: v_dual_add_nc_u32 v4, 4, v4
	s_delay_alu instid0(VALU_DEP_2)
	v_cmp_ge_i32_e32 vcc_lo, v8, v5
	s_wait_alu 0xfffe
	s_or_b32 s5, vcc_lo, s5
	s_wait_alu 0xfffe
	s_and_not1_b32 exec_lo, exec_lo, s5
	s_cbranch_execnz .LBB64_84
; %bb.85:                               ;   in Loop: Header=BB64_82 Depth=1
	s_or_b32 exec_lo, exec_lo, s5
.LBB64_86:                              ;   in Loop: Header=BB64_82 Depth=1
	s_wait_alu 0xfffe
	s_or_b32 exec_lo, exec_lo, s0
	s_delay_alu instid0(SALU_CYCLE_1)
	s_and_b32 vcc_lo, exec_lo, s2
	s_wait_alu 0xfffe
	s_cbranch_vccz .LBB64_81
; %bb.87:                               ;   in Loop: Header=BB64_82 Depth=1
	v_add_co_u32 v4, vcc_lo, s22, v2
	s_wait_alu 0xfffd
	v_add_co_ci_u32_e64 v5, null, s23, v3, vcc_lo
	global_load_b32 v4, v[4:5], off
	s_wait_loadcnt 0x0
	v_fmac_f32_e32 v7, s20, v4
	s_branch .LBB64_81
.LBB64_88:
	s_wait_alu 0xfffe
	s_or_b32 exec_lo, exec_lo, s1
	s_mov_b32 s0, 0
.LBB64_89:
	s_wait_alu 0xfffe
	s_and_not1_b32 vcc_lo, exec_lo, s0
	s_wait_alu 0xfffe
	s_cbranch_vccnz .LBB64_114
; %bb.90:
	s_clz_i32_u32 s0, s21
	s_mov_b32 s1, exec_lo
	s_wait_alu 0xfffe
	s_xor_b32 s0, s0, 31
	v_mov_b32_e32 v2, 0
	s_wait_alu 0xfffe
	v_lshrrev_b32_e32 v3, s0, v0
	s_add_co_i32 s0, s21, -1
	s_wait_alu 0xfffe
	v_and_b32_e32 v0, s0, v0
	s_delay_alu instid0(VALU_DEP_2) | instskip(NEXT) | instid1(VALU_DEP_1)
	v_add_nc_u32_e32 v1, s24, v3
	v_cmp_le_i32_e32 vcc_lo, s25, v1
	v_cmpx_gt_i32_e64 s25, v1
	s_cbranch_execz .LBB64_96
; %bb.91:
	v_lshlrev_b32_e32 v2, 2, v3
	v_subrev_nc_u32_e32 v4, s29, v0
	s_mov_b32 s2, exec_lo
	global_load_b64 v[2:3], v2, s[26:27]
	s_wait_loadcnt 0x0
	v_subrev_nc_u32_e32 v3, s29, v3
	v_add_nc_u32_e32 v4, v2, v4
	v_mov_b32_e32 v2, 0
	s_delay_alu instid0(VALU_DEP_2)
	v_cmpx_lt_i32_e64 v4, v3
	s_cbranch_execz .LBB64_95
; %bb.92:
	v_dual_mov_b32 v2, 0 :: v_dual_lshlrev_b32 v5, 2, v4
	s_lshl_b32 s4, s21, 2
	s_mov_b32 s3, 0
.LBB64_93:                              ; =>This Inner Loop Header: Depth=1
	ds_load_b32 v7, v5
	v_add_nc_u32_e32 v4, s21, v4
	s_wait_alu 0xfffe
	v_add_nc_u32_e32 v5, s4, v5
	s_delay_alu instid0(VALU_DEP_2)
	v_cmp_ge_i32_e64 s0, v4, v3
	s_or_b32 s3, s0, s3
	s_wait_dscnt 0x0
	v_add_f32_e32 v2, v2, v7
	s_wait_alu 0xfffe
	s_and_not1_b32 exec_lo, exec_lo, s3
	s_cbranch_execnz .LBB64_93
; %bb.94:
	s_or_b32 exec_lo, exec_lo, s3
.LBB64_95:
	s_wait_alu 0xfffe
	s_or_b32 exec_lo, exec_lo, s2
.LBB64_96:
	s_delay_alu instid0(SALU_CYCLE_1)
	s_or_b32 exec_lo, exec_lo, s1
	s_cmp_lt_u32 s21, 0x81
	s_wait_loadcnt 0x0
	s_wait_storecnt 0x0
	s_barrier_signal -1
	s_barrier_wait -1
	global_inv scope:SCOPE_SE
	ds_store_b32 v6, v2
	s_wait_loadcnt_dscnt 0x0
	s_barrier_signal -1
	s_barrier_wait -1
	global_inv scope:SCOPE_SE
	s_cbranch_scc1 .LBB64_98
; %bb.97:
	ds_load_b32 v3, v6 offset:512
	s_wait_loadcnt_dscnt 0x0
	s_barrier_signal -1
	s_barrier_wait -1
	global_inv scope:SCOPE_SE
	v_add_f32_e32 v2, v2, v3
	ds_store_b32 v6, v2
.LBB64_98:
	s_cmp_lt_u32 s21, 0x41
	s_wait_loadcnt_dscnt 0x0
	s_barrier_signal -1
	s_barrier_wait -1
	global_inv scope:SCOPE_SE
	s_cbranch_scc1 .LBB64_100
; %bb.99:
	ds_load_b32 v3, v6 offset:256
	s_wait_loadcnt_dscnt 0x0
	s_barrier_signal -1
	s_barrier_wait -1
	global_inv scope:SCOPE_SE
	v_add_f32_e32 v2, v2, v3
	ds_store_b32 v6, v2
.LBB64_100:
	s_cmp_lt_u32 s21, 33
	;; [unrolled: 15-line block ×5, first 2 shown]
	s_wait_loadcnt_dscnt 0x0
	s_barrier_signal -1
	s_barrier_wait -1
	global_inv scope:SCOPE_SE
	s_cbranch_scc1 .LBB64_108
; %bb.107:
	ds_load_b32 v3, v6 offset:16
	s_wait_loadcnt_dscnt 0x0
	s_barrier_signal -1
	s_barrier_wait -1
	global_inv scope:SCOPE_SE
	v_add_f32_e32 v2, v2, v3
	ds_store_b32 v6, v2
.LBB64_108:
	s_cmp_eq_u32 s21, 2
	s_wait_loadcnt_dscnt 0x0
	s_barrier_signal -1
	s_barrier_wait -1
	global_inv scope:SCOPE_SE
	s_cbranch_scc1 .LBB64_110
; %bb.109:
	ds_load_b32 v3, v6 offset:8
	s_wait_loadcnt_dscnt 0x0
	s_barrier_signal -1
	s_barrier_wait -1
	global_inv scope:SCOPE_SE
	v_add_f32_e32 v2, v2, v3
	ds_store_b32 v6, v2
.LBB64_110:
	s_wait_loadcnt_dscnt 0x0
	s_barrier_signal -1
	s_barrier_wait -1
	global_inv scope:SCOPE_SE
	ds_load_b32 v3, v6 offset:4
	v_cmp_eq_u32_e64 s0, 0, v0
	s_xor_b32 s1, vcc_lo, -1
	s_wait_loadcnt_dscnt 0x0
	s_barrier_signal -1
	s_barrier_wait -1
	s_wait_alu 0xfffe
	s_and_b32 s0, s0, s1
	global_inv scope:SCOPE_SE
	v_add_f32_e32 v3, v2, v3
	ds_store_b32 v6, v3
	s_wait_alu 0xfffe
	s_and_saveexec_b32 s1, s0
	s_cbranch_execz .LBB64_114
; %bb.111:
	v_ashrrev_i32_e32 v2, 31, v1
	s_cmp_eq_f32 s20, 0
	s_delay_alu instid0(VALU_DEP_1)
	v_lshlrev_b64_e32 v[0:1], 2, v[1:2]
	s_cbranch_scc1 .LBB64_113
; %bb.112:
	s_delay_alu instid0(VALU_DEP_1) | instskip(SKIP_1) | instid1(VALU_DEP_2)
	v_add_co_u32 v4, vcc_lo, s22, v0
	s_wait_alu 0xfffd
	v_add_co_ci_u32_e64 v5, null, s23, v1, vcc_lo
	global_load_b32 v2, v[4:5], off
	s_wait_loadcnt 0x0
	v_fmac_f32_e32 v3, s20, v2
.LBB64_113:
	s_delay_alu instid0(VALU_DEP_1) | instskip(SKIP_1) | instid1(VALU_DEP_2)
	v_add_co_u32 v0, vcc_lo, s22, v0
	s_wait_alu 0xfffd
	v_add_co_ci_u32_e64 v1, null, s23, v1, vcc_lo
	global_store_b32 v[0:1], v3, off
.LBB64_114:
	s_endpgm
	.section	.rodata,"a",@progbits
	.p2align	6, 0x0
	.amdhsa_kernel _ZN9rocsparseL22csrmvn_adaptive_kernelIiiDF16_DF16_ffEEvbT_PKS1_PjPKT0_NS_24const_host_device_scalarIT4_EES3_S7_PKT1_PKT2_SA_PT3_21rocsparse_index_base_b
		.amdhsa_group_segment_fixed_size 4096
		.amdhsa_private_segment_fixed_size 0
		.amdhsa_kernarg_size 96
		.amdhsa_user_sgpr_count 2
		.amdhsa_user_sgpr_dispatch_ptr 0
		.amdhsa_user_sgpr_queue_ptr 0
		.amdhsa_user_sgpr_kernarg_segment_ptr 1
		.amdhsa_user_sgpr_dispatch_id 0
		.amdhsa_user_sgpr_private_segment_size 0
		.amdhsa_wavefront_size32 1
		.amdhsa_uses_dynamic_stack 0
		.amdhsa_enable_private_segment 0
		.amdhsa_system_sgpr_workgroup_id_x 1
		.amdhsa_system_sgpr_workgroup_id_y 0
		.amdhsa_system_sgpr_workgroup_id_z 0
		.amdhsa_system_sgpr_workgroup_info 0
		.amdhsa_system_vgpr_workitem_id 0
		.amdhsa_next_free_vgpr 16
		.amdhsa_next_free_sgpr 44
		.amdhsa_reserve_vcc 1
		.amdhsa_float_round_mode_32 0
		.amdhsa_float_round_mode_16_64 0
		.amdhsa_float_denorm_mode_32 3
		.amdhsa_float_denorm_mode_16_64 3
		.amdhsa_fp16_overflow 0
		.amdhsa_workgroup_processor_mode 1
		.amdhsa_memory_ordered 1
		.amdhsa_forward_progress 1
		.amdhsa_inst_pref_size 40
		.amdhsa_round_robin_scheduling 0
		.amdhsa_exception_fp_ieee_invalid_op 0
		.amdhsa_exception_fp_denorm_src 0
		.amdhsa_exception_fp_ieee_div_zero 0
		.amdhsa_exception_fp_ieee_overflow 0
		.amdhsa_exception_fp_ieee_underflow 0
		.amdhsa_exception_fp_ieee_inexact 0
		.amdhsa_exception_int_div_zero 0
	.end_amdhsa_kernel
	.section	.text._ZN9rocsparseL22csrmvn_adaptive_kernelIiiDF16_DF16_ffEEvbT_PKS1_PjPKT0_NS_24const_host_device_scalarIT4_EES3_S7_PKT1_PKT2_SA_PT3_21rocsparse_index_base_b,"axG",@progbits,_ZN9rocsparseL22csrmvn_adaptive_kernelIiiDF16_DF16_ffEEvbT_PKS1_PjPKT0_NS_24const_host_device_scalarIT4_EES3_S7_PKT1_PKT2_SA_PT3_21rocsparse_index_base_b,comdat
.Lfunc_end64:
	.size	_ZN9rocsparseL22csrmvn_adaptive_kernelIiiDF16_DF16_ffEEvbT_PKS1_PjPKT0_NS_24const_host_device_scalarIT4_EES3_S7_PKT1_PKT2_SA_PT3_21rocsparse_index_base_b, .Lfunc_end64-_ZN9rocsparseL22csrmvn_adaptive_kernelIiiDF16_DF16_ffEEvbT_PKS1_PjPKT0_NS_24const_host_device_scalarIT4_EES3_S7_PKT1_PKT2_SA_PT3_21rocsparse_index_base_b
                                        ; -- End function
	.set _ZN9rocsparseL22csrmvn_adaptive_kernelIiiDF16_DF16_ffEEvbT_PKS1_PjPKT0_NS_24const_host_device_scalarIT4_EES3_S7_PKT1_PKT2_SA_PT3_21rocsparse_index_base_b.num_vgpr, 16
	.set _ZN9rocsparseL22csrmvn_adaptive_kernelIiiDF16_DF16_ffEEvbT_PKS1_PjPKT0_NS_24const_host_device_scalarIT4_EES3_S7_PKT1_PKT2_SA_PT3_21rocsparse_index_base_b.num_agpr, 0
	.set _ZN9rocsparseL22csrmvn_adaptive_kernelIiiDF16_DF16_ffEEvbT_PKS1_PjPKT0_NS_24const_host_device_scalarIT4_EES3_S7_PKT1_PKT2_SA_PT3_21rocsparse_index_base_b.numbered_sgpr, 44
	.set _ZN9rocsparseL22csrmvn_adaptive_kernelIiiDF16_DF16_ffEEvbT_PKS1_PjPKT0_NS_24const_host_device_scalarIT4_EES3_S7_PKT1_PKT2_SA_PT3_21rocsparse_index_base_b.num_named_barrier, 0
	.set _ZN9rocsparseL22csrmvn_adaptive_kernelIiiDF16_DF16_ffEEvbT_PKS1_PjPKT0_NS_24const_host_device_scalarIT4_EES3_S7_PKT1_PKT2_SA_PT3_21rocsparse_index_base_b.private_seg_size, 0
	.set _ZN9rocsparseL22csrmvn_adaptive_kernelIiiDF16_DF16_ffEEvbT_PKS1_PjPKT0_NS_24const_host_device_scalarIT4_EES3_S7_PKT1_PKT2_SA_PT3_21rocsparse_index_base_b.uses_vcc, 1
	.set _ZN9rocsparseL22csrmvn_adaptive_kernelIiiDF16_DF16_ffEEvbT_PKS1_PjPKT0_NS_24const_host_device_scalarIT4_EES3_S7_PKT1_PKT2_SA_PT3_21rocsparse_index_base_b.uses_flat_scratch, 0
	.set _ZN9rocsparseL22csrmvn_adaptive_kernelIiiDF16_DF16_ffEEvbT_PKS1_PjPKT0_NS_24const_host_device_scalarIT4_EES3_S7_PKT1_PKT2_SA_PT3_21rocsparse_index_base_b.has_dyn_sized_stack, 0
	.set _ZN9rocsparseL22csrmvn_adaptive_kernelIiiDF16_DF16_ffEEvbT_PKS1_PjPKT0_NS_24const_host_device_scalarIT4_EES3_S7_PKT1_PKT2_SA_PT3_21rocsparse_index_base_b.has_recursion, 0
	.set _ZN9rocsparseL22csrmvn_adaptive_kernelIiiDF16_DF16_ffEEvbT_PKS1_PjPKT0_NS_24const_host_device_scalarIT4_EES3_S7_PKT1_PKT2_SA_PT3_21rocsparse_index_base_b.has_indirect_call, 0
	.section	.AMDGPU.csdata,"",@progbits
; Kernel info:
; codeLenInByte = 5048
; TotalNumSgprs: 46
; NumVgprs: 16
; ScratchSize: 0
; MemoryBound: 0
; FloatMode: 240
; IeeeMode: 1
; LDSByteSize: 4096 bytes/workgroup (compile time only)
; SGPRBlocks: 0
; VGPRBlocks: 1
; NumSGPRsForWavesPerEU: 46
; NumVGPRsForWavesPerEU: 16
; Occupancy: 16
; WaveLimiterHint : 1
; COMPUTE_PGM_RSRC2:SCRATCH_EN: 0
; COMPUTE_PGM_RSRC2:USER_SGPR: 2
; COMPUTE_PGM_RSRC2:TRAP_HANDLER: 0
; COMPUTE_PGM_RSRC2:TGID_X_EN: 1
; COMPUTE_PGM_RSRC2:TGID_Y_EN: 0
; COMPUTE_PGM_RSRC2:TGID_Z_EN: 0
; COMPUTE_PGM_RSRC2:TIDIG_COMP_CNT: 0
	.section	.text._ZN9rocsparseL27csrmvn_symm_adaptive_kernelIiiDF16_DF16_ffEEvbT_S1_PKS1_NS_24const_host_device_scalarIT4_EES3_PKT0_PKT1_PKT2_S6_PT3_21rocsparse_index_base_b,"axG",@progbits,_ZN9rocsparseL27csrmvn_symm_adaptive_kernelIiiDF16_DF16_ffEEvbT_S1_PKS1_NS_24const_host_device_scalarIT4_EES3_PKT0_PKT1_PKT2_S6_PT3_21rocsparse_index_base_b,comdat
	.globl	_ZN9rocsparseL27csrmvn_symm_adaptive_kernelIiiDF16_DF16_ffEEvbT_S1_PKS1_NS_24const_host_device_scalarIT4_EES3_PKT0_PKT1_PKT2_S6_PT3_21rocsparse_index_base_b ; -- Begin function _ZN9rocsparseL27csrmvn_symm_adaptive_kernelIiiDF16_DF16_ffEEvbT_S1_PKS1_NS_24const_host_device_scalarIT4_EES3_PKT0_PKT1_PKT2_S6_PT3_21rocsparse_index_base_b
	.p2align	8
	.type	_ZN9rocsparseL27csrmvn_symm_adaptive_kernelIiiDF16_DF16_ffEEvbT_S1_PKS1_NS_24const_host_device_scalarIT4_EES3_PKT0_PKT1_PKT2_S6_PT3_21rocsparse_index_base_b,@function
_ZN9rocsparseL27csrmvn_symm_adaptive_kernelIiiDF16_DF16_ffEEvbT_S1_PKS1_NS_24const_host_device_scalarIT4_EES3_PKT0_PKT1_PKT2_S6_PT3_21rocsparse_index_base_b: ; @_ZN9rocsparseL27csrmvn_symm_adaptive_kernelIiiDF16_DF16_ffEEvbT_S1_PKS1_NS_24const_host_device_scalarIT4_EES3_PKT0_PKT1_PKT2_S6_PT3_21rocsparse_index_base_b
; %bb.0:
	s_clause 0x2
	s_load_b64 s[20:21], s[0:1], 0x50
	s_load_b64 s[22:23], s[0:1], 0x18
	;; [unrolled: 1-line block ×3, first 2 shown]
	s_wait_kmcnt 0x0
	s_bitcmp1_b32 s21, 0
	s_cselect_b32 s4, -1, 0
	s_delay_alu instid0(SALU_CYCLE_1)
	s_and_b32 vcc_lo, exec_lo, s4
	s_xor_b32 s4, s4, -1
	s_cbranch_vccnz .LBB65_2
; %bb.1:
	s_load_b32 s22, s[22:23], 0x0
.LBB65_2:
	s_and_not1_b32 vcc_lo, exec_lo, s4
	s_cbranch_vccnz .LBB65_4
; %bb.3:
	s_load_b32 s2, s[2:3], 0x0
.LBB65_4:
	s_wait_kmcnt 0x0
	s_cmp_neq_f32 s22, 0
	s_cselect_b32 s3, -1, 0
	s_cmp_neq_f32 s2, 1.0
	s_cselect_b32 s2, -1, 0
	s_delay_alu instid0(SALU_CYCLE_1) | instskip(NEXT) | instid1(SALU_CYCLE_1)
	s_or_b32 s2, s3, s2
	s_and_not1_b32 vcc_lo, exec_lo, s2
	s_cbranch_vccnz .LBB65_141
; %bb.5:
	s_load_b64 s[4:5], s[0:1], 0x10
	s_mov_b32 s2, ttmp9
	s_ashr_i32 s3, ttmp9, 31
	v_lshlrev_b32_e32 v7, 2, v0
	v_mov_b32_e32 v1, 0
	s_lshl_b64 s[2:3], s[2:3], 2
	ds_store_2addr_stride64_b32 v7, v1, v1 offset1:4
	ds_store_2addr_stride64_b32 v7, v1, v1 offset0:8 offset1:12
	s_wait_dscnt 0x0
	s_barrier_signal -1
	s_barrier_wait -1
	global_inv scope:SCOPE_SE
	v_subrev_nc_u32_e32 v6, s20, v0
	s_wait_kmcnt 0x0
	s_add_nc_u64 s[2:3], s[4:5], s[2:3]
	s_load_b64 s[18:19], s[2:3], 0x0
	s_clause 0x1
	s_load_b256 s[8:15], s[0:1], 0x20
	s_load_b64 s[16:17], s[0:1], 0x48
	s_mov_b32 s2, -1
	s_wait_kmcnt 0x0
	s_sub_co_i32 s21, s19, s18
	s_wait_alu 0xfffe
	s_cmp_gt_i32 s21, 2
	s_cbranch_scc1 .LBB65_34
; %bb.6:
	s_cmp_le_i32 s19, s18
	s_cbranch_scc1 .LBB65_24
; %bb.7:
	v_cmp_gt_u32_e64 s2, 16, v0
	v_cmp_gt_u32_e64 s3, 4, v0
	v_cmp_eq_u32_e64 s4, 0, v0
	v_mov_b32_e32 v8, 0
	s_mov_b32 s24, s18
	v_cmp_gt_u32_e32 vcc_lo, 64, v0
	s_branch .LBB65_9
.LBB65_8:                               ;   in Loop: Header=BB65_9 Depth=1
	s_wait_alu 0xfffe
	s_or_b32 exec_lo, exec_lo, s6
	s_add_co_i32 s24, s24, 1
	s_delay_alu instid0(SALU_CYCLE_1)
	s_cmp_ge_i32 s24, s19
	s_cbranch_scc1 .LBB65_24
.LBB65_9:                               ; =>This Loop Header: Depth=1
                                        ;     Child Loop BB65_11 Depth 2
	s_ashr_i32 s25, s24, 31
	v_mov_b32_e32 v9, 0
	s_lshl_b64 s[26:27], s[24:25], 2
	s_delay_alu instid0(SALU_CYCLE_1)
	s_add_nc_u64 s[6:7], s[8:9], s[26:27]
	s_load_b64 s[6:7], s[6:7], 0x0
	s_wait_kmcnt 0x0
	v_add_nc_u32_e32 v1, s6, v6
	s_sub_co_i32 s23, s7, s20
	s_mov_b32 s7, exec_lo
	s_wait_alu 0xfffe
	s_delay_alu instid0(VALU_DEP_1)
	v_cmpx_gt_i32_e64 s23, v1
	s_cbranch_execz .LBB65_13
; %bb.10:                               ;   in Loop: Header=BB65_9 Depth=1
	v_ashrrev_i32_e32 v2, 31, v1
	s_mov_b32 s25, 0
	s_delay_alu instid0(VALU_DEP_1) | instskip(SKIP_1) | instid1(VALU_DEP_2)
	v_lshlrev_b64_e32 v[3:4], 2, v[1:2]
	v_lshlrev_b64_e32 v[9:10], 1, v[1:2]
	v_add_co_u32 v2, s5, s10, v3
	s_wait_alu 0xf1ff
	s_delay_alu instid0(VALU_DEP_3) | instskip(NEXT) | instid1(VALU_DEP_3)
	v_add_co_ci_u32_e64 v3, null, s11, v4, s5
	v_add_co_u32 v4, s5, s12, v9
	s_wait_alu 0xf1ff
	v_add_co_ci_u32_e64 v5, null, s13, v10, s5
	v_mov_b32_e32 v9, 0
.LBB65_11:                              ;   Parent Loop BB65_9 Depth=1
                                        ; =>  This Inner Loop Header: Depth=2
	global_load_b32 v10, v[2:3], off
	v_add_nc_u32_e32 v1, 0x100, v1
	s_delay_alu instid0(VALU_DEP_1) | instskip(SKIP_3) | instid1(VALU_DEP_1)
	v_cmp_le_i32_e64 s6, s23, v1
	s_or_b32 s25, s6, s25
	s_wait_loadcnt 0x0
	v_subrev_nc_u32_e32 v10, s20, v10
	v_ashrrev_i32_e32 v11, 31, v10
	s_delay_alu instid0(VALU_DEP_1) | instskip(NEXT) | instid1(VALU_DEP_1)
	v_lshlrev_b64_e32 v[10:11], 1, v[10:11]
	v_add_co_u32 v10, s5, s14, v10
	s_wait_alu 0xf1ff
	s_delay_alu instid0(VALU_DEP_2)
	v_add_co_ci_u32_e64 v11, null, s15, v11, s5
	v_add_co_u32 v2, s5, 0x400, v2
	global_load_u16 v12, v[4:5], off
	global_load_u16 v10, v[10:11], off
	s_wait_alu 0xf1ff
	v_add_co_ci_u32_e64 v3, null, 0, v3, s5
	v_add_co_u32 v4, s5, 0x200, v4
	s_wait_alu 0xf1ff
	v_add_co_ci_u32_e64 v5, null, 0, v5, s5
	s_wait_loadcnt 0x0
	v_fma_mix_f32 v9, v12, v10, v9 op_sel_hi:[1,1,0]
	s_and_not1_b32 exec_lo, exec_lo, s25
	s_cbranch_execnz .LBB65_11
; %bb.12:                               ;   in Loop: Header=BB65_9 Depth=1
	s_or_b32 exec_lo, exec_lo, s25
.LBB65_13:                              ;   in Loop: Header=BB65_9 Depth=1
	s_wait_alu 0xfffe
	s_or_b32 exec_lo, exec_lo, s7
	ds_store_b32 v7, v9
	s_wait_loadcnt_dscnt 0x0
	s_barrier_signal -1
	s_barrier_wait -1
	global_inv scope:SCOPE_SE
	ds_load_2addr_stride64_b32 v[1:2], v7 offset1:4
	ds_load_2addr_stride64_b32 v[3:4], v7 offset0:8 offset1:12
	s_wait_dscnt 0x0
	v_add_f32_e32 v2, v2, v3
	s_delay_alu instid0(VALU_DEP_1) | instskip(NEXT) | instid1(VALU_DEP_1)
	v_add_f32_e32 v2, v2, v4
	v_add_f32_e32 v1, v1, v2
	ds_store_b32 v7, v1
	s_wait_loadcnt_dscnt 0x0
	s_barrier_signal -1
	s_barrier_wait -1
	global_inv scope:SCOPE_SE
	s_and_saveexec_b32 s5, vcc_lo
	s_cbranch_execz .LBB65_15
; %bb.14:                               ;   in Loop: Header=BB65_9 Depth=1
	ds_load_2addr_stride64_b32 v[1:2], v7 offset1:1
	ds_load_2addr_stride64_b32 v[3:4], v7 offset0:2 offset1:3
	s_wait_dscnt 0x0
	v_add_f32_e32 v2, v2, v3
	s_delay_alu instid0(VALU_DEP_1) | instskip(NEXT) | instid1(VALU_DEP_1)
	v_add_f32_e32 v2, v2, v4
	v_add_f32_e32 v1, v1, v2
	ds_store_b32 v7, v1
.LBB65_15:                              ;   in Loop: Header=BB65_9 Depth=1
	s_wait_alu 0xfffe
	s_or_b32 exec_lo, exec_lo, s5
	s_wait_loadcnt_dscnt 0x0
	s_barrier_signal -1
	s_barrier_wait -1
	global_inv scope:SCOPE_SE
	s_and_saveexec_b32 s5, s2
	s_cbranch_execz .LBB65_17
; %bb.16:                               ;   in Loop: Header=BB65_9 Depth=1
	ds_load_2addr_b32 v[1:2], v7 offset1:16
	ds_load_2addr_b32 v[3:4], v7 offset0:32 offset1:48
	s_wait_dscnt 0x0
	v_add_f32_e32 v2, v2, v3
	s_delay_alu instid0(VALU_DEP_1) | instskip(NEXT) | instid1(VALU_DEP_1)
	v_add_f32_e32 v2, v2, v4
	v_add_f32_e32 v1, v1, v2
	ds_store_b32 v7, v1
.LBB65_17:                              ;   in Loop: Header=BB65_9 Depth=1
	s_wait_alu 0xfffe
	s_or_b32 exec_lo, exec_lo, s5
	s_wait_loadcnt_dscnt 0x0
	s_barrier_signal -1
	s_barrier_wait -1
	global_inv scope:SCOPE_SE
	s_and_saveexec_b32 s5, s3
	s_cbranch_execz .LBB65_19
; %bb.18:                               ;   in Loop: Header=BB65_9 Depth=1
	ds_load_2addr_b32 v[1:2], v7 offset1:4
	ds_load_2addr_b32 v[3:4], v7 offset0:8 offset1:12
	s_wait_dscnt 0x0
	v_add_f32_e32 v2, v2, v3
	s_delay_alu instid0(VALU_DEP_1) | instskip(NEXT) | instid1(VALU_DEP_1)
	v_add_f32_e32 v2, v2, v4
	v_add_f32_e32 v1, v1, v2
	ds_store_b32 v7, v1
.LBB65_19:                              ;   in Loop: Header=BB65_9 Depth=1
	s_wait_alu 0xfffe
	s_or_b32 exec_lo, exec_lo, s5
	s_wait_loadcnt_dscnt 0x0
	s_barrier_signal -1
	s_barrier_wait -1
	global_inv scope:SCOPE_SE
	s_and_saveexec_b32 s5, s4
	s_cbranch_execz .LBB65_21
; %bb.20:                               ;   in Loop: Header=BB65_9 Depth=1
	ds_load_2addr_b32 v[1:2], v8 offset0:1 offset1:2
	ds_load_b32 v3, v8 offset:12
	ds_load_b32 v4, v7
	s_wait_dscnt 0x2
	v_add_f32_e32 v1, v1, v2
	s_wait_dscnt 0x1
	s_delay_alu instid0(VALU_DEP_1) | instskip(SKIP_1) | instid1(VALU_DEP_1)
	v_add_f32_e32 v1, v1, v3
	s_wait_dscnt 0x0
	v_add_f32_e32 v1, v4, v1
	ds_store_b32 v7, v1
.LBB65_21:                              ;   in Loop: Header=BB65_9 Depth=1
	s_wait_alu 0xfffe
	s_or_b32 exec_lo, exec_lo, s5
	s_wait_loadcnt_dscnt 0x0
	s_barrier_signal -1
	s_barrier_wait -1
	global_inv scope:SCOPE_SE
	s_and_saveexec_b32 s6, s4
	s_cbranch_execz .LBB65_8
; %bb.22:                               ;   in Loop: Header=BB65_9 Depth=1
	s_mov_b32 s7, exec_lo
	s_wait_alu 0xfffe
	v_mbcnt_lo_u32_b32 v1, s7, 0
	s_delay_alu instid0(VALU_DEP_1)
	v_cmp_eq_u32_e64 s5, 0, v1
	s_and_b32 s5, exec_lo, s5
	s_wait_alu 0xfffe
	s_mov_b32 exec_lo, s5
	s_cbranch_execz .LBB65_8
; %bb.23:                               ;   in Loop: Header=BB65_9 Depth=1
	ds_load_b32 v1, v8
	s_bcnt1_i32_b32 s5, s7
	s_add_nc_u64 s[26:27], s[16:17], s[26:27]
	s_wait_alu 0xfffe
	v_cvt_f32_ubyte0_e32 v2, s5
	s_wait_dscnt 0x0
	v_mul_f32_e32 v1, s22, v1
	s_delay_alu instid0(VALU_DEP_1)
	v_mul_f32_e32 v1, v1, v2
	global_atomic_add_f32 v8, v1, s[26:27] scope:SCOPE_DEV
	s_branch .LBB65_8
.LBB65_24:
	s_ashr_i32 s3, s18, 31
	s_mov_b32 s2, s18
	s_ashr_i32 s5, s19, 31
	s_lshl_b64 s[2:3], s[2:3], 2
	s_mov_b32 s4, s19
	s_add_nc_u64 s[2:3], s[8:9], s[2:3]
	s_wait_alu 0xfffe
	s_lshl_b64 s[4:5], s[4:5], 2
	s_load_b32 s6, s[2:3], 0x0
	s_add_nc_u64 s[2:3], s[8:9], s[4:5]
	s_mov_b32 s4, exec_lo
	s_load_b32 s2, s[2:3], 0x0
	s_wait_kmcnt 0x0
	v_add_nc_u32_e32 v1, s6, v6
	s_sub_co_i32 s3, s2, s20
	s_delay_alu instid0(VALU_DEP_1) | instid1(SALU_CYCLE_1)
	v_cmpx_gt_i32_e64 s3, v1
	s_cbranch_execz .LBB65_33
; %bb.25:
	s_add_co_i32 s5, s19, -1
	s_mov_b32 s7, 0
	s_wait_alu 0xfffe
	s_cmp_lt_i32 s18, s5
	s_cselect_b32 s2, -1, 0
	s_add_co_i32 s6, s19, -2
	s_wait_alu 0xfffe
	s_cmp_lg_u32 s18, s6
	s_cselect_b32 s6, -1, 0
	s_wait_alu 0xfffe
	s_and_b32 s6, s2, s6
	s_branch .LBB65_27
.LBB65_26:                              ;   in Loop: Header=BB65_27 Depth=1
	s_wait_alu 0xfffe
	s_or_b32 exec_lo, exec_lo, s2
	v_add_nc_u32_e32 v1, 0x100, v1
	s_delay_alu instid0(VALU_DEP_1)
	v_cmp_le_i32_e32 vcc_lo, s3, v1
	s_or_b32 s7, vcc_lo, s7
	s_wait_alu 0xfffe
	s_and_not1_b32 exec_lo, exec_lo, s7
	s_cbranch_execz .LBB65_33
.LBB65_27:                              ; =>This Loop Header: Depth=1
                                        ;     Child Loop BB65_29 Depth 2
	v_mov_b32_e32 v5, s18
	v_mov_b32_e32 v3, s5
	s_wait_alu 0xfffe
	s_and_not1_b32 vcc_lo, exec_lo, s6
	s_wait_alu 0xfffe
	s_cbranch_vccnz .LBB65_31
; %bb.28:                               ;   in Loop: Header=BB65_27 Depth=1
	v_mov_b32_e32 v5, s18
	v_mov_b32_e32 v3, s5
	s_mov_b32 s23, 0
.LBB65_29:                              ;   Parent Loop BB65_27 Depth=1
                                        ; =>  This Inner Loop Header: Depth=2
	s_delay_alu instid0(VALU_DEP_1) | instskip(NEXT) | instid1(VALU_DEP_1)
	v_add_nc_u32_e32 v2, v3, v5
	v_lshrrev_b32_e32 v4, 31, v2
	s_delay_alu instid0(VALU_DEP_1) | instskip(NEXT) | instid1(VALU_DEP_1)
	v_add_nc_u32_e32 v2, v2, v4
	v_ashrrev_i32_e32 v8, 1, v2
	s_delay_alu instid0(VALU_DEP_1) | instskip(NEXT) | instid1(VALU_DEP_1)
	v_ashrrev_i32_e32 v9, 31, v8
	v_lshlrev_b64_e32 v[9:10], 2, v[8:9]
	s_delay_alu instid0(VALU_DEP_1) | instskip(SKIP_1) | instid1(VALU_DEP_2)
	v_add_co_u32 v9, vcc_lo, s8, v9
	s_wait_alu 0xfffd
	v_add_co_ci_u32_e64 v10, null, s9, v10, vcc_lo
	global_load_b32 v2, v[9:10], off
	s_wait_loadcnt 0x0
	v_subrev_nc_u32_e32 v2, s20, v2
	s_delay_alu instid0(VALU_DEP_1) | instskip(SKIP_2) | instid1(VALU_DEP_1)
	v_cmp_lt_i32_e32 vcc_lo, v1, v2
	s_wait_alu 0xfffd
	v_cndmask_b32_e32 v3, v3, v8, vcc_lo
	v_dual_cndmask_b32 v5, v8, v5 :: v_dual_add_nc_u32 v2, -1, v3
	s_delay_alu instid0(VALU_DEP_1) | instskip(NEXT) | instid1(VALU_DEP_2)
	v_cmp_ge_i32_e32 vcc_lo, v5, v3
	v_cmp_eq_u32_e64 s2, v5, v2
	s_or_b32 s2, vcc_lo, s2
	s_wait_alu 0xfffe
	s_and_b32 s2, exec_lo, s2
	s_wait_alu 0xfffe
	s_or_b32 s23, s2, s23
	s_wait_alu 0xfffe
	s_and_not1_b32 exec_lo, exec_lo, s23
	s_cbranch_execnz .LBB65_29
; %bb.30:                               ;   in Loop: Header=BB65_27 Depth=1
	s_or_b32 exec_lo, exec_lo, s23
.LBB65_31:                              ;   in Loop: Header=BB65_27 Depth=1
	v_ashrrev_i32_e32 v4, 31, v3
	v_ashrrev_i32_e32 v2, 31, v1
	s_mov_b32 s2, exec_lo
	s_delay_alu instid0(VALU_DEP_2) | instskip(NEXT) | instid1(VALU_DEP_2)
	v_lshlrev_b64_e32 v[8:9], 2, v[3:4]
	v_lshlrev_b64_e32 v[10:11], 2, v[1:2]
	s_delay_alu instid0(VALU_DEP_2) | instskip(SKIP_1) | instid1(VALU_DEP_3)
	v_add_co_u32 v8, vcc_lo, s8, v8
	s_wait_alu 0xfffd
	v_add_co_ci_u32_e64 v9, null, s9, v9, vcc_lo
	global_load_b32 v4, v[8:9], off
	v_add_co_u32 v8, vcc_lo, s10, v10
	s_wait_alu 0xfffd
	v_add_co_ci_u32_e64 v9, null, s11, v11, vcc_lo
	global_load_b32 v8, v[8:9], off
	s_wait_loadcnt 0x1
	v_subrev_nc_u32_e32 v4, s20, v4
	s_delay_alu instid0(VALU_DEP_1) | instskip(SKIP_4) | instid1(VALU_DEP_1)
	v_cmp_lt_i32_e32 vcc_lo, v1, v4
	s_wait_alu 0xfffd
	v_cndmask_b32_e32 v4, v3, v5, vcc_lo
	s_wait_loadcnt 0x0
	v_subrev_nc_u32_e32 v3, s20, v8
	v_cmpx_ne_u32_e64 v3, v4
	s_cbranch_execz .LBB65_26
; %bb.32:                               ;   in Loop: Header=BB65_27 Depth=1
	v_lshlrev_b64_e32 v[8:9], 1, v[1:2]
	v_ashrrev_i32_e32 v5, 31, v4
	s_delay_alu instid0(VALU_DEP_1) | instskip(NEXT) | instid1(VALU_DEP_3)
	v_lshlrev_b64_e32 v[4:5], 1, v[4:5]
	v_add_co_u32 v8, vcc_lo, s12, v8
	s_wait_alu 0xfffd
	s_delay_alu instid0(VALU_DEP_4) | instskip(NEXT) | instid1(VALU_DEP_3)
	v_add_co_ci_u32_e64 v9, null, s13, v9, vcc_lo
	v_add_co_u32 v4, vcc_lo, s14, v4
	global_load_u16 v2, v[8:9], off
	s_wait_alu 0xfffd
	v_add_co_ci_u32_e64 v5, null, s15, v5, vcc_lo
	global_load_u16 v5, v[4:5], off
	v_ashrrev_i32_e32 v4, 31, v3
	s_wait_loadcnt 0x1
	v_cvt_f32_f16_e32 v8, v2
	s_delay_alu instid0(VALU_DEP_2) | instskip(NEXT) | instid1(VALU_DEP_2)
	v_lshlrev_b64_e32 v[2:3], 2, v[3:4]
	v_mul_f32_e32 v4, s22, v8
	s_wait_loadcnt 0x0
	v_cvt_f32_f16_e32 v5, v5
	s_delay_alu instid0(VALU_DEP_3) | instskip(SKIP_2) | instid1(VALU_DEP_3)
	v_add_co_u32 v2, vcc_lo, s16, v2
	s_wait_alu 0xfffd
	v_add_co_ci_u32_e64 v3, null, s17, v3, vcc_lo
	v_mul_f32_e32 v4, v4, v5
	global_atomic_add_f32 v[2:3], v4, off scope:SCOPE_DEV
	s_branch .LBB65_26
.LBB65_33:
	s_or_b32 exec_lo, exec_lo, s4
	s_mov_b32 s2, 0
.LBB65_34:
	s_wait_alu 0xfffe
	s_and_b32 vcc_lo, exec_lo, s2
	s_wait_alu 0xfffe
	s_cbranch_vccz .LBB65_141
; %bb.35:
	s_ashr_i32 s3, s18, 31
	s_mov_b32 s2, s18
	s_cvt_f32_u32 s4, s21
	s_wait_alu 0xfffe
	s_lshl_b64 s[2:3], s[2:3], 2
	s_mov_b32 s5, 0
	s_wait_alu 0xfffe
	s_add_nc_u64 s[2:3], s[8:9], s[2:3]
	v_rcp_iflag_f32_e32 v1, s4
	s_load_b32 s23, s[2:3], 0x0
	s_clause 0x1
	s_load_b64 s[6:7], s[0:1], 0x4
	s_load_b32 s1, s[0:1], 0x64
	s_delay_alu instid0(TRANS32_DEP_1) | instskip(SKIP_1) | instid1(SALU_CYCLE_3)
	v_readfirstlane_b32 s0, v1
	s_mul_f32 s0, s0, 0x4f7ffffe
	s_cvt_u32_f32 s24, s0
	s_sub_co_i32 s0, 0, s21
	s_wait_kmcnt 0x0
	v_add_nc_u32_e32 v1, s23, v6
	s_mul_i32 s0, s0, s24
	s_delay_alu instid0(VALU_DEP_1) | instskip(NEXT) | instid1(VALU_DEP_1)
	v_add_nc_u32_e32 v9, 0x300, v1
	v_cmp_le_i32_e32 vcc_lo, s6, v9
	s_mul_hi_u32 s6, s24, s0
	s_and_saveexec_b32 s0, vcc_lo
	s_delay_alu instid0(SALU_CYCLE_1)
	s_xor_b32 s4, exec_lo, s0
	s_cbranch_execz .LBB65_40
; %bb.36:
	s_ashr_i32 s27, s19, 31
	s_mov_b32 s26, s19
	s_delay_alu instid0(SALU_CYCLE_1) | instskip(NEXT) | instid1(SALU_CYCLE_1)
	s_lshl_b64 s[26:27], s[26:27], 2
	s_add_nc_u64 s[26:27], s[8:9], s[26:27]
	s_load_b32 s0, s[26:27], 0x0
	s_mov_b32 s26, exec_lo
	s_wait_kmcnt 0x0
	s_sub_co_i32 s25, s0, s23
	s_delay_alu instid0(SALU_CYCLE_1)
	v_cmpx_gt_i32_e64 s25, v0
	s_cbranch_execz .LBB65_39
; %bb.37:
	v_dual_mov_b32 v2, v7 :: v_dual_mov_b32 v3, v0
	s_sub_co_i32 s27, s23, s20
	s_mov_b32 s28, 0
.LBB65_38:                              ; =>This Inner Loop Header: Depth=1
	s_delay_alu instid0(VALU_DEP_1) | instskip(NEXT) | instid1(VALU_DEP_1)
	v_add_nc_u32_e32 v4, s27, v3
	v_ashrrev_i32_e32 v5, 31, v4
	s_delay_alu instid0(VALU_DEP_1) | instskip(NEXT) | instid1(VALU_DEP_1)
	v_lshlrev_b64_e32 v[4:5], 1, v[4:5]
	v_add_co_u32 v4, s0, s12, v4
	s_wait_alu 0xf1ff
	s_delay_alu instid0(VALU_DEP_2) | instskip(SKIP_3) | instid1(VALU_DEP_1)
	v_add_co_ci_u32_e64 v5, null, s13, v5, s0
	global_load_u16 v4, v[4:5], off
	s_wait_loadcnt 0x0
	v_cvt_f32_f16_e32 v4, v4
	v_dual_mul_f32 v4, s22, v4 :: v_dual_add_nc_u32 v3, 0x100, v3
	s_delay_alu instid0(VALU_DEP_1) | instskip(SKIP_3) | instid1(SALU_CYCLE_1)
	v_cmp_le_i32_e64 s0, s25, v3
	ds_store_b32 v2, v4
	v_add_nc_u32_e32 v2, 0x400, v2
	s_or_b32 s28, s0, s28
	s_and_not1_b32 exec_lo, exec_lo, s28
	s_cbranch_execnz .LBB65_38
.LBB65_39:
	s_or_b32 exec_lo, exec_lo, s26
.LBB65_40:
	s_wait_alu 0xfffe
	s_or_saveexec_b32 s25, s4
	v_ashrrev_i32_e32 v2, 31, v1
	s_and_b32 s4, s1, 0xffff
	s_add_co_i32 s24, s24, s6
	s_wait_alu 0xfffe
	s_xor_b32 exec_lo, exec_lo, s25
	s_cbranch_execz .LBB65_42
; %bb.41:
	v_lshlrev_b64_e32 v[3:4], 1, v[1:2]
	s_delay_alu instid0(VALU_DEP_1) | instskip(SKIP_1) | instid1(VALU_DEP_2)
	v_add_co_u32 v3, s0, s12, v3
	s_wait_alu 0xf1ff
	v_add_co_ci_u32_e64 v4, null, s13, v4, s0
	s_clause 0x3
	global_load_u16 v5, v[3:4], off
	global_load_u16 v6, v[3:4], off offset:512
	global_load_u16 v8, v[3:4], off offset:1024
	;; [unrolled: 1-line block ×3, first 2 shown]
	s_wait_loadcnt 0x3
	v_cvt_f32_f16_e32 v4, v5
	s_wait_loadcnt 0x2
	v_cvt_f32_f16_e32 v5, v6
	;; [unrolled: 2-line block ×4, first 2 shown]
	v_dual_mul_f32 v4, s22, v4 :: v_dual_mul_f32 v5, s22, v5
	s_delay_alu instid0(VALU_DEP_2)
	v_dual_mul_f32 v6, s22, v6 :: v_dual_mul_f32 v3, s22, v3
	ds_store_2addr_stride64_b32 v7, v4, v5 offset1:4
	ds_store_2addr_stride64_b32 v7, v6, v3 offset0:8 offset1:12
.LBB65_42:
	s_or_b32 exec_lo, exec_lo, s25
	v_lshl_add_u32 v8, v0, 2, 0x1000
	s_mov_b32 s25, s5
	s_mov_b32 s1, exec_lo
	v_cmpx_gt_i32_e64 s7, v0
	s_cbranch_execz .LBB65_45
; %bb.43:
	v_lshl_add_u32 v3, v0, 2, 0x1000
	v_dual_mov_b32 v4, 0 :: v_dual_mov_b32 v5, v0
	s_mov_b32 s6, 0
.LBB65_44:                              ; =>This Inner Loop Header: Depth=1
	s_delay_alu instid0(VALU_DEP_1)
	v_add_nc_u32_e32 v5, 0x100, v5
	ds_store_b32 v3, v4
	v_add_nc_u32_e32 v3, 0x400, v3
	v_cmp_le_i32_e64 s0, s7, v5
	s_wait_alu 0xfffe
	s_or_b32 s6, s0, s6
	s_wait_alu 0xfffe
	s_and_not1_b32 exec_lo, exec_lo, s6
	s_cbranch_execnz .LBB65_44
.LBB65_45:
	s_wait_alu 0xfffe
	s_or_b32 exec_lo, exec_lo, s1
	s_mul_u64 s[0:1], s[4:5], s[24:25]
	s_sub_co_i32 s0, s19, s7
	s_cmp_ge_i32 s19, s7
	s_wait_storecnt 0x0
	s_wait_loadcnt_dscnt 0x0
	s_wait_alu 0xfffe
	s_cselect_b32 s5, s0, 0
	s_barrier_signal -1
	s_barrier_wait -1
	global_inv scope:SCOPE_SE
	s_and_saveexec_b32 s0, vcc_lo
	s_wait_alu 0xfffe
	s_xor_b32 s6, exec_lo, s0
	s_cbranch_execz .LBB65_62
; %bb.46:
	s_ashr_i32 s13, s19, 31
	s_mov_b32 s12, s19
	s_wait_alu 0xfffe
	s_lshl_b64 s[12:13], s[12:13], 2
	s_wait_alu 0xfffe
	s_add_nc_u64 s[12:13], s[8:9], s[12:13]
	s_load_b32 s0, s[12:13], 0x0
	s_mov_b32 s13, exec_lo
	s_wait_kmcnt 0x0
	s_sub_co_i32 s12, s0, s23
	s_wait_alu 0xfffe
	v_cmpx_gt_i32_e64 s12, v0
	s_cbranch_execz .LBB65_61
; %bb.47:
	s_add_co_i32 s24, s19, -2
	s_add_co_i32 s22, s19, -1
	s_wait_alu 0xfffe
	s_cmp_lg_u32 s18, s24
	s_mov_b32 s26, 0
	s_cselect_b32 s24, -1, 0
	s_sub_co_i32 s25, s0, s20
	s_mov_b32 s27, 0
	s_branch .LBB65_50
.LBB65_48:                              ;   in Loop: Header=BB65_50 Depth=1
	s_wait_alu 0xfffe
	s_or_b32 exec_lo, exec_lo, s0
.LBB65_49:                              ;   in Loop: Header=BB65_50 Depth=1
	s_delay_alu instid0(SALU_CYCLE_1) | instskip(SKIP_2) | instid1(VALU_DEP_1)
	s_or_b32 exec_lo, exec_lo, s28
	v_ashrrev_i32_e32 v4, 31, v3
	s_addk_co_i32 s27, 0x100
	v_lshlrev_b64_e32 v[3:4], 1, v[3:4]
	s_delay_alu instid0(VALU_DEP_1) | instskip(SKIP_1) | instid1(VALU_DEP_2)
	v_add_co_u32 v3, vcc_lo, s14, v3
	s_wait_alu 0xfffd
	v_add_co_ci_u32_e64 v4, null, s15, v4, vcc_lo
	global_load_u16 v3, v[3:4], off
	s_wait_loadcnt 0x0
	v_cvt_f32_f16_e32 v3, v3
	s_wait_dscnt 0x0
	s_wait_alu 0xfffe
	s_delay_alu instid0(VALU_DEP_1) | instskip(NEXT) | instid1(VALU_DEP_1)
	v_dual_mul_f32 v3, v5, v3 :: v_dual_add_nc_u32 v4, s27, v0
	v_cmp_le_i32_e32 vcc_lo, s12, v4
	ds_store_b32 v2, v3
	s_or_b32 s26, vcc_lo, s26
	s_wait_alu 0xfffe
	s_and_not1_b32 exec_lo, exec_lo, s26
	s_cbranch_execz .LBB65_61
.LBB65_50:                              ; =>This Loop Header: Depth=1
                                        ;     Child Loop BB65_52 Depth 2
	s_wait_alu 0xfffe
	v_add_nc_u32_e32 v2, s27, v1
	v_mov_b32_e32 v6, s18
	v_mov_b32_e32 v4, s22
	s_and_not1_b32 vcc_lo, exec_lo, s24
	s_wait_alu 0xfffe
	s_cbranch_vccnz .LBB65_54
; %bb.51:                               ;   in Loop: Header=BB65_50 Depth=1
	v_mov_b32_e32 v6, s18
	v_mov_b32_e32 v4, s22
	s_mov_b32 s28, 0
.LBB65_52:                              ;   Parent Loop BB65_50 Depth=1
                                        ; =>  This Inner Loop Header: Depth=2
	s_delay_alu instid0(VALU_DEP_1) | instskip(NEXT) | instid1(VALU_DEP_1)
	v_add_nc_u32_e32 v3, v4, v6
	v_lshrrev_b32_e32 v5, 31, v3
	s_delay_alu instid0(VALU_DEP_1) | instskip(NEXT) | instid1(VALU_DEP_1)
	v_add_nc_u32_e32 v3, v3, v5
	v_ashrrev_i32_e32 v9, 1, v3
	s_delay_alu instid0(VALU_DEP_1) | instskip(NEXT) | instid1(VALU_DEP_1)
	v_ashrrev_i32_e32 v10, 31, v9
	v_lshlrev_b64_e32 v[10:11], 2, v[9:10]
	s_delay_alu instid0(VALU_DEP_1) | instskip(SKIP_1) | instid1(VALU_DEP_2)
	v_add_co_u32 v10, vcc_lo, s8, v10
	s_wait_alu 0xfffd
	v_add_co_ci_u32_e64 v11, null, s9, v11, vcc_lo
	global_load_b32 v3, v[10:11], off
	s_wait_loadcnt 0x0
	v_subrev_nc_u32_e32 v3, s20, v3
	s_delay_alu instid0(VALU_DEP_1) | instskip(SKIP_2) | instid1(VALU_DEP_1)
	v_cmp_lt_i32_e32 vcc_lo, v2, v3
	s_wait_alu 0xfffd
	v_cndmask_b32_e32 v4, v4, v9, vcc_lo
	v_dual_cndmask_b32 v6, v9, v6 :: v_dual_add_nc_u32 v3, -1, v4
	s_delay_alu instid0(VALU_DEP_1) | instskip(NEXT) | instid1(VALU_DEP_2)
	v_cmp_ge_i32_e32 vcc_lo, v6, v4
	v_cmp_eq_u32_e64 s0, v6, v3
	s_or_b32 s0, vcc_lo, s0
	s_wait_alu 0xfffe
	s_and_b32 s0, exec_lo, s0
	s_wait_alu 0xfffe
	s_or_b32 s28, s0, s28
	s_delay_alu instid0(SALU_CYCLE_1)
	s_and_not1_b32 exec_lo, exec_lo, s28
	s_cbranch_execnz .LBB65_52
; %bb.53:                               ;   in Loop: Header=BB65_50 Depth=1
	s_or_b32 exec_lo, exec_lo, s28
.LBB65_54:                              ;   in Loop: Header=BB65_50 Depth=1
	s_delay_alu instid0(VALU_DEP_1) | instskip(SKIP_2) | instid1(VALU_DEP_3)
	v_ashrrev_i32_e32 v5, 31, v4
	v_ashrrev_i32_e32 v3, 31, v2
	v_cmp_le_i32_e64 s0, s25, v2
	v_lshlrev_b64_e32 v[9:10], 2, v[4:5]
	s_delay_alu instid0(VALU_DEP_3) | instskip(NEXT) | instid1(VALU_DEP_2)
	v_lshlrev_b64_e32 v[11:12], 2, v[2:3]
	v_add_co_u32 v9, vcc_lo, s8, v9
	s_wait_alu 0xfffd
	s_delay_alu instid0(VALU_DEP_3) | instskip(NEXT) | instid1(VALU_DEP_3)
	v_add_co_ci_u32_e64 v10, null, s9, v10, vcc_lo
	v_add_co_u32 v11, vcc_lo, s10, v11
	s_wait_alu 0xfffd
	v_add_co_ci_u32_e64 v12, null, s11, v12, vcc_lo
	global_load_b32 v3, v[9:10], off
	global_load_b32 v5, v[11:12], off
	s_wait_loadcnt 0x1
	v_subrev_nc_u32_e32 v9, s20, v3
	s_wait_loadcnt 0x0
	v_subrev_nc_u32_e32 v3, s20, v5
                                        ; implicit-def: $vgpr5
	s_delay_alu instid0(VALU_DEP_2) | instskip(SKIP_3) | instid1(VALU_DEP_1)
	v_cmp_lt_i32_e32 vcc_lo, v2, v9
	v_lshl_add_u32 v2, s27, 2, v7
	s_wait_alu 0xfffd
	v_cndmask_b32_e32 v4, v4, v6, vcc_lo
	v_cmp_eq_u32_e32 vcc_lo, v3, v4
	s_or_b32 s0, vcc_lo, s0
	s_wait_alu 0xfffe
	s_and_saveexec_b32 s28, s0
	s_delay_alu instid0(SALU_CYCLE_1)
	s_xor_b32 s0, exec_lo, s28
; %bb.55:                               ;   in Loop: Header=BB65_50 Depth=1
	ds_load_b32 v5, v2
                                        ; implicit-def: $vgpr4
; %bb.56:                               ;   in Loop: Header=BB65_50 Depth=1
	s_wait_alu 0xfffe
	s_and_not1_saveexec_b32 s28, s0
	s_cbranch_execz .LBB65_49
; %bb.57:                               ;   in Loop: Header=BB65_50 Depth=1
	s_wait_dscnt 0x0
	v_ashrrev_i32_e32 v5, 31, v4
	v_cmp_le_i32_e64 s0, s19, v3
	s_delay_alu instid0(VALU_DEP_2) | instskip(NEXT) | instid1(VALU_DEP_1)
	v_lshlrev_b64_e32 v[4:5], 1, v[4:5]
	v_add_co_u32 v4, vcc_lo, s14, v4
	s_wait_alu 0xfffd
	s_delay_alu instid0(VALU_DEP_2)
	v_add_co_ci_u32_e64 v5, null, s15, v5, vcc_lo
	v_cmp_gt_i32_e32 vcc_lo, s5, v3
	global_load_u16 v4, v[4:5], off
	ds_load_b32 v5, v2
	s_or_b32 s0, vcc_lo, s0
	s_wait_loadcnt 0x0
	v_cvt_f32_f16_e32 v4, v4
	s_wait_dscnt 0x0
	s_delay_alu instid0(VALU_DEP_1) | instskip(SKIP_2) | instid1(SALU_CYCLE_1)
	v_mul_f32_e32 v6, v5, v4
	s_wait_alu 0xfffe
	s_and_saveexec_b32 s29, s0
	s_xor_b32 s0, exec_lo, s29
	s_cbranch_execz .LBB65_59
; %bb.58:                               ;   in Loop: Header=BB65_50 Depth=1
	v_ashrrev_i32_e32 v4, 31, v3
	s_delay_alu instid0(VALU_DEP_1) | instskip(NEXT) | instid1(VALU_DEP_1)
	v_lshlrev_b64_e32 v[9:10], 2, v[3:4]
	v_add_co_u32 v9, vcc_lo, s16, v9
	s_wait_alu 0xfffd
	s_delay_alu instid0(VALU_DEP_2)
	v_add_co_ci_u32_e64 v10, null, s17, v10, vcc_lo
	global_atomic_add_f32 v[9:10], v6, off scope:SCOPE_DEV
                                        ; implicit-def: $vgpr6
.LBB65_59:                              ;   in Loop: Header=BB65_50 Depth=1
	s_wait_alu 0xfffe
	s_and_not1_saveexec_b32 s0, s0
	s_cbranch_execz .LBB65_48
; %bb.60:                               ;   in Loop: Header=BB65_50 Depth=1
	v_subrev_nc_u32_e32 v4, s5, v3
	s_delay_alu instid0(VALU_DEP_1)
	v_lshl_add_u32 v4, v4, 2, 0x1000
	ds_add_f32 v4, v6
	s_branch .LBB65_48
.LBB65_61:
	s_or_b32 exec_lo, exec_lo, s13
                                        ; implicit-def: $vgpr9
                                        ; implicit-def: $vgpr1
.LBB65_62:
	s_wait_alu 0xfffe
	s_and_not1_saveexec_b32 s6, s6
	s_cbranch_execz .LBB65_116
; %bb.63:
	s_add_co_i32 s12, s19, -1
	s_add_co_i32 s0, s19, -2
	v_mov_b32_e32 v6, s18
	s_wait_alu 0xfffe
	v_mov_b32_e32 v4, s12
	s_cmp_lg_u32 s18, s0
	s_cselect_b32 s13, -1, 0
	s_cmp_eq_u32 s18, s0
	s_cbranch_scc1 .LBB65_67
; %bb.64:
	v_mov_b32_e32 v6, s18
	v_mov_b32_e32 v4, s12
	s_mov_b32 s22, 0
.LBB65_65:                              ; =>This Inner Loop Header: Depth=1
	s_delay_alu instid0(VALU_DEP_1) | instskip(NEXT) | instid1(VALU_DEP_1)
	v_add_nc_u32_e32 v3, v4, v6
	v_lshrrev_b32_e32 v5, 31, v3
	s_delay_alu instid0(VALU_DEP_1) | instskip(NEXT) | instid1(VALU_DEP_1)
	v_add_nc_u32_e32 v3, v3, v5
	v_ashrrev_i32_e32 v10, 1, v3
	s_delay_alu instid0(VALU_DEP_1) | instskip(NEXT) | instid1(VALU_DEP_1)
	v_ashrrev_i32_e32 v11, 31, v10
	v_lshlrev_b64_e32 v[11:12], 2, v[10:11]
	s_delay_alu instid0(VALU_DEP_1) | instskip(SKIP_1) | instid1(VALU_DEP_2)
	v_add_co_u32 v11, vcc_lo, s8, v11
	s_wait_alu 0xfffd
	v_add_co_ci_u32_e64 v12, null, s9, v12, vcc_lo
	global_load_b32 v3, v[11:12], off
	s_wait_loadcnt 0x0
	v_subrev_nc_u32_e32 v3, s20, v3
	s_delay_alu instid0(VALU_DEP_1) | instskip(SKIP_2) | instid1(VALU_DEP_1)
	v_cmp_lt_i32_e32 vcc_lo, v1, v3
	s_wait_alu 0xfffd
	v_cndmask_b32_e32 v4, v4, v10, vcc_lo
	v_dual_cndmask_b32 v6, v10, v6 :: v_dual_add_nc_u32 v3, -1, v4
	s_delay_alu instid0(VALU_DEP_1) | instskip(NEXT) | instid1(VALU_DEP_2)
	v_cmp_ge_i32_e32 vcc_lo, v6, v4
	v_cmp_eq_u32_e64 s0, v6, v3
	s_or_b32 s0, vcc_lo, s0
	s_wait_alu 0xfffe
	s_and_b32 s0, exec_lo, s0
	s_wait_alu 0xfffe
	s_or_b32 s22, s0, s22
	s_wait_alu 0xfffe
	s_and_not1_b32 exec_lo, exec_lo, s22
	s_cbranch_execnz .LBB65_65
; %bb.66:
	s_or_b32 exec_lo, exec_lo, s22
.LBB65_67:
	v_ashrrev_i32_e32 v5, 31, v4
	v_lshlrev_b64_e32 v[2:3], 2, v[1:2]
	s_mov_b32 s0, exec_lo
	s_delay_alu instid0(VALU_DEP_2) | instskip(NEXT) | instid1(VALU_DEP_1)
	v_lshlrev_b64_e32 v[10:11], 2, v[4:5]
	v_add_co_u32 v10, vcc_lo, s8, v10
	s_wait_alu 0xfffd
	s_delay_alu instid0(VALU_DEP_2)
	v_add_co_ci_u32_e64 v11, null, s9, v11, vcc_lo
	v_add_co_u32 v2, vcc_lo, s10, v2
	s_wait_alu 0xfffd
	v_add_co_ci_u32_e64 v3, null, s11, v3, vcc_lo
	global_load_b32 v5, v[10:11], off
	s_ashr_i32 s11, s19, 31
	s_mov_b32 s10, s19
	global_load_b32 v10, v[2:3], off
	s_wait_alu 0xfffe
	s_lshl_b64 s[10:11], s[10:11], 2
                                        ; implicit-def: $vgpr11
	s_wait_alu 0xfffe
	s_add_nc_u64 s[10:11], s[8:9], s[10:11]
	s_wait_loadcnt 0x1
	v_subrev_nc_u32_e32 v5, s20, v5
	s_delay_alu instid0(VALU_DEP_1) | instskip(SKIP_4) | instid1(VALU_DEP_1)
	v_cmp_lt_i32_e32 vcc_lo, v1, v5
	s_wait_alu 0xfffd
	v_cndmask_b32_e32 v5, v4, v6, vcc_lo
	s_wait_loadcnt 0x0
	v_subrev_nc_u32_e32 v4, s20, v10
	v_cmpx_ne_u32_e64 v4, v5
	s_xor_b32 s22, exec_lo, s0
	s_cbranch_execz .LBB65_74
; %bb.68:
	s_load_b32 s0, s[10:11], 0x0
	ds_load_b32 v11, v7
	s_mov_b32 s24, exec_lo
	s_wait_kmcnt 0x0
	s_sub_co_i32 s0, s0, s20
	s_wait_alu 0xfffe
	v_cmpx_gt_i32_e64 s0, v1
	s_cbranch_execz .LBB65_73
; %bb.69:
	v_ashrrev_i32_e32 v6, 31, v5
	v_cmp_le_i32_e64 s0, s19, v4
	s_delay_alu instid0(VALU_DEP_2) | instskip(NEXT) | instid1(VALU_DEP_1)
	v_lshlrev_b64_e32 v[5:6], 1, v[5:6]
	v_add_co_u32 v5, vcc_lo, s14, v5
	s_wait_alu 0xfffd
	s_delay_alu instid0(VALU_DEP_2)
	v_add_co_ci_u32_e64 v6, null, s15, v6, vcc_lo
	v_cmp_gt_i32_e32 vcc_lo, s5, v4
	global_load_u16 v5, v[5:6], off
	s_or_b32 s0, vcc_lo, s0
	s_wait_loadcnt 0x0
	v_cvt_f32_f16_e32 v5, v5
	s_wait_dscnt 0x0
	s_delay_alu instid0(VALU_DEP_1)
	v_mul_f32_e32 v6, v11, v5
	s_wait_alu 0xfffe
	s_and_saveexec_b32 s25, s0
	s_wait_alu 0xfffe
	s_xor_b32 s0, exec_lo, s25
	s_cbranch_execz .LBB65_71
; %bb.70:
	v_ashrrev_i32_e32 v5, 31, v4
	s_delay_alu instid0(VALU_DEP_1) | instskip(NEXT) | instid1(VALU_DEP_1)
	v_lshlrev_b64_e32 v[12:13], 2, v[4:5]
	v_add_co_u32 v12, vcc_lo, s16, v12
	s_wait_alu 0xfffd
	s_delay_alu instid0(VALU_DEP_2)
	v_add_co_ci_u32_e64 v13, null, s17, v13, vcc_lo
	global_atomic_add_f32 v[12:13], v6, off scope:SCOPE_DEV
                                        ; implicit-def: $vgpr6
.LBB65_71:
	s_wait_alu 0xfffe
	s_and_not1_saveexec_b32 s0, s0
; %bb.72:
	v_subrev_nc_u32_e32 v5, s5, v4
	s_delay_alu instid0(VALU_DEP_1)
	v_lshl_add_u32 v5, v5, 2, 0x1000
	ds_add_f32 v5, v6
.LBB65_73:
	s_or_b32 exec_lo, exec_lo, s24
.LBB65_74:
	s_wait_alu 0xfffe
	s_and_not1_saveexec_b32 s0, s22
	s_cbranch_execz .LBB65_76
; %bb.75:
	s_wait_dscnt 0x0
	ds_load_b32 v11, v7
.LBB65_76:
	s_wait_alu 0xfffe
	s_or_b32 exec_lo, exec_lo, s0
	v_ashrrev_i32_e32 v5, 31, v4
	v_cndmask_b32_e64 v10, 0, 1, s13
	s_delay_alu instid0(VALU_DEP_2) | instskip(NEXT) | instid1(VALU_DEP_1)
	v_lshlrev_b64_e32 v[4:5], 1, v[4:5]
	v_add_co_u32 v4, vcc_lo, s14, v4
	s_wait_alu 0xfffd
	s_delay_alu instid0(VALU_DEP_2)
	v_add_co_ci_u32_e64 v5, null, s15, v5, vcc_lo
	s_and_not1_b32 vcc_lo, exec_lo, s13
	global_load_u16 v4, v[4:5], off
	s_wait_loadcnt 0x0
	v_cvt_f32_f16_e32 v4, v4
	s_wait_dscnt 0x0
	s_delay_alu instid0(VALU_DEP_1)
	v_dual_mul_f32 v5, v11, v4 :: v_dual_add_nc_u32 v6, 0x100, v1
	v_dual_mov_b32 v11, s18 :: v_dual_mov_b32 v4, s12
	ds_store_b32 v7, v5
	s_wait_alu 0xfffe
	s_cbranch_vccnz .LBB65_80
; %bb.77:
	v_dual_mov_b32 v11, s18 :: v_dual_mov_b32 v4, s12
	s_mov_b32 s13, 0
.LBB65_78:                              ; =>This Inner Loop Header: Depth=1
	s_delay_alu instid0(VALU_DEP_1) | instskip(NEXT) | instid1(VALU_DEP_1)
	v_add_nc_u32_e32 v5, v4, v11
	v_lshrrev_b32_e32 v12, 31, v5
	s_delay_alu instid0(VALU_DEP_1) | instskip(NEXT) | instid1(VALU_DEP_1)
	v_add_nc_u32_e32 v5, v5, v12
	v_ashrrev_i32_e32 v12, 1, v5
	s_delay_alu instid0(VALU_DEP_1) | instskip(NEXT) | instid1(VALU_DEP_1)
	v_ashrrev_i32_e32 v13, 31, v12
	v_lshlrev_b64_e32 v[13:14], 2, v[12:13]
	s_delay_alu instid0(VALU_DEP_1) | instskip(SKIP_1) | instid1(VALU_DEP_2)
	v_add_co_u32 v13, vcc_lo, s8, v13
	s_wait_alu 0xfffd
	v_add_co_ci_u32_e64 v14, null, s9, v14, vcc_lo
	global_load_b32 v5, v[13:14], off
	s_wait_loadcnt 0x0
	v_subrev_nc_u32_e32 v5, s20, v5
	s_delay_alu instid0(VALU_DEP_1) | instskip(SKIP_3) | instid1(VALU_DEP_2)
	v_cmp_lt_i32_e32 vcc_lo, v6, v5
	s_wait_alu 0xfffd
	v_cndmask_b32_e32 v4, v4, v12, vcc_lo
	v_cndmask_b32_e32 v11, v12, v11, vcc_lo
	v_add_nc_u32_e32 v5, -1, v4
	s_delay_alu instid0(VALU_DEP_2) | instskip(NEXT) | instid1(VALU_DEP_2)
	v_cmp_ge_i32_e32 vcc_lo, v11, v4
	v_cmp_eq_u32_e64 s0, v11, v5
	s_or_b32 s0, vcc_lo, s0
	s_wait_alu 0xfffe
	s_and_b32 s0, exec_lo, s0
	s_wait_alu 0xfffe
	s_or_b32 s13, s0, s13
	s_wait_alu 0xfffe
	s_and_not1_b32 exec_lo, exec_lo, s13
	s_cbranch_execnz .LBB65_78
; %bb.79:
	s_or_b32 exec_lo, exec_lo, s13
.LBB65_80:
	v_ashrrev_i32_e32 v5, 31, v4
	s_mov_b32 s0, exec_lo
	s_delay_alu instid0(VALU_DEP_1) | instskip(NEXT) | instid1(VALU_DEP_1)
	v_lshlrev_b64_e32 v[12:13], 2, v[4:5]
	v_add_co_u32 v12, vcc_lo, s8, v12
	s_wait_alu 0xfffd
	s_delay_alu instid0(VALU_DEP_2) | instskip(SKIP_4) | instid1(VALU_DEP_1)
	v_add_co_ci_u32_e64 v13, null, s9, v13, vcc_lo
	global_load_b32 v5, v[12:13], off
	global_load_b32 v12, v[2:3], off offset:1024
	s_wait_loadcnt 0x1
	v_subrev_nc_u32_e32 v5, s20, v5
	v_cmp_lt_i32_e32 vcc_lo, v6, v5
	s_wait_alu 0xfffd
	v_cndmask_b32_e32 v5, v4, v11, vcc_lo
	s_wait_loadcnt 0x0
	v_subrev_nc_u32_e32 v4, s20, v12
                                        ; implicit-def: $vgpr11
	s_delay_alu instid0(VALU_DEP_1)
	v_cmpx_ne_u32_e64 v4, v5
	s_wait_alu 0xfffe
	s_xor_b32 s13, exec_lo, s0
	s_cbranch_execz .LBB65_87
; %bb.81:
	s_load_b32 s0, s[10:11], 0x0
	ds_load_b32 v11, v7 offset:1024
	s_mov_b32 s22, exec_lo
	s_wait_kmcnt 0x0
	s_sub_co_i32 s0, s0, s20
	s_wait_alu 0xfffe
	v_cmpx_gt_i32_e64 s0, v6
	s_cbranch_execz .LBB65_86
; %bb.82:
	v_ashrrev_i32_e32 v6, 31, v5
	v_cmp_le_i32_e64 s0, s19, v4
	s_delay_alu instid0(VALU_DEP_2) | instskip(NEXT) | instid1(VALU_DEP_1)
	v_lshlrev_b64_e32 v[5:6], 1, v[5:6]
	v_add_co_u32 v5, vcc_lo, s14, v5
	s_wait_alu 0xfffd
	s_delay_alu instid0(VALU_DEP_2)
	v_add_co_ci_u32_e64 v6, null, s15, v6, vcc_lo
	v_cmp_gt_i32_e32 vcc_lo, s5, v4
	global_load_u16 v5, v[5:6], off
	s_or_b32 s0, vcc_lo, s0
	s_wait_loadcnt 0x0
	v_cvt_f32_f16_e32 v5, v5
	s_wait_dscnt 0x0
	s_delay_alu instid0(VALU_DEP_1)
	v_mul_f32_e32 v6, v11, v5
	s_wait_alu 0xfffe
	s_and_saveexec_b32 s24, s0
	s_wait_alu 0xfffe
	s_xor_b32 s0, exec_lo, s24
	s_cbranch_execz .LBB65_84
; %bb.83:
	v_ashrrev_i32_e32 v5, 31, v4
	s_delay_alu instid0(VALU_DEP_1) | instskip(NEXT) | instid1(VALU_DEP_1)
	v_lshlrev_b64_e32 v[12:13], 2, v[4:5]
	v_add_co_u32 v12, vcc_lo, s16, v12
	s_wait_alu 0xfffd
	s_delay_alu instid0(VALU_DEP_2)
	v_add_co_ci_u32_e64 v13, null, s17, v13, vcc_lo
	global_atomic_add_f32 v[12:13], v6, off scope:SCOPE_DEV
                                        ; implicit-def: $vgpr6
.LBB65_84:
	s_wait_alu 0xfffe
	s_and_not1_saveexec_b32 s0, s0
; %bb.85:
	v_subrev_nc_u32_e32 v5, s5, v4
	s_delay_alu instid0(VALU_DEP_1)
	v_lshl_add_u32 v5, v5, 2, 0x1000
	ds_add_f32 v5, v6
.LBB65_86:
	s_or_b32 exec_lo, exec_lo, s22
.LBB65_87:
	s_wait_alu 0xfffe
	s_and_not1_saveexec_b32 s0, s13
	s_cbranch_execz .LBB65_89
; %bb.88:
	s_wait_dscnt 0x0
	ds_load_b32 v11, v7 offset:1024
.LBB65_89:
	s_wait_alu 0xfffe
	s_or_b32 exec_lo, exec_lo, s0
	v_ashrrev_i32_e32 v5, 31, v4
	v_dual_mov_b32 v6, s18 :: v_dual_add_nc_u32 v1, 0x200, v1
	s_delay_alu instid0(VALU_DEP_2) | instskip(NEXT) | instid1(VALU_DEP_1)
	v_lshlrev_b64_e32 v[4:5], 1, v[4:5]
	v_add_co_u32 v4, vcc_lo, s14, v4
	s_wait_alu 0xfffd
	s_delay_alu instid0(VALU_DEP_2)
	v_add_co_ci_u32_e64 v5, null, s15, v5, vcc_lo
	v_cmp_ne_u32_e32 vcc_lo, 1, v10
	global_load_u16 v4, v[4:5], off
	s_and_b32 vcc_lo, exec_lo, vcc_lo
	s_wait_loadcnt 0x0
	v_cvt_f32_f16_e32 v4, v4
	s_wait_dscnt 0x0
	s_delay_alu instid0(VALU_DEP_1)
	v_dual_mul_f32 v5, v11, v4 :: v_dual_mov_b32 v4, s12
	ds_store_b32 v7, v5 offset:1024
	s_wait_alu 0xfffe
	s_cbranch_vccnz .LBB65_93
; %bb.90:
	v_mov_b32_e32 v6, s18
	v_mov_b32_e32 v4, s12
	s_mov_b32 s13, 0
.LBB65_91:                              ; =>This Inner Loop Header: Depth=1
	s_delay_alu instid0(VALU_DEP_1) | instskip(NEXT) | instid1(VALU_DEP_1)
	v_add_nc_u32_e32 v5, v4, v6
	v_lshrrev_b32_e32 v11, 31, v5
	s_delay_alu instid0(VALU_DEP_1) | instskip(NEXT) | instid1(VALU_DEP_1)
	v_add_nc_u32_e32 v5, v5, v11
	v_ashrrev_i32_e32 v11, 1, v5
	s_delay_alu instid0(VALU_DEP_1) | instskip(NEXT) | instid1(VALU_DEP_1)
	v_ashrrev_i32_e32 v12, 31, v11
	v_lshlrev_b64_e32 v[12:13], 2, v[11:12]
	s_delay_alu instid0(VALU_DEP_1) | instskip(SKIP_1) | instid1(VALU_DEP_2)
	v_add_co_u32 v12, vcc_lo, s8, v12
	s_wait_alu 0xfffd
	v_add_co_ci_u32_e64 v13, null, s9, v13, vcc_lo
	global_load_b32 v5, v[12:13], off
	s_wait_loadcnt 0x0
	v_subrev_nc_u32_e32 v5, s20, v5
	s_delay_alu instid0(VALU_DEP_1) | instskip(SKIP_2) | instid1(VALU_DEP_1)
	v_cmp_lt_i32_e32 vcc_lo, v1, v5
	s_wait_alu 0xfffd
	v_cndmask_b32_e32 v4, v4, v11, vcc_lo
	v_dual_cndmask_b32 v6, v11, v6 :: v_dual_add_nc_u32 v5, -1, v4
	s_delay_alu instid0(VALU_DEP_1) | instskip(NEXT) | instid1(VALU_DEP_2)
	v_cmp_ge_i32_e32 vcc_lo, v6, v4
	v_cmp_eq_u32_e64 s0, v6, v5
	s_or_b32 s0, vcc_lo, s0
	s_wait_alu 0xfffe
	s_and_b32 s0, exec_lo, s0
	s_wait_alu 0xfffe
	s_or_b32 s13, s0, s13
	s_wait_alu 0xfffe
	s_and_not1_b32 exec_lo, exec_lo, s13
	s_cbranch_execnz .LBB65_91
; %bb.92:
	s_or_b32 exec_lo, exec_lo, s13
.LBB65_93:
	v_ashrrev_i32_e32 v5, 31, v4
	s_mov_b32 s0, exec_lo
	s_delay_alu instid0(VALU_DEP_1) | instskip(NEXT) | instid1(VALU_DEP_1)
	v_lshlrev_b64_e32 v[11:12], 2, v[4:5]
	v_add_co_u32 v11, vcc_lo, s8, v11
	s_wait_alu 0xfffd
	s_delay_alu instid0(VALU_DEP_2) | instskip(SKIP_4) | instid1(VALU_DEP_1)
	v_add_co_ci_u32_e64 v12, null, s9, v12, vcc_lo
	global_load_b32 v5, v[11:12], off
	global_load_b32 v11, v[2:3], off offset:2048
	s_wait_loadcnt 0x1
	v_subrev_nc_u32_e32 v5, s20, v5
	v_cmp_lt_i32_e32 vcc_lo, v1, v5
	s_wait_alu 0xfffd
	v_cndmask_b32_e32 v5, v4, v6, vcc_lo
	s_wait_loadcnt 0x0
	v_subrev_nc_u32_e32 v4, s20, v11
                                        ; implicit-def: $vgpr11
	s_delay_alu instid0(VALU_DEP_1)
	v_cmpx_ne_u32_e64 v4, v5
	s_wait_alu 0xfffe
	s_xor_b32 s13, exec_lo, s0
	s_cbranch_execz .LBB65_100
; %bb.94:
	s_load_b32 s0, s[10:11], 0x0
	ds_load_b32 v11, v7 offset:2048
	s_mov_b32 s22, exec_lo
	s_wait_kmcnt 0x0
	s_sub_co_i32 s0, s0, s20
	s_wait_alu 0xfffe
	v_cmpx_gt_i32_e64 s0, v1
	s_cbranch_execz .LBB65_99
; %bb.95:
	v_ashrrev_i32_e32 v6, 31, v5
	v_cmp_le_i32_e64 s0, s19, v4
	s_delay_alu instid0(VALU_DEP_2) | instskip(NEXT) | instid1(VALU_DEP_1)
	v_lshlrev_b64_e32 v[5:6], 1, v[5:6]
	v_add_co_u32 v5, vcc_lo, s14, v5
	s_wait_alu 0xfffd
	s_delay_alu instid0(VALU_DEP_2)
	v_add_co_ci_u32_e64 v6, null, s15, v6, vcc_lo
	v_cmp_gt_i32_e32 vcc_lo, s5, v4
	global_load_u16 v1, v[5:6], off
	s_or_b32 s0, vcc_lo, s0
	s_wait_loadcnt 0x0
	v_cvt_f32_f16_e32 v1, v1
	s_wait_dscnt 0x0
	s_delay_alu instid0(VALU_DEP_1)
	v_mul_f32_e32 v1, v11, v1
	s_wait_alu 0xfffe
	s_and_saveexec_b32 s24, s0
	s_wait_alu 0xfffe
	s_xor_b32 s0, exec_lo, s24
	s_cbranch_execz .LBB65_97
; %bb.96:
	v_ashrrev_i32_e32 v5, 31, v4
	s_delay_alu instid0(VALU_DEP_1) | instskip(NEXT) | instid1(VALU_DEP_1)
	v_lshlrev_b64_e32 v[5:6], 2, v[4:5]
	v_add_co_u32 v5, vcc_lo, s16, v5
	s_wait_alu 0xfffd
	s_delay_alu instid0(VALU_DEP_2)
	v_add_co_ci_u32_e64 v6, null, s17, v6, vcc_lo
	global_atomic_add_f32 v[5:6], v1, off scope:SCOPE_DEV
                                        ; implicit-def: $vgpr1
.LBB65_97:
	s_wait_alu 0xfffe
	s_and_not1_saveexec_b32 s0, s0
; %bb.98:
	v_subrev_nc_u32_e32 v5, s5, v4
	s_delay_alu instid0(VALU_DEP_1)
	v_lshl_add_u32 v5, v5, 2, 0x1000
	ds_add_f32 v5, v1
.LBB65_99:
	s_or_b32 exec_lo, exec_lo, s22
.LBB65_100:
	s_wait_alu 0xfffe
	s_and_not1_saveexec_b32 s0, s13
	s_cbranch_execz .LBB65_102
; %bb.101:
	s_wait_dscnt 0x0
	ds_load_b32 v11, v7 offset:2048
.LBB65_102:
	s_wait_alu 0xfffe
	s_or_b32 exec_lo, exec_lo, s0
	v_ashrrev_i32_e32 v5, 31, v4
	s_delay_alu instid0(VALU_DEP_1) | instskip(NEXT) | instid1(VALU_DEP_1)
	v_lshlrev_b64_e32 v[4:5], 1, v[4:5]
	v_add_co_u32 v4, vcc_lo, s14, v4
	s_wait_alu 0xfffd
	s_delay_alu instid0(VALU_DEP_2)
	v_add_co_ci_u32_e64 v5, null, s15, v5, vcc_lo
	v_cmp_ne_u32_e32 vcc_lo, 1, v10
	global_load_u16 v1, v[4:5], off
	v_mov_b32_e32 v4, s12
	s_and_b32 vcc_lo, exec_lo, vcc_lo
	s_wait_loadcnt 0x0
	v_cvt_f32_f16_e32 v1, v1
	s_wait_dscnt 0x0
	s_delay_alu instid0(VALU_DEP_1)
	v_mul_f32_e32 v5, v11, v1
	v_mov_b32_e32 v1, s18
	ds_store_b32 v7, v5 offset:2048
	s_wait_alu 0xfffe
	s_cbranch_vccnz .LBB65_106
; %bb.103:
	v_dual_mov_b32 v1, s18 :: v_dual_mov_b32 v4, s12
	s_mov_b32 s12, 0
.LBB65_104:                             ; =>This Inner Loop Header: Depth=1
	s_delay_alu instid0(VALU_DEP_1) | instskip(NEXT) | instid1(VALU_DEP_1)
	v_add_nc_u32_e32 v5, v4, v1
	v_lshrrev_b32_e32 v6, 31, v5
	s_delay_alu instid0(VALU_DEP_1) | instskip(NEXT) | instid1(VALU_DEP_1)
	v_add_nc_u32_e32 v5, v5, v6
	v_ashrrev_i32_e32 v5, 1, v5
	s_delay_alu instid0(VALU_DEP_1) | instskip(NEXT) | instid1(VALU_DEP_1)
	v_ashrrev_i32_e32 v6, 31, v5
	v_lshlrev_b64_e32 v[10:11], 2, v[5:6]
	s_delay_alu instid0(VALU_DEP_1) | instskip(SKIP_1) | instid1(VALU_DEP_2)
	v_add_co_u32 v10, vcc_lo, s8, v10
	s_wait_alu 0xfffd
	v_add_co_ci_u32_e64 v11, null, s9, v11, vcc_lo
	global_load_b32 v6, v[10:11], off
	s_wait_loadcnt 0x0
	v_subrev_nc_u32_e32 v6, s20, v6
	s_delay_alu instid0(VALU_DEP_1) | instskip(SKIP_3) | instid1(VALU_DEP_2)
	v_cmp_lt_i32_e32 vcc_lo, v9, v6
	s_wait_alu 0xfffd
	v_cndmask_b32_e32 v4, v4, v5, vcc_lo
	v_cndmask_b32_e32 v1, v5, v1, vcc_lo
	v_add_nc_u32_e32 v5, -1, v4
	s_delay_alu instid0(VALU_DEP_2) | instskip(NEXT) | instid1(VALU_DEP_2)
	v_cmp_ge_i32_e32 vcc_lo, v1, v4
	v_cmp_eq_u32_e64 s0, v1, v5
	s_or_b32 s0, vcc_lo, s0
	s_wait_alu 0xfffe
	s_and_b32 s0, exec_lo, s0
	s_wait_alu 0xfffe
	s_or_b32 s12, s0, s12
	s_wait_alu 0xfffe
	s_and_not1_b32 exec_lo, exec_lo, s12
	s_cbranch_execnz .LBB65_104
; %bb.105:
	s_or_b32 exec_lo, exec_lo, s12
.LBB65_106:
	v_ashrrev_i32_e32 v5, 31, v4
	s_mov_b32 s0, exec_lo
	s_delay_alu instid0(VALU_DEP_1) | instskip(NEXT) | instid1(VALU_DEP_1)
	v_lshlrev_b64_e32 v[5:6], 2, v[4:5]
	v_add_co_u32 v5, vcc_lo, s8, v5
	s_wait_alu 0xfffd
	s_delay_alu instid0(VALU_DEP_2) | instskip(SKIP_4) | instid1(VALU_DEP_1)
	v_add_co_ci_u32_e64 v6, null, s9, v6, vcc_lo
	global_load_b32 v5, v[5:6], off
	global_load_b32 v3, v[2:3], off offset:3072
	s_wait_loadcnt 0x1
	v_subrev_nc_u32_e32 v2, s20, v5
	v_cmp_lt_i32_e32 vcc_lo, v9, v2
	s_wait_alu 0xfffd
	v_cndmask_b32_e32 v2, v4, v1, vcc_lo
	s_wait_loadcnt 0x0
	v_subrev_nc_u32_e32 v1, s20, v3
                                        ; implicit-def: $vgpr4
	s_delay_alu instid0(VALU_DEP_1)
	v_cmpx_ne_u32_e64 v1, v2
	s_wait_alu 0xfffe
	s_xor_b32 s12, exec_lo, s0
	s_cbranch_execz .LBB65_113
; %bb.107:
	s_load_b32 s0, s[10:11], 0x0
	ds_load_b32 v4, v7 offset:3072
	s_mov_b32 s10, exec_lo
	s_wait_kmcnt 0x0
	s_sub_co_i32 s0, s0, s20
	s_wait_alu 0xfffe
	v_cmpx_gt_i32_e64 s0, v9
	s_cbranch_execz .LBB65_112
; %bb.108:
	v_ashrrev_i32_e32 v3, 31, v2
	v_cmp_le_i32_e64 s0, s19, v1
	s_delay_alu instid0(VALU_DEP_2) | instskip(NEXT) | instid1(VALU_DEP_1)
	v_lshlrev_b64_e32 v[2:3], 1, v[2:3]
	v_add_co_u32 v2, vcc_lo, s14, v2
	s_wait_alu 0xfffd
	s_delay_alu instid0(VALU_DEP_2)
	v_add_co_ci_u32_e64 v3, null, s15, v3, vcc_lo
	v_cmp_gt_i32_e32 vcc_lo, s5, v1
	global_load_u16 v2, v[2:3], off
	s_or_b32 s0, vcc_lo, s0
	s_wait_loadcnt 0x0
	v_cvt_f32_f16_e32 v2, v2
	s_wait_dscnt 0x0
	s_delay_alu instid0(VALU_DEP_1)
	v_mul_f32_e32 v3, v4, v2
	s_wait_alu 0xfffe
	s_and_saveexec_b32 s11, s0
	s_wait_alu 0xfffe
	s_xor_b32 s0, exec_lo, s11
	s_cbranch_execz .LBB65_110
; %bb.109:
	v_ashrrev_i32_e32 v2, 31, v1
	s_delay_alu instid0(VALU_DEP_1) | instskip(NEXT) | instid1(VALU_DEP_1)
	v_lshlrev_b64_e32 v[5:6], 2, v[1:2]
	v_add_co_u32 v5, vcc_lo, s16, v5
	s_wait_alu 0xfffd
	s_delay_alu instid0(VALU_DEP_2)
	v_add_co_ci_u32_e64 v6, null, s17, v6, vcc_lo
	global_atomic_add_f32 v[5:6], v3, off scope:SCOPE_DEV
                                        ; implicit-def: $vgpr3
.LBB65_110:
	s_wait_alu 0xfffe
	s_and_not1_saveexec_b32 s0, s0
; %bb.111:
	v_subrev_nc_u32_e32 v2, s5, v1
	s_delay_alu instid0(VALU_DEP_1)
	v_lshl_add_u32 v2, v2, 2, 0x1000
	ds_add_f32 v2, v3
.LBB65_112:
	s_or_b32 exec_lo, exec_lo, s10
.LBB65_113:
	s_wait_alu 0xfffe
	s_and_not1_saveexec_b32 s0, s12
	s_cbranch_execz .LBB65_115
; %bb.114:
	s_wait_dscnt 0x0
	ds_load_b32 v4, v7 offset:3072
.LBB65_115:
	s_wait_alu 0xfffe
	s_or_b32 exec_lo, exec_lo, s0
	v_ashrrev_i32_e32 v2, 31, v1
	s_delay_alu instid0(VALU_DEP_1) | instskip(NEXT) | instid1(VALU_DEP_1)
	v_lshlrev_b64_e32 v[1:2], 1, v[1:2]
	v_add_co_u32 v1, vcc_lo, s14, v1
	s_wait_alu 0xfffd
	s_delay_alu instid0(VALU_DEP_2) | instskip(SKIP_4) | instid1(VALU_DEP_1)
	v_add_co_ci_u32_e64 v2, null, s15, v2, vcc_lo
	global_load_u16 v1, v[1:2], off
	s_wait_loadcnt 0x0
	v_cvt_f32_f16_e32 v1, v1
	s_wait_dscnt 0x0
	v_mul_f32_e32 v1, v4, v1
	ds_store_b32 v7, v1 offset:3072
.LBB65_116:
	s_wait_alu 0xfffe
	s_or_b32 exec_lo, exec_lo, s6
	s_min_i32 s6, s19, s7
	s_mov_b32 s7, exec_lo
	s_wait_alu 0xfffe
	s_sub_co_i32 s0, s6, s21
	s_wait_storecnt 0x0
	s_wait_loadcnt_dscnt 0x0
	s_barrier_signal -1
	s_barrier_wait -1
	global_inv scope:SCOPE_SE
	s_wait_alu 0xfffe
	v_cmpx_gt_i32_e64 s0, v0
	s_cbranch_execz .LBB65_119
; %bb.117:
	v_mov_b32_e32 v1, v0
	s_mov_b32 s10, 0
.LBB65_118:                             ; =>This Inner Loop Header: Depth=1
	s_delay_alu instid0(VALU_DEP_1) | instskip(SKIP_4) | instid1(VALU_DEP_1)
	v_add_nc_u32_e32 v2, s5, v1
	ds_load_b32 v4, v8
	v_add_nc_u32_e32 v1, 0x100, v1
	v_add_nc_u32_e32 v8, 0x400, v8
	v_ashrrev_i32_e32 v3, 31, v2
	v_lshlrev_b64_e32 v[2:3], 2, v[2:3]
	s_delay_alu instid0(VALU_DEP_1) | instskip(SKIP_1) | instid1(VALU_DEP_2)
	v_add_co_u32 v2, vcc_lo, s16, v2
	s_wait_alu 0xfffd
	v_add_co_ci_u32_e64 v3, null, s17, v3, vcc_lo
	v_cmp_le_i32_e32 vcc_lo, s0, v1
	s_wait_dscnt 0x0
	global_atomic_add_f32 v[2:3], v4, off scope:SCOPE_DEV
	s_wait_alu 0xfffe
	s_or_b32 s10, vcc_lo, s10
	s_wait_alu 0xfffe
	s_and_not1_b32 exec_lo, exec_lo, s10
	s_cbranch_execnz .LBB65_118
.LBB65_119:
	s_or_b32 exec_lo, exec_lo, s7
	s_mul_i32 s5, s1, s21
	s_add_co_i32 s7, s1, 1
	s_wait_alu 0xfffe
	s_sub_co_i32 s5, s4, s5
	v_add_nc_u32_e32 v1, s18, v0
	s_wait_alu 0xfffe
	s_sub_co_i32 s10, s5, s21
	s_cmp_ge_u32 s5, s21
	s_wait_loadcnt 0x0
	s_wait_storecnt 0x0
	s_cselect_b32 s1, s7, s1
	s_wait_alu 0xfffe
	s_cselect_b32 s5, s10, s5
	s_add_co_i32 s7, s1, 1
	s_wait_alu 0xfffe
	s_cmp_ge_u32 s5, s21
	s_barrier_signal -1
	s_cselect_b32 s1, s7, s1
	s_barrier_wait -1
	s_wait_alu 0xfffe
	s_add_co_i32 s1, s1, -1
	global_inv scope:SCOPE_SE
	s_wait_alu 0xfffe
	s_ashr_i32 s5, s1, 1
	s_wait_alu 0xfffe
	s_or_b32 s1, s5, s1
	s_wait_alu 0xfffe
	s_ashr_i32 s5, s1, 2
	s_wait_alu 0xfffe
	s_or_b32 s1, s5, s1
	;; [unrolled: 4-line block ×5, first 2 shown]
	s_mov_b32 s5, -1
	s_wait_alu 0xfffe
	s_add_co_i32 s1, s1, 1
	s_wait_alu 0xfffe
	s_ashr_i32 s1, s1, 1
	s_wait_alu 0xfffe
	s_cmp_gt_i32 s1, 1
	s_cbranch_scc1 .LBB65_128
; %bb.120:
	s_mov_b32 s5, exec_lo
	v_cmpx_gt_i32_e64 s19, v1
	s_cbranch_execz .LBB65_127
; %bb.121:
	s_sub_co_i32 s6, s6, s19
	v_mov_b32_e32 v2, v1
	s_lshl_b32 s10, s23, 2
	s_wait_alu 0xfffe
	s_lshl_b32 s6, s6, 2
	s_mov_b32 s7, 0
	s_wait_alu 0xfffe
	s_addk_co_i32 s6, 0x1000
	s_sub_co_i32 s10, 0, s10
	s_branch .LBB65_123
.LBB65_122:                             ;   in Loop: Header=BB65_123 Depth=1
	s_wait_alu 0xfffe
	s_or_b32 exec_lo, exec_lo, s11
	v_lshl_add_u32 v5, v2, 2, s6
	v_add_co_u32 v3, vcc_lo, s16, v3
	s_wait_alu 0xfffd
	v_add_co_ci_u32_e64 v4, null, s17, v4, vcc_lo
	ds_load_b32 v5, v5
	v_add_nc_u32_e32 v2, s4, v2
	s_delay_alu instid0(VALU_DEP_1)
	v_cmp_le_i32_e32 vcc_lo, s19, v2
	s_or_b32 s7, vcc_lo, s7
	s_wait_dscnt 0x0
	v_add_f32_e32 v5, v8, v5
	global_atomic_add_f32 v[3:4], v5, off scope:SCOPE_DEV
	s_wait_alu 0xfffe
	s_and_not1_b32 exec_lo, exec_lo, s7
	s_cbranch_execz .LBB65_127
.LBB65_123:                             ; =>This Loop Header: Depth=1
                                        ;     Child Loop BB65_125 Depth 2
	v_ashrrev_i32_e32 v3, 31, v2
	v_mov_b32_e32 v8, 0
	s_mov_b32 s11, exec_lo
	s_delay_alu instid0(VALU_DEP_2) | instskip(NEXT) | instid1(VALU_DEP_1)
	v_lshlrev_b64_e32 v[3:4], 2, v[2:3]
	v_add_co_u32 v5, vcc_lo, s8, v3
	s_wait_alu 0xfffd
	s_delay_alu instid0(VALU_DEP_2)
	v_add_co_ci_u32_e64 v6, null, s9, v4, vcc_lo
	global_load_b64 v[5:6], v[5:6], off
	s_wait_loadcnt 0x0
	v_cmpx_lt_i32_e64 v5, v6
	s_cbranch_execz .LBB65_122
; %bb.124:                              ;   in Loop: Header=BB65_123 Depth=1
	v_subrev_nc_u32_e32 v6, s23, v6
	v_subrev_nc_u32_e32 v9, s23, v5
	s_wait_alu 0xfffe
	v_lshl_add_u32 v5, v5, 2, s10
	v_mov_b32_e32 v8, 0
	s_mov_b32 s12, 0
.LBB65_125:                             ;   Parent Loop BB65_123 Depth=1
                                        ; =>  This Inner Loop Header: Depth=2
	ds_load_b32 v10, v5
	v_add_nc_u32_e32 v9, 1, v9
	s_wait_dscnt 0x0
	v_dual_add_f32 v8, v8, v10 :: v_dual_add_nc_u32 v5, 4, v5
	s_delay_alu instid0(VALU_DEP_2)
	v_cmp_ge_i32_e32 vcc_lo, v9, v6
	s_wait_alu 0xfffe
	s_or_b32 s12, vcc_lo, s12
	s_wait_alu 0xfffe
	s_and_not1_b32 exec_lo, exec_lo, s12
	s_cbranch_execnz .LBB65_125
; %bb.126:                              ;   in Loop: Header=BB65_123 Depth=1
	s_or_b32 exec_lo, exec_lo, s12
	s_branch .LBB65_122
.LBB65_127:
	s_wait_alu 0xfffe
	s_or_b32 exec_lo, exec_lo, s5
	s_mov_b32 s5, 0
.LBB65_128:
	s_wait_alu 0xfffe
	s_and_not1_b32 vcc_lo, exec_lo, s5
	s_wait_alu 0xfffe
	s_cbranch_vccnz .LBB65_141
; %bb.129:
	s_cvt_f32_u32 s4, s1
	s_sub_co_i32 s5, 0, s1
	s_wait_alu 0xfffe
	s_delay_alu instid0(SALU_CYCLE_1) | instskip(NEXT) | instid1(TRANS32_DEP_1)
	v_rcp_iflag_f32_e32 v2, s4
	v_readfirstlane_b32 s4, v2
	s_mul_f32 s4, s4, 0x4f7ffffe
	s_wait_alu 0xfffe
	s_delay_alu instid0(SALU_CYCLE_2) | instskip(SKIP_1) | instid1(SALU_CYCLE_2)
	s_cvt_u32_f32 s4, s4
	s_wait_alu 0xfffe
	s_mul_i32 s5, s5, s4
	s_wait_alu 0xfffe
	s_mul_hi_u32 s5, s4, s5
	s_wait_alu 0xfffe
	s_add_co_i32 s4, s4, s5
	s_wait_alu 0xfffe
	v_mul_hi_u32 v2, v0, s4
	s_delay_alu instid0(VALU_DEP_1) | instskip(NEXT) | instid1(VALU_DEP_1)
	v_mul_lo_u32 v3, v2, s1
	v_sub_nc_u32_e32 v3, v0, v3
	s_delay_alu instid0(VALU_DEP_1) | instskip(SKIP_2) | instid1(VALU_DEP_2)
	v_subrev_nc_u32_e32 v5, s1, v3
	v_cmp_le_u32_e32 vcc_lo, s1, v3
	s_wait_alu 0xfffd
	v_dual_cndmask_b32 v3, v3, v5 :: v_dual_add_nc_u32 v4, 1, v2
	s_delay_alu instid0(VALU_DEP_1) | instskip(NEXT) | instid1(VALU_DEP_2)
	v_cndmask_b32_e32 v2, v2, v4, vcc_lo
	v_cmp_le_u32_e32 vcc_lo, s1, v3
	s_delay_alu instid0(VALU_DEP_2) | instskip(SKIP_1) | instid1(VALU_DEP_1)
	v_add_nc_u32_e32 v4, 1, v2
	s_wait_alu 0xfffd
	v_cndmask_b32_e32 v4, v2, v4, vcc_lo
	s_delay_alu instid0(VALU_DEP_1)
	v_lshlrev_b32_e32 v2, 2, v4
	global_load_b64 v[2:3], v2, s[2:3]
	s_abs_i32 s3, s1
	s_wait_alu 0xfffe
	s_cvt_f32_u32 s2, s3
	s_wait_alu 0xfffe
	s_delay_alu instid0(SALU_CYCLE_2) | instskip(SKIP_1) | instid1(TRANS32_DEP_1)
	v_rcp_iflag_f32_e32 v5, s2
	s_mov_b32 s2, exec_lo
	v_readfirstlane_b32 s4, v5
	v_mov_b32_e32 v5, 0
	v_cmpx_gt_i32_e64 s21, v4
	s_cbranch_execz .LBB65_137
; %bb.130:
	s_wait_loadcnt 0x0
	v_subrev_nc_u32_e32 v2, s23, v2
	v_subrev_nc_u32_e32 v4, s23, v3
	s_mul_f32 s4, s4, 0x4f7ffffe
	s_sub_co_i32 s5, 0, s3
	s_wait_alu 0xfffe
	s_delay_alu instid0(SALU_CYCLE_1) | instskip(SKIP_2) | instid1(SALU_CYCLE_1)
	s_cvt_u32_f32 s4, s4
	v_sub_nc_u32_e32 v3, v4, v2
	s_wait_alu 0xfffe
	s_mul_i32 s5, s5, s4
	s_delay_alu instid0(VALU_DEP_1)
	v_sub_nc_u32_e32 v5, 0, v3
	s_wait_alu 0xfffe
	s_mul_hi_u32 s5, s4, s5
	s_wait_alu 0xfffe
	s_add_co_i32 s4, s4, s5
	v_max_i32_e32 v8, v3, v5
	v_ashrrev_i32_e32 v3, 31, v3
	s_wait_alu 0xfffe
	s_delay_alu instid0(VALU_DEP_2) | instskip(SKIP_4) | instid1(VALU_DEP_1)
	v_mad_co_u64_u32 v[5:6], null, v8, s4, 0
	s_ashr_i32 s4, s1, 31
	s_wait_alu 0xfffe
	v_xor_b32_e32 v3, s4, v3
	v_mul_lo_u32 v5, v6, s3
	v_sub_nc_u32_e32 v5, v8, v5
	s_delay_alu instid0(VALU_DEP_1) | instskip(SKIP_2) | instid1(VALU_DEP_2)
	v_subrev_nc_u32_e32 v9, s3, v5
	v_cmp_le_u32_e32 vcc_lo, s3, v5
	s_wait_alu 0xfffd
	v_dual_cndmask_b32 v5, v5, v9 :: v_dual_add_nc_u32 v8, 1, v6
	s_delay_alu instid0(VALU_DEP_1) | instskip(NEXT) | instid1(VALU_DEP_2)
	v_cndmask_b32_e32 v6, v6, v8, vcc_lo
	v_cmp_le_u32_e32 vcc_lo, s3, v5
	s_delay_alu instid0(VALU_DEP_2) | instskip(SKIP_2) | instid1(VALU_DEP_1)
	v_add_nc_u32_e32 v8, 1, v6
	s_add_co_i32 s3, s1, -1
	s_wait_alu 0xfffd
	v_cndmask_b32_e32 v5, v6, v8, vcc_lo
	s_wait_alu 0xfffe
	v_and_b32_e32 v8, s3, v0
	s_mov_b32 s3, exec_lo
	s_delay_alu instid0(VALU_DEP_2) | instskip(NEXT) | instid1(VALU_DEP_2)
	v_xor_b32_e32 v5, v5, v3
	v_lshlrev_b32_e32 v6, 2, v8
	s_delay_alu instid0(VALU_DEP_2) | instskip(SKIP_1) | instid1(VALU_DEP_2)
	v_sub_nc_u32_e32 v3, v5, v3
	v_mov_b32_e32 v5, 0
	v_cmpx_lt_i32_e32 0, v3
	s_cbranch_execz .LBB65_134
; %bb.131:
	v_lshl_add_u32 v9, v2, 2, v6
	v_dual_mov_b32 v5, 0 :: v_dual_mov_b32 v10, v3
	s_lshl_b32 s5, s1, 2
	s_mov_b32 s4, 0
.LBB65_132:                             ; =>This Inner Loop Header: Depth=1
	ds_load_b32 v11, v9
	v_add_nc_u32_e32 v10, -1, v10
	s_wait_alu 0xfffe
	v_add_nc_u32_e32 v9, s5, v9
	s_wait_dscnt 0x0
	v_add_f32_e32 v5, v5, v11
	v_cmp_eq_u32_e32 vcc_lo, 0, v10
	s_or_b32 s4, vcc_lo, s4
	s_wait_alu 0xfffe
	s_and_not1_b32 exec_lo, exec_lo, s4
	s_cbranch_execnz .LBB65_132
; %bb.133:
	s_or_b32 exec_lo, exec_lo, s4
.LBB65_134:
	s_wait_alu 0xfffe
	s_or_b32 exec_lo, exec_lo, s3
	v_mad_co_u64_u32 v[2:3], null, v3, s1, v[2:3]
	s_mov_b32 s3, exec_lo
	v_sub_nc_u32_e32 v3, v4, v2
	s_delay_alu instid0(VALU_DEP_1)
	v_cmpx_lt_i32_e64 v8, v3
	s_cbranch_execz .LBB65_136
; %bb.135:
	v_lshl_add_u32 v2, v2, 2, v6
	ds_load_b32 v2, v2
	s_wait_dscnt 0x0
	v_add_f32_e32 v5, v5, v2
.LBB65_136:
	s_wait_alu 0xfffe
	s_or_b32 exec_lo, exec_lo, s3
.LBB65_137:
	s_wait_alu 0xfffe
	s_or_b32 exec_lo, exec_lo, s2
	s_wait_loadcnt 0x0
	s_wait_storecnt 0x0
	s_barrier_signal -1
	s_barrier_wait -1
	global_inv scope:SCOPE_SE
	ds_store_b32 v7, v5
	s_wait_loadcnt_dscnt 0x0
	s_barrier_signal -1
	s_barrier_wait -1
	global_inv scope:SCOPE_SE
	s_mov_b32 s2, exec_lo
	v_cmpx_gt_i32_e64 s21, v0
	s_cbranch_execz .LBB65_141
; %bb.138:
	v_mul_lo_u32 v2, s1, v0
	s_delay_alu instid0(VALU_DEP_1)
	v_dual_mov_b32 v3, 0 :: v_dual_lshlrev_b32 v2, 2, v2
.LBB65_139:                             ; =>This Inner Loop Header: Depth=1
	ds_load_b32 v4, v2
	v_add_nc_u32_e32 v2, 4, v2
	s_add_co_i32 s1, s1, -1
	s_wait_alu 0xfffe
	s_cmp_eq_u32 s1, 0
	s_wait_dscnt 0x0
	v_add_f32_e32 v3, v3, v4
	s_cbranch_scc0 .LBB65_139
; %bb.140:
	v_lshlrev_b32_e32 v0, 2, v0
	s_lshl_b32 s0, s0, 2
	v_ashrrev_i32_e32 v2, 31, v1
	s_wait_alu 0xfffe
	s_delay_alu instid0(VALU_DEP_2) | instskip(SKIP_2) | instid1(VALU_DEP_1)
	v_add3_u32 v0, 0x1000, s0, v0
	ds_load_b32 v4, v0
	v_lshlrev_b64_e32 v[0:1], 2, v[1:2]
	v_add_co_u32 v0, vcc_lo, s16, v0
	s_wait_alu 0xfffd
	s_delay_alu instid0(VALU_DEP_2)
	v_add_co_ci_u32_e64 v1, null, s17, v1, vcc_lo
	s_wait_dscnt 0x0
	v_add_f32_e32 v2, v3, v4
	global_atomic_add_f32 v[0:1], v2, off scope:SCOPE_DEV
.LBB65_141:
	s_endpgm
	.section	.rodata,"a",@progbits
	.p2align	6, 0x0
	.amdhsa_kernel _ZN9rocsparseL27csrmvn_symm_adaptive_kernelIiiDF16_DF16_ffEEvbT_S1_PKS1_NS_24const_host_device_scalarIT4_EES3_PKT0_PKT1_PKT2_S6_PT3_21rocsparse_index_base_b
		.amdhsa_group_segment_fixed_size 4096
		.amdhsa_private_segment_fixed_size 0
		.amdhsa_kernarg_size 344
		.amdhsa_user_sgpr_count 2
		.amdhsa_user_sgpr_dispatch_ptr 0
		.amdhsa_user_sgpr_queue_ptr 0
		.amdhsa_user_sgpr_kernarg_segment_ptr 1
		.amdhsa_user_sgpr_dispatch_id 0
		.amdhsa_user_sgpr_private_segment_size 0
		.amdhsa_wavefront_size32 1
		.amdhsa_uses_dynamic_stack 0
		.amdhsa_enable_private_segment 0
		.amdhsa_system_sgpr_workgroup_id_x 1
		.amdhsa_system_sgpr_workgroup_id_y 0
		.amdhsa_system_sgpr_workgroup_id_z 0
		.amdhsa_system_sgpr_workgroup_info 0
		.amdhsa_system_vgpr_workitem_id 0
		.amdhsa_next_free_vgpr 15
		.amdhsa_next_free_sgpr 30
		.amdhsa_reserve_vcc 1
		.amdhsa_float_round_mode_32 0
		.amdhsa_float_round_mode_16_64 0
		.amdhsa_float_denorm_mode_32 3
		.amdhsa_float_denorm_mode_16_64 3
		.amdhsa_fp16_overflow 0
		.amdhsa_workgroup_processor_mode 1
		.amdhsa_memory_ordered 1
		.amdhsa_forward_progress 1
		.amdhsa_inst_pref_size 60
		.amdhsa_round_robin_scheduling 0
		.amdhsa_exception_fp_ieee_invalid_op 0
		.amdhsa_exception_fp_denorm_src 0
		.amdhsa_exception_fp_ieee_div_zero 0
		.amdhsa_exception_fp_ieee_overflow 0
		.amdhsa_exception_fp_ieee_underflow 0
		.amdhsa_exception_fp_ieee_inexact 0
		.amdhsa_exception_int_div_zero 0
	.end_amdhsa_kernel
	.section	.text._ZN9rocsparseL27csrmvn_symm_adaptive_kernelIiiDF16_DF16_ffEEvbT_S1_PKS1_NS_24const_host_device_scalarIT4_EES3_PKT0_PKT1_PKT2_S6_PT3_21rocsparse_index_base_b,"axG",@progbits,_ZN9rocsparseL27csrmvn_symm_adaptive_kernelIiiDF16_DF16_ffEEvbT_S1_PKS1_NS_24const_host_device_scalarIT4_EES3_PKT0_PKT1_PKT2_S6_PT3_21rocsparse_index_base_b,comdat
.Lfunc_end65:
	.size	_ZN9rocsparseL27csrmvn_symm_adaptive_kernelIiiDF16_DF16_ffEEvbT_S1_PKS1_NS_24const_host_device_scalarIT4_EES3_PKT0_PKT1_PKT2_S6_PT3_21rocsparse_index_base_b, .Lfunc_end65-_ZN9rocsparseL27csrmvn_symm_adaptive_kernelIiiDF16_DF16_ffEEvbT_S1_PKS1_NS_24const_host_device_scalarIT4_EES3_PKT0_PKT1_PKT2_S6_PT3_21rocsparse_index_base_b
                                        ; -- End function
	.set _ZN9rocsparseL27csrmvn_symm_adaptive_kernelIiiDF16_DF16_ffEEvbT_S1_PKS1_NS_24const_host_device_scalarIT4_EES3_PKT0_PKT1_PKT2_S6_PT3_21rocsparse_index_base_b.num_vgpr, 15
	.set _ZN9rocsparseL27csrmvn_symm_adaptive_kernelIiiDF16_DF16_ffEEvbT_S1_PKS1_NS_24const_host_device_scalarIT4_EES3_PKT0_PKT1_PKT2_S6_PT3_21rocsparse_index_base_b.num_agpr, 0
	.set _ZN9rocsparseL27csrmvn_symm_adaptive_kernelIiiDF16_DF16_ffEEvbT_S1_PKS1_NS_24const_host_device_scalarIT4_EES3_PKT0_PKT1_PKT2_S6_PT3_21rocsparse_index_base_b.numbered_sgpr, 30
	.set _ZN9rocsparseL27csrmvn_symm_adaptive_kernelIiiDF16_DF16_ffEEvbT_S1_PKS1_NS_24const_host_device_scalarIT4_EES3_PKT0_PKT1_PKT2_S6_PT3_21rocsparse_index_base_b.num_named_barrier, 0
	.set _ZN9rocsparseL27csrmvn_symm_adaptive_kernelIiiDF16_DF16_ffEEvbT_S1_PKS1_NS_24const_host_device_scalarIT4_EES3_PKT0_PKT1_PKT2_S6_PT3_21rocsparse_index_base_b.private_seg_size, 0
	.set _ZN9rocsparseL27csrmvn_symm_adaptive_kernelIiiDF16_DF16_ffEEvbT_S1_PKS1_NS_24const_host_device_scalarIT4_EES3_PKT0_PKT1_PKT2_S6_PT3_21rocsparse_index_base_b.uses_vcc, 1
	.set _ZN9rocsparseL27csrmvn_symm_adaptive_kernelIiiDF16_DF16_ffEEvbT_S1_PKS1_NS_24const_host_device_scalarIT4_EES3_PKT0_PKT1_PKT2_S6_PT3_21rocsparse_index_base_b.uses_flat_scratch, 0
	.set _ZN9rocsparseL27csrmvn_symm_adaptive_kernelIiiDF16_DF16_ffEEvbT_S1_PKS1_NS_24const_host_device_scalarIT4_EES3_PKT0_PKT1_PKT2_S6_PT3_21rocsparse_index_base_b.has_dyn_sized_stack, 0
	.set _ZN9rocsparseL27csrmvn_symm_adaptive_kernelIiiDF16_DF16_ffEEvbT_S1_PKS1_NS_24const_host_device_scalarIT4_EES3_PKT0_PKT1_PKT2_S6_PT3_21rocsparse_index_base_b.has_recursion, 0
	.set _ZN9rocsparseL27csrmvn_symm_adaptive_kernelIiiDF16_DF16_ffEEvbT_S1_PKS1_NS_24const_host_device_scalarIT4_EES3_PKT0_PKT1_PKT2_S6_PT3_21rocsparse_index_base_b.has_indirect_call, 0
	.section	.AMDGPU.csdata,"",@progbits
; Kernel info:
; codeLenInByte = 7620
; TotalNumSgprs: 32
; NumVgprs: 15
; ScratchSize: 0
; MemoryBound: 0
; FloatMode: 240
; IeeeMode: 1
; LDSByteSize: 4096 bytes/workgroup (compile time only)
; SGPRBlocks: 0
; VGPRBlocks: 1
; NumSGPRsForWavesPerEU: 32
; NumVGPRsForWavesPerEU: 15
; Occupancy: 16
; WaveLimiterHint : 1
; COMPUTE_PGM_RSRC2:SCRATCH_EN: 0
; COMPUTE_PGM_RSRC2:USER_SGPR: 2
; COMPUTE_PGM_RSRC2:TRAP_HANDLER: 0
; COMPUTE_PGM_RSRC2:TGID_X_EN: 1
; COMPUTE_PGM_RSRC2:TGID_Y_EN: 0
; COMPUTE_PGM_RSRC2:TGID_Z_EN: 0
; COMPUTE_PGM_RSRC2:TIDIG_COMP_CNT: 0
	.section	.text._ZL33csrmvn_symm_large_adaptive_kernelIiiDF16_DF16_ffEvbT_PKS0_N9rocsparse24const_host_device_scalarIT4_EES2_PKT0_PKT1_PKT2_S6_PT3_21rocsparse_index_base_b,"axG",@progbits,_ZL33csrmvn_symm_large_adaptive_kernelIiiDF16_DF16_ffEvbT_PKS0_N9rocsparse24const_host_device_scalarIT4_EES2_PKT0_PKT1_PKT2_S6_PT3_21rocsparse_index_base_b,comdat
	.globl	_ZL33csrmvn_symm_large_adaptive_kernelIiiDF16_DF16_ffEvbT_PKS0_N9rocsparse24const_host_device_scalarIT4_EES2_PKT0_PKT1_PKT2_S6_PT3_21rocsparse_index_base_b ; -- Begin function _ZL33csrmvn_symm_large_adaptive_kernelIiiDF16_DF16_ffEvbT_PKS0_N9rocsparse24const_host_device_scalarIT4_EES2_PKT0_PKT1_PKT2_S6_PT3_21rocsparse_index_base_b
	.p2align	8
	.type	_ZL33csrmvn_symm_large_adaptive_kernelIiiDF16_DF16_ffEvbT_PKS0_N9rocsparse24const_host_device_scalarIT4_EES2_PKT0_PKT1_PKT2_S6_PT3_21rocsparse_index_base_b,@function
_ZL33csrmvn_symm_large_adaptive_kernelIiiDF16_DF16_ffEvbT_PKS0_N9rocsparse24const_host_device_scalarIT4_EES2_PKT0_PKT1_PKT2_S6_PT3_21rocsparse_index_base_b: ; @_ZL33csrmvn_symm_large_adaptive_kernelIiiDF16_DF16_ffEvbT_PKS0_N9rocsparse24const_host_device_scalarIT4_EES2_PKT0_PKT1_PKT2_S6_PT3_21rocsparse_index_base_b
; %bb.0:
	s_clause 0x2
	s_load_b64 s[6:7], s[0:1], 0x48
	s_load_b64 s[16:17], s[0:1], 0x10
	;; [unrolled: 1-line block ×3, first 2 shown]
	s_wait_kmcnt 0x0
	s_bitcmp1_b32 s7, 0
	s_cselect_b32 s4, -1, 0
	s_delay_alu instid0(SALU_CYCLE_1)
	s_and_b32 vcc_lo, exec_lo, s4
	s_xor_b32 s4, s4, -1
	s_cbranch_vccnz .LBB66_2
; %bb.1:
	s_load_b32 s16, s[16:17], 0x0
.LBB66_2:
	s_and_not1_b32 vcc_lo, exec_lo, s4
	s_cbranch_vccnz .LBB66_4
; %bb.3:
	s_load_b32 s2, s[2:3], 0x0
.LBB66_4:
	s_wait_kmcnt 0x0
	s_cmp_neq_f32 s16, 0
	s_cselect_b32 s3, -1, 0
	s_cmp_neq_f32 s2, 1.0
	s_cselect_b32 s2, -1, 0
	s_delay_alu instid0(SALU_CYCLE_1) | instskip(NEXT) | instid1(SALU_CYCLE_1)
	s_or_b32 s2, s3, s2
	s_and_not1_b32 vcc_lo, exec_lo, s2
	s_cbranch_vccnz .LBB66_32
; %bb.5:
	s_load_b64 s[4:5], s[0:1], 0x8
	s_mov_b32 s2, ttmp9
	s_ashr_i32 s3, ttmp9, 31
	v_dual_mov_b32 v6, 0 :: v_dual_lshlrev_b32 v5, 2, v0
	s_lshl_b64 s[2:3], s[2:3], 2
	ds_store_2addr_stride64_b32 v5, v6, v6 offset1:4
	ds_store_2addr_stride64_b32 v5, v6, v6 offset0:8 offset1:12
	s_wait_dscnt 0x0
	s_barrier_signal -1
	s_barrier_wait -1
	global_inv scope:SCOPE_SE
	v_subrev_nc_u32_e32 v7, s6, v0
	s_wait_kmcnt 0x0
	s_add_nc_u64 s[2:3], s[4:5], s[2:3]
	s_load_b64 s[18:19], s[2:3], 0x0
	s_clause 0x1
	s_load_b256 s[8:15], s[0:1], 0x18
	s_load_b64 s[20:21], s[0:1], 0x40
	s_wait_kmcnt 0x0
	s_cmp_ge_i32 s18, s19
	s_cbranch_scc1 .LBB66_23
; %bb.6:
	v_cmp_gt_u32_e64 s0, 16, v0
	v_cmp_gt_u32_e64 s1, 4, v0
	v_cmp_eq_u32_e64 s2, 0, v0
	s_mov_b32 s22, s18
	v_cmp_gt_u32_e32 vcc_lo, 64, v0
	s_branch .LBB66_8
.LBB66_7:                               ;   in Loop: Header=BB66_8 Depth=1
	s_wait_alu 0xfffe
	s_or_b32 exec_lo, exec_lo, s4
	s_add_co_i32 s22, s22, 1
	s_delay_alu instid0(SALU_CYCLE_1)
	s_cmp_ge_i32 s22, s19
	s_cbranch_scc1 .LBB66_23
.LBB66_8:                               ; =>This Loop Header: Depth=1
                                        ;     Child Loop BB66_10 Depth 2
	s_ashr_i32 s23, s22, 31
	v_mov_b32_e32 v8, 0
	s_lshl_b64 s[24:25], s[22:23], 2
	s_delay_alu instid0(SALU_CYCLE_1)
	s_add_nc_u64 s[4:5], s[8:9], s[24:25]
	s_load_b64 s[4:5], s[4:5], 0x0
	s_wait_kmcnt 0x0
	v_add_nc_u32_e32 v0, s4, v7
	s_sub_co_i32 s7, s5, s6
	s_mov_b32 s5, exec_lo
	s_wait_alu 0xfffe
	s_delay_alu instid0(VALU_DEP_1)
	v_cmpx_gt_i32_e64 s7, v0
	s_cbranch_execz .LBB66_12
; %bb.9:                                ;   in Loop: Header=BB66_8 Depth=1
	v_ashrrev_i32_e32 v1, 31, v0
	s_mov_b32 s17, 0
	s_delay_alu instid0(VALU_DEP_1) | instskip(SKIP_1) | instid1(VALU_DEP_2)
	v_lshlrev_b64_e32 v[2:3], 2, v[0:1]
	v_lshlrev_b64_e32 v[8:9], 1, v[0:1]
	v_add_co_u32 v1, s3, s10, v2
	s_wait_alu 0xf1ff
	s_delay_alu instid0(VALU_DEP_3) | instskip(NEXT) | instid1(VALU_DEP_3)
	v_add_co_ci_u32_e64 v2, null, s11, v3, s3
	v_add_co_u32 v3, s3, s12, v8
	s_wait_alu 0xf1ff
	v_add_co_ci_u32_e64 v4, null, s13, v9, s3
	v_mov_b32_e32 v8, 0
.LBB66_10:                              ;   Parent Loop BB66_8 Depth=1
                                        ; =>  This Inner Loop Header: Depth=2
	global_load_b32 v9, v[1:2], off
	v_add_nc_u32_e32 v0, 0x100, v0
	s_delay_alu instid0(VALU_DEP_1) | instskip(SKIP_4) | instid1(VALU_DEP_1)
	v_cmp_le_i32_e64 s4, s7, v0
	s_wait_alu 0xfffe
	s_or_b32 s17, s4, s17
	s_wait_loadcnt 0x0
	v_subrev_nc_u32_e32 v9, s6, v9
	v_ashrrev_i32_e32 v10, 31, v9
	s_delay_alu instid0(VALU_DEP_1) | instskip(NEXT) | instid1(VALU_DEP_1)
	v_lshlrev_b64_e32 v[9:10], 1, v[9:10]
	v_add_co_u32 v9, s3, s14, v9
	s_wait_alu 0xf1ff
	s_delay_alu instid0(VALU_DEP_2)
	v_add_co_ci_u32_e64 v10, null, s15, v10, s3
	v_add_co_u32 v1, s3, 0x400, v1
	global_load_u16 v11, v[3:4], off
	global_load_u16 v9, v[9:10], off
	s_wait_alu 0xf1ff
	v_add_co_ci_u32_e64 v2, null, 0, v2, s3
	v_add_co_u32 v3, s3, 0x200, v3
	s_wait_alu 0xf1ff
	v_add_co_ci_u32_e64 v4, null, 0, v4, s3
	s_wait_loadcnt 0x0
	v_fma_mix_f32 v8, v11, v9, v8 op_sel_hi:[1,1,0]
	s_wait_alu 0xfffe
	s_and_not1_b32 exec_lo, exec_lo, s17
	s_cbranch_execnz .LBB66_10
; %bb.11:                               ;   in Loop: Header=BB66_8 Depth=1
	s_or_b32 exec_lo, exec_lo, s17
.LBB66_12:                              ;   in Loop: Header=BB66_8 Depth=1
	s_delay_alu instid0(SALU_CYCLE_1)
	s_or_b32 exec_lo, exec_lo, s5
	ds_store_b32 v5, v8
	s_wait_loadcnt_dscnt 0x0
	s_barrier_signal -1
	s_barrier_wait -1
	global_inv scope:SCOPE_SE
	ds_load_2addr_stride64_b32 v[0:1], v5 offset1:4
	ds_load_2addr_stride64_b32 v[2:3], v5 offset0:8 offset1:12
	s_wait_dscnt 0x0
	v_add_f32_e32 v1, v1, v2
	s_delay_alu instid0(VALU_DEP_1) | instskip(NEXT) | instid1(VALU_DEP_1)
	v_add_f32_e32 v1, v1, v3
	v_add_f32_e32 v0, v0, v1
	ds_store_b32 v5, v0
	s_wait_loadcnt_dscnt 0x0
	s_barrier_signal -1
	s_barrier_wait -1
	global_inv scope:SCOPE_SE
	s_and_saveexec_b32 s3, vcc_lo
	s_cbranch_execz .LBB66_14
; %bb.13:                               ;   in Loop: Header=BB66_8 Depth=1
	ds_load_2addr_stride64_b32 v[0:1], v5 offset1:1
	ds_load_2addr_stride64_b32 v[2:3], v5 offset0:2 offset1:3
	s_wait_dscnt 0x0
	v_add_f32_e32 v1, v1, v2
	s_delay_alu instid0(VALU_DEP_1) | instskip(NEXT) | instid1(VALU_DEP_1)
	v_add_f32_e32 v1, v1, v3
	v_add_f32_e32 v0, v0, v1
	ds_store_b32 v5, v0
.LBB66_14:                              ;   in Loop: Header=BB66_8 Depth=1
	s_wait_alu 0xfffe
	s_or_b32 exec_lo, exec_lo, s3
	s_wait_loadcnt_dscnt 0x0
	s_barrier_signal -1
	s_barrier_wait -1
	global_inv scope:SCOPE_SE
	s_and_saveexec_b32 s3, s0
	s_cbranch_execz .LBB66_16
; %bb.15:                               ;   in Loop: Header=BB66_8 Depth=1
	ds_load_2addr_b32 v[0:1], v5 offset1:16
	ds_load_2addr_b32 v[2:3], v5 offset0:32 offset1:48
	s_wait_dscnt 0x0
	v_add_f32_e32 v1, v1, v2
	s_delay_alu instid0(VALU_DEP_1) | instskip(NEXT) | instid1(VALU_DEP_1)
	v_add_f32_e32 v1, v1, v3
	v_add_f32_e32 v0, v0, v1
	ds_store_b32 v5, v0
.LBB66_16:                              ;   in Loop: Header=BB66_8 Depth=1
	s_wait_alu 0xfffe
	s_or_b32 exec_lo, exec_lo, s3
	s_wait_loadcnt_dscnt 0x0
	s_barrier_signal -1
	s_barrier_wait -1
	global_inv scope:SCOPE_SE
	s_and_saveexec_b32 s3, s1
	s_cbranch_execz .LBB66_18
; %bb.17:                               ;   in Loop: Header=BB66_8 Depth=1
	ds_load_2addr_b32 v[0:1], v5 offset1:4
	ds_load_2addr_b32 v[2:3], v5 offset0:8 offset1:12
	s_wait_dscnt 0x0
	v_add_f32_e32 v1, v1, v2
	s_delay_alu instid0(VALU_DEP_1) | instskip(NEXT) | instid1(VALU_DEP_1)
	v_add_f32_e32 v1, v1, v3
	v_add_f32_e32 v0, v0, v1
	ds_store_b32 v5, v0
.LBB66_18:                              ;   in Loop: Header=BB66_8 Depth=1
	s_wait_alu 0xfffe
	s_or_b32 exec_lo, exec_lo, s3
	s_wait_loadcnt_dscnt 0x0
	s_barrier_signal -1
	s_barrier_wait -1
	global_inv scope:SCOPE_SE
	s_and_saveexec_b32 s3, s2
	s_cbranch_execz .LBB66_20
; %bb.19:                               ;   in Loop: Header=BB66_8 Depth=1
	ds_load_2addr_b32 v[0:1], v6 offset0:1 offset1:2
	ds_load_b32 v2, v6 offset:12
	ds_load_b32 v3, v5
	s_wait_dscnt 0x2
	v_add_f32_e32 v0, v0, v1
	s_wait_dscnt 0x1
	s_delay_alu instid0(VALU_DEP_1) | instskip(SKIP_1) | instid1(VALU_DEP_1)
	v_add_f32_e32 v0, v0, v2
	s_wait_dscnt 0x0
	v_add_f32_e32 v0, v3, v0
	ds_store_b32 v5, v0
.LBB66_20:                              ;   in Loop: Header=BB66_8 Depth=1
	s_wait_alu 0xfffe
	s_or_b32 exec_lo, exec_lo, s3
	s_wait_loadcnt_dscnt 0x0
	s_barrier_signal -1
	s_barrier_wait -1
	global_inv scope:SCOPE_SE
	s_and_saveexec_b32 s4, s2
	s_cbranch_execz .LBB66_7
; %bb.21:                               ;   in Loop: Header=BB66_8 Depth=1
	s_mov_b32 s5, exec_lo
	s_wait_alu 0xfffe
	v_mbcnt_lo_u32_b32 v0, s5, 0
	s_delay_alu instid0(VALU_DEP_1)
	v_cmp_eq_u32_e64 s3, 0, v0
	s_and_b32 s3, exec_lo, s3
	s_wait_alu 0xfffe
	s_mov_b32 exec_lo, s3
	s_cbranch_execz .LBB66_7
; %bb.22:                               ;   in Loop: Header=BB66_8 Depth=1
	ds_load_b32 v0, v6
	s_bcnt1_i32_b32 s3, s5
	s_add_nc_u64 s[24:25], s[20:21], s[24:25]
	s_wait_alu 0xfffe
	v_cvt_f32_ubyte0_e32 v1, s3
	s_wait_dscnt 0x0
	v_mul_f32_e32 v0, s16, v0
	s_delay_alu instid0(VALU_DEP_1)
	v_mul_f32_e32 v0, v0, v1
	global_atomic_add_f32 v6, v0, s[24:25] scope:SCOPE_DEV
	s_branch .LBB66_7
.LBB66_23:
	s_ashr_i32 s1, s18, 31
	s_mov_b32 s0, s18
	s_ashr_i32 s3, s19, 31
	s_lshl_b64 s[0:1], s[0:1], 2
	s_mov_b32 s2, s19
	s_add_nc_u64 s[0:1], s[8:9], s[0:1]
	s_wait_alu 0xfffe
	s_lshl_b64 s[2:3], s[2:3], 2
	s_load_b32 s4, s[0:1], 0x0
	s_add_nc_u64 s[0:1], s[8:9], s[2:3]
	s_load_b32 s0, s[0:1], 0x0
	s_wait_kmcnt 0x0
	v_add_nc_u32_e32 v0, s4, v7
	s_sub_co_i32 s1, s0, s6
	s_mov_b32 s0, exec_lo
	s_delay_alu instid0(VALU_DEP_1)
	v_cmpx_gt_i32_e64 s1, v0
	s_cbranch_execz .LBB66_32
; %bb.24:
	s_add_co_i32 s2, s19, -1
	s_mov_b32 s4, 0
	s_wait_alu 0xfffe
	s_cmp_lt_i32 s18, s2
	s_cselect_b32 s0, -1, 0
	s_add_co_i32 s3, s19, -2
	s_wait_alu 0xfffe
	s_cmp_lg_u32 s18, s3
	s_cselect_b32 s3, -1, 0
	s_wait_alu 0xfffe
	s_and_b32 s3, s0, s3
	s_branch .LBB66_26
.LBB66_25:                              ;   in Loop: Header=BB66_26 Depth=1
	s_wait_alu 0xfffe
	s_or_b32 exec_lo, exec_lo, s0
	v_add_nc_u32_e32 v0, 0x100, v0
	s_delay_alu instid0(VALU_DEP_1)
	v_cmp_le_i32_e32 vcc_lo, s1, v0
	s_or_b32 s4, vcc_lo, s4
	s_wait_alu 0xfffe
	s_and_not1_b32 exec_lo, exec_lo, s4
	s_cbranch_execz .LBB66_32
.LBB66_26:                              ; =>This Loop Header: Depth=1
                                        ;     Child Loop BB66_28 Depth 2
	v_mov_b32_e32 v4, s18
	v_mov_b32_e32 v2, s2
	s_wait_alu 0xfffe
	s_and_not1_b32 vcc_lo, exec_lo, s3
	s_wait_alu 0xfffe
	s_cbranch_vccnz .LBB66_30
; %bb.27:                               ;   in Loop: Header=BB66_26 Depth=1
	v_mov_b32_e32 v4, s18
	v_mov_b32_e32 v2, s2
	s_mov_b32 s5, 0
.LBB66_28:                              ;   Parent Loop BB66_26 Depth=1
                                        ; =>  This Inner Loop Header: Depth=2
	s_delay_alu instid0(VALU_DEP_1) | instskip(NEXT) | instid1(VALU_DEP_1)
	v_add_nc_u32_e32 v1, v2, v4
	v_lshrrev_b32_e32 v3, 31, v1
	s_delay_alu instid0(VALU_DEP_1) | instskip(NEXT) | instid1(VALU_DEP_1)
	v_add_nc_u32_e32 v1, v1, v3
	v_ashrrev_i32_e32 v5, 1, v1
	s_delay_alu instid0(VALU_DEP_1) | instskip(NEXT) | instid1(VALU_DEP_1)
	v_ashrrev_i32_e32 v6, 31, v5
	v_lshlrev_b64_e32 v[6:7], 2, v[5:6]
	s_delay_alu instid0(VALU_DEP_1) | instskip(SKIP_1) | instid1(VALU_DEP_2)
	v_add_co_u32 v6, vcc_lo, s8, v6
	s_wait_alu 0xfffd
	v_add_co_ci_u32_e64 v7, null, s9, v7, vcc_lo
	global_load_b32 v1, v[6:7], off
	s_wait_loadcnt 0x0
	v_subrev_nc_u32_e32 v1, s6, v1
	s_delay_alu instid0(VALU_DEP_1) | instskip(SKIP_2) | instid1(VALU_DEP_1)
	v_cmp_lt_i32_e32 vcc_lo, v0, v1
	s_wait_alu 0xfffd
	v_cndmask_b32_e32 v2, v2, v5, vcc_lo
	v_dual_cndmask_b32 v4, v5, v4 :: v_dual_add_nc_u32 v1, -1, v2
	s_delay_alu instid0(VALU_DEP_1) | instskip(NEXT) | instid1(VALU_DEP_2)
	v_cmp_ge_i32_e32 vcc_lo, v4, v2
	v_cmp_eq_u32_e64 s0, v4, v1
	s_or_b32 s0, vcc_lo, s0
	s_wait_alu 0xfffe
	s_and_b32 s0, exec_lo, s0
	s_wait_alu 0xfffe
	s_or_b32 s5, s0, s5
	s_wait_alu 0xfffe
	s_and_not1_b32 exec_lo, exec_lo, s5
	s_cbranch_execnz .LBB66_28
; %bb.29:                               ;   in Loop: Header=BB66_26 Depth=1
	s_or_b32 exec_lo, exec_lo, s5
.LBB66_30:                              ;   in Loop: Header=BB66_26 Depth=1
	v_ashrrev_i32_e32 v3, 31, v2
	v_ashrrev_i32_e32 v1, 31, v0
	s_mov_b32 s0, exec_lo
	s_delay_alu instid0(VALU_DEP_2) | instskip(NEXT) | instid1(VALU_DEP_2)
	v_lshlrev_b64_e32 v[5:6], 2, v[2:3]
	v_lshlrev_b64_e32 v[7:8], 2, v[0:1]
	s_delay_alu instid0(VALU_DEP_2) | instskip(SKIP_1) | instid1(VALU_DEP_3)
	v_add_co_u32 v5, vcc_lo, s8, v5
	s_wait_alu 0xfffd
	v_add_co_ci_u32_e64 v6, null, s9, v6, vcc_lo
	global_load_b32 v3, v[5:6], off
	v_add_co_u32 v5, vcc_lo, s10, v7
	s_wait_alu 0xfffd
	v_add_co_ci_u32_e64 v6, null, s11, v8, vcc_lo
	global_load_b32 v5, v[5:6], off
	s_wait_loadcnt 0x1
	v_subrev_nc_u32_e32 v3, s6, v3
	s_delay_alu instid0(VALU_DEP_1) | instskip(SKIP_4) | instid1(VALU_DEP_1)
	v_cmp_lt_i32_e32 vcc_lo, v0, v3
	s_wait_alu 0xfffd
	v_cndmask_b32_e32 v3, v2, v4, vcc_lo
	s_wait_loadcnt 0x0
	v_subrev_nc_u32_e32 v2, s6, v5
	v_cmpx_ne_u32_e64 v2, v3
	s_cbranch_execz .LBB66_25
; %bb.31:                               ;   in Loop: Header=BB66_26 Depth=1
	v_lshlrev_b64_e32 v[5:6], 1, v[0:1]
	v_ashrrev_i32_e32 v4, 31, v3
	s_delay_alu instid0(VALU_DEP_1) | instskip(NEXT) | instid1(VALU_DEP_3)
	v_lshlrev_b64_e32 v[3:4], 1, v[3:4]
	v_add_co_u32 v5, vcc_lo, s12, v5
	s_wait_alu 0xfffd
	s_delay_alu instid0(VALU_DEP_4) | instskip(NEXT) | instid1(VALU_DEP_3)
	v_add_co_ci_u32_e64 v6, null, s13, v6, vcc_lo
	v_add_co_u32 v3, vcc_lo, s14, v3
	global_load_u16 v1, v[5:6], off
	s_wait_alu 0xfffd
	v_add_co_ci_u32_e64 v4, null, s15, v4, vcc_lo
	global_load_u16 v4, v[3:4], off
	v_ashrrev_i32_e32 v3, 31, v2
	s_wait_loadcnt 0x1
	v_cvt_f32_f16_e32 v5, v1
	s_delay_alu instid0(VALU_DEP_2) | instskip(NEXT) | instid1(VALU_DEP_2)
	v_lshlrev_b64_e32 v[1:2], 2, v[2:3]
	v_mul_f32_e32 v3, s16, v5
	s_wait_loadcnt 0x0
	v_cvt_f32_f16_e32 v4, v4
	s_delay_alu instid0(VALU_DEP_3) | instskip(SKIP_2) | instid1(VALU_DEP_3)
	v_add_co_u32 v1, vcc_lo, s20, v1
	s_wait_alu 0xfffd
	v_add_co_ci_u32_e64 v2, null, s21, v2, vcc_lo
	v_mul_f32_e32 v3, v3, v4
	global_atomic_add_f32 v[1:2], v3, off scope:SCOPE_DEV
	s_branch .LBB66_25
.LBB66_32:
	s_endpgm
	.section	.rodata,"a",@progbits
	.p2align	6, 0x0
	.amdhsa_kernel _ZL33csrmvn_symm_large_adaptive_kernelIiiDF16_DF16_ffEvbT_PKS0_N9rocsparse24const_host_device_scalarIT4_EES2_PKT0_PKT1_PKT2_S6_PT3_21rocsparse_index_base_b
		.amdhsa_group_segment_fixed_size 4096
		.amdhsa_private_segment_fixed_size 0
		.amdhsa_kernarg_size 80
		.amdhsa_user_sgpr_count 2
		.amdhsa_user_sgpr_dispatch_ptr 0
		.amdhsa_user_sgpr_queue_ptr 0
		.amdhsa_user_sgpr_kernarg_segment_ptr 1
		.amdhsa_user_sgpr_dispatch_id 0
		.amdhsa_user_sgpr_private_segment_size 0
		.amdhsa_wavefront_size32 1
		.amdhsa_uses_dynamic_stack 0
		.amdhsa_enable_private_segment 0
		.amdhsa_system_sgpr_workgroup_id_x 1
		.amdhsa_system_sgpr_workgroup_id_y 0
		.amdhsa_system_sgpr_workgroup_id_z 0
		.amdhsa_system_sgpr_workgroup_info 0
		.amdhsa_system_vgpr_workitem_id 0
		.amdhsa_next_free_vgpr 12
		.amdhsa_next_free_sgpr 26
		.amdhsa_reserve_vcc 1
		.amdhsa_float_round_mode_32 0
		.amdhsa_float_round_mode_16_64 0
		.amdhsa_float_denorm_mode_32 3
		.amdhsa_float_denorm_mode_16_64 3
		.amdhsa_fp16_overflow 0
		.amdhsa_workgroup_processor_mode 1
		.amdhsa_memory_ordered 1
		.amdhsa_forward_progress 1
		.amdhsa_inst_pref_size 15
		.amdhsa_round_robin_scheduling 0
		.amdhsa_exception_fp_ieee_invalid_op 0
		.amdhsa_exception_fp_denorm_src 0
		.amdhsa_exception_fp_ieee_div_zero 0
		.amdhsa_exception_fp_ieee_overflow 0
		.amdhsa_exception_fp_ieee_underflow 0
		.amdhsa_exception_fp_ieee_inexact 0
		.amdhsa_exception_int_div_zero 0
	.end_amdhsa_kernel
	.section	.text._ZL33csrmvn_symm_large_adaptive_kernelIiiDF16_DF16_ffEvbT_PKS0_N9rocsparse24const_host_device_scalarIT4_EES2_PKT0_PKT1_PKT2_S6_PT3_21rocsparse_index_base_b,"axG",@progbits,_ZL33csrmvn_symm_large_adaptive_kernelIiiDF16_DF16_ffEvbT_PKS0_N9rocsparse24const_host_device_scalarIT4_EES2_PKT0_PKT1_PKT2_S6_PT3_21rocsparse_index_base_b,comdat
.Lfunc_end66:
	.size	_ZL33csrmvn_symm_large_adaptive_kernelIiiDF16_DF16_ffEvbT_PKS0_N9rocsparse24const_host_device_scalarIT4_EES2_PKT0_PKT1_PKT2_S6_PT3_21rocsparse_index_base_b, .Lfunc_end66-_ZL33csrmvn_symm_large_adaptive_kernelIiiDF16_DF16_ffEvbT_PKS0_N9rocsparse24const_host_device_scalarIT4_EES2_PKT0_PKT1_PKT2_S6_PT3_21rocsparse_index_base_b
                                        ; -- End function
	.set _ZL33csrmvn_symm_large_adaptive_kernelIiiDF16_DF16_ffEvbT_PKS0_N9rocsparse24const_host_device_scalarIT4_EES2_PKT0_PKT1_PKT2_S6_PT3_21rocsparse_index_base_b.num_vgpr, 12
	.set _ZL33csrmvn_symm_large_adaptive_kernelIiiDF16_DF16_ffEvbT_PKS0_N9rocsparse24const_host_device_scalarIT4_EES2_PKT0_PKT1_PKT2_S6_PT3_21rocsparse_index_base_b.num_agpr, 0
	.set _ZL33csrmvn_symm_large_adaptive_kernelIiiDF16_DF16_ffEvbT_PKS0_N9rocsparse24const_host_device_scalarIT4_EES2_PKT0_PKT1_PKT2_S6_PT3_21rocsparse_index_base_b.numbered_sgpr, 26
	.set _ZL33csrmvn_symm_large_adaptive_kernelIiiDF16_DF16_ffEvbT_PKS0_N9rocsparse24const_host_device_scalarIT4_EES2_PKT0_PKT1_PKT2_S6_PT3_21rocsparse_index_base_b.num_named_barrier, 0
	.set _ZL33csrmvn_symm_large_adaptive_kernelIiiDF16_DF16_ffEvbT_PKS0_N9rocsparse24const_host_device_scalarIT4_EES2_PKT0_PKT1_PKT2_S6_PT3_21rocsparse_index_base_b.private_seg_size, 0
	.set _ZL33csrmvn_symm_large_adaptive_kernelIiiDF16_DF16_ffEvbT_PKS0_N9rocsparse24const_host_device_scalarIT4_EES2_PKT0_PKT1_PKT2_S6_PT3_21rocsparse_index_base_b.uses_vcc, 1
	.set _ZL33csrmvn_symm_large_adaptive_kernelIiiDF16_DF16_ffEvbT_PKS0_N9rocsparse24const_host_device_scalarIT4_EES2_PKT0_PKT1_PKT2_S6_PT3_21rocsparse_index_base_b.uses_flat_scratch, 0
	.set _ZL33csrmvn_symm_large_adaptive_kernelIiiDF16_DF16_ffEvbT_PKS0_N9rocsparse24const_host_device_scalarIT4_EES2_PKT0_PKT1_PKT2_S6_PT3_21rocsparse_index_base_b.has_dyn_sized_stack, 0
	.set _ZL33csrmvn_symm_large_adaptive_kernelIiiDF16_DF16_ffEvbT_PKS0_N9rocsparse24const_host_device_scalarIT4_EES2_PKT0_PKT1_PKT2_S6_PT3_21rocsparse_index_base_b.has_recursion, 0
	.set _ZL33csrmvn_symm_large_adaptive_kernelIiiDF16_DF16_ffEvbT_PKS0_N9rocsparse24const_host_device_scalarIT4_EES2_PKT0_PKT1_PKT2_S6_PT3_21rocsparse_index_base_b.has_indirect_call, 0
	.section	.AMDGPU.csdata,"",@progbits
; Kernel info:
; codeLenInByte = 1844
; TotalNumSgprs: 28
; NumVgprs: 12
; ScratchSize: 0
; MemoryBound: 0
; FloatMode: 240
; IeeeMode: 1
; LDSByteSize: 4096 bytes/workgroup (compile time only)
; SGPRBlocks: 0
; VGPRBlocks: 1
; NumSGPRsForWavesPerEU: 28
; NumVGPRsForWavesPerEU: 12
; Occupancy: 16
; WaveLimiterHint : 1
; COMPUTE_PGM_RSRC2:SCRATCH_EN: 0
; COMPUTE_PGM_RSRC2:USER_SGPR: 2
; COMPUTE_PGM_RSRC2:TRAP_HANDLER: 0
; COMPUTE_PGM_RSRC2:TGID_X_EN: 1
; COMPUTE_PGM_RSRC2:TGID_Y_EN: 0
; COMPUTE_PGM_RSRC2:TGID_Z_EN: 0
; COMPUTE_PGM_RSRC2:TIDIG_COMP_CNT: 0
	.section	.text._ZN9rocsparseL22csrmvn_adaptive_kernelIliDF16_DF16_ffEEvbT_PKS1_PjPKT0_NS_24const_host_device_scalarIT4_EES3_S7_PKT1_PKT2_SA_PT3_21rocsparse_index_base_b,"axG",@progbits,_ZN9rocsparseL22csrmvn_adaptive_kernelIliDF16_DF16_ffEEvbT_PKS1_PjPKT0_NS_24const_host_device_scalarIT4_EES3_S7_PKT1_PKT2_SA_PT3_21rocsparse_index_base_b,comdat
	.globl	_ZN9rocsparseL22csrmvn_adaptive_kernelIliDF16_DF16_ffEEvbT_PKS1_PjPKT0_NS_24const_host_device_scalarIT4_EES3_S7_PKT1_PKT2_SA_PT3_21rocsparse_index_base_b ; -- Begin function _ZN9rocsparseL22csrmvn_adaptive_kernelIliDF16_DF16_ffEEvbT_PKS1_PjPKT0_NS_24const_host_device_scalarIT4_EES3_S7_PKT1_PKT2_SA_PT3_21rocsparse_index_base_b
	.p2align	8
	.type	_ZN9rocsparseL22csrmvn_adaptive_kernelIliDF16_DF16_ffEEvbT_PKS1_PjPKT0_NS_24const_host_device_scalarIT4_EES3_S7_PKT1_PKT2_SA_PT3_21rocsparse_index_base_b,@function
_ZN9rocsparseL22csrmvn_adaptive_kernelIliDF16_DF16_ffEEvbT_PKS1_PjPKT0_NS_24const_host_device_scalarIT4_EES3_S7_PKT1_PKT2_SA_PT3_21rocsparse_index_base_b: ; @_ZN9rocsparseL22csrmvn_adaptive_kernelIliDF16_DF16_ffEEvbT_PKS1_PjPKT0_NS_24const_host_device_scalarIT4_EES3_S7_PKT1_PKT2_SA_PT3_21rocsparse_index_base_b
; %bb.0:
	s_clause 0x2
	s_load_b64 s[38:39], s[0:1], 0x60
	s_load_b64 s[36:37], s[0:1], 0x28
	;; [unrolled: 1-line block ×3, first 2 shown]
	s_wait_kmcnt 0x0
	s_bitcmp1_b32 s39, 0
	s_cselect_b32 s2, -1, 0
	s_delay_alu instid0(SALU_CYCLE_1)
	s_and_b32 vcc_lo, exec_lo, s2
	s_xor_b32 s2, s2, -1
	s_cbranch_vccnz .LBB67_2
; %bb.1:
	s_load_b32 s36, s[36:37], 0x0
.LBB67_2:
	s_and_not1_b32 vcc_lo, exec_lo, s2
	s_cbranch_vccnz .LBB67_4
; %bb.3:
	s_load_b32 s24, s[24:25], 0x0
.LBB67_4:
	s_wait_kmcnt 0x0
	s_cmp_neq_f32 s36, 0
	s_cselect_b32 s2, -1, 0
	s_cmp_neq_f32 s24, 1.0
	s_cselect_b32 s3, -1, 0
	s_delay_alu instid0(SALU_CYCLE_1) | instskip(NEXT) | instid1(SALU_CYCLE_1)
	s_or_b32 s2, s2, s3
	s_and_not1_b32 vcc_lo, exec_lo, s2
	s_cbranch_vccnz .LBB67_115
; %bb.5:
	s_clause 0x1
	s_load_b64 s[2:3], s[0:1], 0x10
	s_load_b64 s[6:7], s[0:1], 0x20
	s_mov_b32 s40, ttmp9
	s_ashr_i32 s41, ttmp9, 31
	s_delay_alu instid0(SALU_CYCLE_1)
	s_lshl_b64 s[4:5], s[40:41], 3
	s_lshl_b64 s[42:43], s[40:41], 2
	s_wait_kmcnt 0x0
	s_add_nc_u64 s[2:3], s[2:3], s[4:5]
	s_add_nc_u64 s[4:5], s[6:7], s[42:43]
	s_load_b128 s[20:23], s[2:3], 0x0
	s_clause 0x1
	s_load_b256 s[12:19], s[0:1], 0x30
	s_load_b64 s[26:27], s[0:1], 0x58
	s_wait_kmcnt 0x0
	s_lshl_b64 s[2:3], s[20:21], 3
	s_delay_alu instid0(SALU_CYCLE_1)
	s_add_nc_u64 s[30:31], s[12:13], s[2:3]
	s_load_b32 s28, s[4:5], 0x0
	s_load_b64 s[34:35], s[30:31], 0x0
	s_sub_co_i32 s3, s22, s20
	s_mov_b32 s2, -1
	s_cmp_lt_i32 s3, 2
	s_cbranch_scc0 .LBB67_71
; %bb.6:
	s_cmp_lg_u32 s3, 1
	s_cselect_b32 s2, -1, 0
	s_wait_kmcnt 0x0
	s_cmp_lg_u32 s28, 0
	s_cselect_b32 s3, -1, 0
	s_delay_alu instid0(SALU_CYCLE_1) | instskip(NEXT) | instid1(SALU_CYCLE_1)
	s_or_b32 s2, s2, s3
	s_and_b32 vcc_lo, exec_lo, s2
	s_mov_b32 s2, -1
	s_cbranch_vccnz .LBB67_35
; %bb.7:
	v_cmp_le_i64_e64 s2, s[22:23], s[20:21]
	s_and_b32 vcc_lo, exec_lo, s2
	s_cbranch_vccnz .LBB67_34
; %bb.8:
	v_sub_co_u32 v8, s2, v0, s38
	s_cmp_neq_f32 s24, 0
	v_dual_mov_b32 v7, 0 :: v_dual_lshlrev_b32 v10, 2, v0
	v_sub_co_ci_u32_e64 v9, null, 0, 0, s2
	v_cmp_gt_u32_e64 s2, 0x80, v0
	v_cmp_gt_u32_e64 s3, 64, v0
	;; [unrolled: 1-line block ×7, first 2 shown]
	v_cmp_eq_u32_e64 s9, 0, v0
	s_cselect_b32 s11, -1, 0
	s_mov_b32 s39, 0
	s_mov_b64 s[44:45], s[20:21]
	s_branch .LBB67_11
.LBB67_9:                               ;   in Loop: Header=BB67_11 Depth=1
	s_lshl_b64 s[46:47], s[44:45], 2
	s_wait_alu 0xfffe
	s_add_nc_u64 s[46:47], s[26:27], s[46:47]
	s_wait_dscnt 0x0
	global_store_b32 v7, v1, s[46:47]
.LBB67_10:                              ;   in Loop: Header=BB67_11 Depth=1
	s_wait_alu 0xfffe
	s_or_b32 exec_lo, exec_lo, s10
	s_add_nc_u64 s[44:45], s[44:45], 1
	s_wait_alu 0xfffe
	v_cmp_ge_i64_e64 s10, s[44:45], s[22:23]
	s_and_b32 vcc_lo, exec_lo, s10
	s_wait_alu 0xfffe
	s_cbranch_vccnz .LBB67_34
.LBB67_11:                              ; =>This Loop Header: Depth=1
                                        ;     Child Loop BB67_13 Depth 2
	s_lshl_b64 s[46:47], s[44:45], 3
	v_mov_b32_e32 v11, 0
	s_wait_alu 0xfffe
	s_add_nc_u64 s[46:47], s[12:13], s[46:47]
	s_mov_b32 s25, exec_lo
	s_load_b128 s[48:51], s[46:47], 0x0
	s_wait_kmcnt 0x0
	v_add_co_u32 v1, vcc_lo, s48, v8
	s_wait_alu 0xfffd
	v_add_co_ci_u32_e64 v2, null, s49, v9, vcc_lo
	s_sub_nc_u64 s[46:47], s[50:51], s[38:39]
	s_wait_alu 0xfffe
	v_cmpx_gt_i64_e64 s[46:47], v[1:2]
	s_cbranch_execz .LBB67_15
; %bb.12:                               ;   in Loop: Header=BB67_11 Depth=1
	v_lshlrev_b64_e32 v[3:4], 1, v[1:2]
	v_lshlrev_b64_e32 v[5:6], 2, v[1:2]
	v_mov_b32_e32 v11, 0
	s_mov_b32 s29, 0
	s_delay_alu instid0(VALU_DEP_3)
	v_add_co_u32 v3, vcc_lo, s16, v3
	s_wait_alu 0xfffd
	v_add_co_ci_u32_e64 v4, null, s17, v4, vcc_lo
	v_add_co_u32 v5, vcc_lo, s14, v5
	s_wait_alu 0xfffd
	v_add_co_ci_u32_e64 v6, null, s15, v6, vcc_lo
.LBB67_13:                              ;   Parent Loop BB67_11 Depth=1
                                        ; =>  This Inner Loop Header: Depth=2
	global_load_b32 v12, v[5:6], off
	global_load_u16 v14, v[3:4], off
	v_add_co_u32 v5, s10, 0x400, v5
	s_wait_alu 0xf1ff
	v_add_co_ci_u32_e64 v6, null, 0, v6, s10
	s_wait_loadcnt 0x1
	v_subrev_nc_u32_e32 v12, s38, v12
	s_delay_alu instid0(VALU_DEP_1) | instskip(NEXT) | instid1(VALU_DEP_1)
	v_ashrrev_i32_e32 v13, 31, v12
	v_lshlrev_b64_e32 v[12:13], 1, v[12:13]
	s_delay_alu instid0(VALU_DEP_1) | instskip(SKIP_1) | instid1(VALU_DEP_2)
	v_add_co_u32 v12, vcc_lo, s18, v12
	s_wait_alu 0xfffd
	v_add_co_ci_u32_e64 v13, null, s19, v13, vcc_lo
	v_add_co_u32 v1, vcc_lo, 0x100, v1
	s_wait_alu 0xfffd
	v_add_co_ci_u32_e64 v2, null, 0, v2, vcc_lo
	global_load_u16 v12, v[12:13], off
	s_wait_loadcnt 0x1
	v_cvt_f32_f16_e32 v13, v14
	v_add_co_u32 v3, vcc_lo, 0x200, v3
	s_wait_alu 0xfffd
	v_add_co_ci_u32_e64 v4, null, 0, v4, vcc_lo
	s_delay_alu instid0(VALU_DEP_3) | instskip(SKIP_3) | instid1(VALU_DEP_2)
	v_mul_f32_e32 v13, s36, v13
	v_cmp_le_i64_e32 vcc_lo, s[46:47], v[1:2]
	s_or_b32 s29, vcc_lo, s29
	s_wait_loadcnt 0x0
	v_fma_mix_f32 v11, v13, v12, v11 op_sel_hi:[0,1,0]
	s_and_not1_b32 exec_lo, exec_lo, s29
	s_cbranch_execnz .LBB67_13
; %bb.14:                               ;   in Loop: Header=BB67_11 Depth=1
	s_or_b32 exec_lo, exec_lo, s29
.LBB67_15:                              ;   in Loop: Header=BB67_11 Depth=1
	s_delay_alu instid0(SALU_CYCLE_1)
	s_or_b32 exec_lo, exec_lo, s25
	ds_store_b32 v10, v11
	s_wait_dscnt 0x0
	s_barrier_signal -1
	s_barrier_wait -1
	global_inv scope:SCOPE_SE
	s_and_saveexec_b32 s10, s2
	s_cbranch_execz .LBB67_17
; %bb.16:                               ;   in Loop: Header=BB67_11 Depth=1
	ds_load_2addr_stride64_b32 v[1:2], v10 offset1:2
	s_wait_dscnt 0x0
	v_add_f32_e32 v1, v1, v2
	ds_store_b32 v10, v1
.LBB67_17:                              ;   in Loop: Header=BB67_11 Depth=1
	s_wait_alu 0xfffe
	s_or_b32 exec_lo, exec_lo, s10
	s_wait_loadcnt_dscnt 0x0
	s_barrier_signal -1
	s_barrier_wait -1
	global_inv scope:SCOPE_SE
	s_and_saveexec_b32 s10, s3
	s_cbranch_execz .LBB67_19
; %bb.18:                               ;   in Loop: Header=BB67_11 Depth=1
	ds_load_2addr_stride64_b32 v[1:2], v10 offset1:1
	s_wait_dscnt 0x0
	v_add_f32_e32 v1, v1, v2
	ds_store_b32 v10, v1
.LBB67_19:                              ;   in Loop: Header=BB67_11 Depth=1
	s_wait_alu 0xfffe
	s_or_b32 exec_lo, exec_lo, s10
	s_wait_loadcnt_dscnt 0x0
	s_barrier_signal -1
	s_barrier_wait -1
	global_inv scope:SCOPE_SE
	s_and_saveexec_b32 s10, s4
	s_cbranch_execz .LBB67_21
; %bb.20:                               ;   in Loop: Header=BB67_11 Depth=1
	ds_load_2addr_b32 v[1:2], v10 offset1:32
	s_wait_dscnt 0x0
	v_add_f32_e32 v1, v1, v2
	ds_store_b32 v10, v1
.LBB67_21:                              ;   in Loop: Header=BB67_11 Depth=1
	s_wait_alu 0xfffe
	s_or_b32 exec_lo, exec_lo, s10
	s_wait_loadcnt_dscnt 0x0
	s_barrier_signal -1
	s_barrier_wait -1
	global_inv scope:SCOPE_SE
	s_and_saveexec_b32 s10, s5
	s_cbranch_execz .LBB67_23
; %bb.22:                               ;   in Loop: Header=BB67_11 Depth=1
	ds_load_2addr_b32 v[1:2], v10 offset1:16
	s_wait_dscnt 0x0
	v_add_f32_e32 v1, v1, v2
	ds_store_b32 v10, v1
.LBB67_23:                              ;   in Loop: Header=BB67_11 Depth=1
	;; [unrolled: 14-line block ×5, first 2 shown]
	s_wait_alu 0xfffe
	s_or_b32 exec_lo, exec_lo, s10
	s_wait_loadcnt_dscnt 0x0
	s_barrier_signal -1
	s_barrier_wait -1
	global_inv scope:SCOPE_SE
	s_and_saveexec_b32 s10, s9
	s_cbranch_execz .LBB67_31
; %bb.30:                               ;   in Loop: Header=BB67_11 Depth=1
	ds_load_b64 v[1:2], v7
	s_wait_dscnt 0x0
	v_add_f32_e32 v1, v1, v2
	ds_store_b32 v7, v1
.LBB67_31:                              ;   in Loop: Header=BB67_11 Depth=1
	s_wait_alu 0xfffe
	s_or_b32 exec_lo, exec_lo, s10
	s_wait_loadcnt_dscnt 0x0
	s_barrier_signal -1
	s_barrier_wait -1
	global_inv scope:SCOPE_SE
	s_and_saveexec_b32 s10, s9
	s_cbranch_execz .LBB67_10
; %bb.32:                               ;   in Loop: Header=BB67_11 Depth=1
	ds_load_b32 v1, v7
	s_and_not1_b32 vcc_lo, exec_lo, s11
	s_wait_alu 0xfffe
	s_cbranch_vccnz .LBB67_9
; %bb.33:                               ;   in Loop: Header=BB67_11 Depth=1
	s_lshl_b64 s[46:47], s[44:45], 2
	s_wait_alu 0xfffe
	s_add_nc_u64 s[46:47], s[26:27], s[46:47]
	global_load_b32 v2, v7, s[46:47]
	s_wait_loadcnt_dscnt 0x0
	v_fmac_f32_e32 v1, s24, v2
	s_branch .LBB67_9
.LBB67_34:
	s_mov_b32 s2, 0
.LBB67_35:
	s_wait_alu 0xfffe
	s_and_not1_b32 vcc_lo, exec_lo, s2
	s_wait_alu 0xfffe
	s_cbranch_vccnz .LBB67_70
; %bb.36:
	s_load_b64 s[6:7], s[0:1], 0x18
	v_mov_b32_e32 v8, 0
	v_or_b32_e32 v1, s28, v0
	s_sub_co_i32 s8, s40, s28
	s_mov_b32 s39, 0
	s_mov_b32 s2, exec_lo
	s_wait_kmcnt 0x0
	s_add_nc_u64 s[4:5], s[6:7], s[42:43]
	global_load_b32 v7, v8, s[4:5]
	v_cmpx_eq_u32_e32 0, v1
	s_cbranch_execz .LBB67_40
; %bb.37:
	v_mov_b32_e32 v1, 0
	s_lshl_b64 s[10:11], s[20:21], 2
	s_mov_b32 s3, exec_lo
	s_wait_alu 0xfffe
	s_add_nc_u64 s[10:11], s[26:27], s[10:11]
	v_mbcnt_lo_u32_b32 v3, s3, 0
	global_load_b32 v2, v1, s[10:11]
	s_add_f32 s10, s24, -1.0
	s_mov_b32 s11, exec_lo
	s_wait_loadcnt 0x0
	s_wait_storecnt 0x0
	global_inv scope:SCOPE_DEV
	v_cmpx_eq_u32_e32 0, v3
	s_cbranch_execz .LBB67_39
; %bb.38:
	s_bcnt1_i32_b32 s3, s3
	s_ashr_i32 s9, s8, 31
	s_wait_alu 0xfffe
	s_and_b32 s3, s3, 1
	s_lshl_b64 s[40:41], s[8:9], 2
	s_wait_alu 0xfffe
	v_mov_b32_e32 v3, s3
	s_add_nc_u64 s[40:41], s[6:7], s[40:41]
	global_atomic_xor_b32 v1, v3, s[40:41] scope:SCOPE_DEV
.LBB67_39:
	s_wait_alu 0xfffe
	s_or_b32 exec_lo, exec_lo, s11
	v_mul_f32_e32 v8, s10, v2
.LBB67_40:
	s_wait_alu 0xfffe
	s_or_b32 exec_lo, exec_lo, s2
	s_load_b64 s[2:3], s[30:31], 0x8
	s_ashr_i32 s29, s28, 31
	s_sub_nc_u64 s[40:41], s[34:35], s[38:39]
	s_wait_alu 0xfffe
	s_mul_u64 s[10:11], s[28:29], 0xc00
	s_wait_alu 0xfffe
	s_add_nc_u64 s[10:11], s[40:41], s[10:11]
	s_wait_alu 0xfffe
	v_add_co_u32 v1, s9, s10, v0
	s_delay_alu instid0(VALU_DEP_1)
	v_add_co_ci_u32_e64 v2, null, s11, 0, s9
	s_mov_b32 s9, exec_lo
	s_wait_kmcnt 0x0
	s_sub_nc_u64 s[2:3], s[2:3], s[38:39]
	s_wait_alu 0xfffe
	v_cmpx_gt_i64_e64 s[2:3], v[1:2]
	s_cbranch_execz .LBB67_44
; %bb.41:
	v_lshlrev_b64_e32 v[3:4], 1, v[1:2]
	v_lshlrev_b64_e32 v[5:6], 2, v[1:2]
	s_add_nc_u64 s[10:11], s[10:11], 0xc00
	s_wait_alu 0xfffe
	v_cmp_lt_i64_e64 s25, s[10:11], s[2:3]
	s_delay_alu instid0(VALU_DEP_3)
	v_add_co_u32 v3, vcc_lo, s16, v3
	s_wait_alu 0xfffd
	v_add_co_ci_u32_e64 v4, null, s17, v4, vcc_lo
	v_add_co_u32 v5, vcc_lo, s14, v5
	s_wait_alu 0xfffd
	v_add_co_ci_u32_e64 v6, null, s15, v6, vcc_lo
	s_and_b32 s25, s25, exec_lo
	s_cselect_b32 s11, s11, s3
	s_cselect_b32 s10, s10, s2
	s_mov_b32 s3, 0
.LBB67_42:                              ; =>This Inner Loop Header: Depth=1
	global_load_b32 v9, v[5:6], off
	global_load_u16 v11, v[3:4], off
	v_add_co_u32 v5, s2, 0x400, v5
	s_wait_alu 0xf1ff
	v_add_co_ci_u32_e64 v6, null, 0, v6, s2
	s_wait_loadcnt 0x1
	v_subrev_nc_u32_e32 v9, s38, v9
	s_delay_alu instid0(VALU_DEP_1) | instskip(NEXT) | instid1(VALU_DEP_1)
	v_ashrrev_i32_e32 v10, 31, v9
	v_lshlrev_b64_e32 v[9:10], 1, v[9:10]
	s_delay_alu instid0(VALU_DEP_1) | instskip(SKIP_1) | instid1(VALU_DEP_2)
	v_add_co_u32 v9, vcc_lo, s18, v9
	s_wait_alu 0xfffd
	v_add_co_ci_u32_e64 v10, null, s19, v10, vcc_lo
	v_add_co_u32 v1, vcc_lo, 0x100, v1
	s_wait_alu 0xfffd
	v_add_co_ci_u32_e64 v2, null, 0, v2, vcc_lo
	global_load_u16 v9, v[9:10], off
	s_wait_loadcnt 0x1
	v_cvt_f32_f16_e32 v10, v11
	v_add_co_u32 v3, vcc_lo, 0x200, v3
	s_wait_alu 0xfffd
	v_add_co_ci_u32_e64 v4, null, 0, v4, vcc_lo
	s_delay_alu instid0(VALU_DEP_3)
	v_mul_f32_e32 v10, s36, v10
	s_wait_alu 0xfffe
	v_cmp_le_i64_e32 vcc_lo, s[10:11], v[1:2]
	s_or_b32 s3, vcc_lo, s3
	s_wait_loadcnt 0x0
	v_fma_mix_f32 v8, v10, v9, v8 op_sel_hi:[0,1,0]
	s_wait_alu 0xfffe
	s_and_not1_b32 exec_lo, exec_lo, s3
	s_cbranch_execnz .LBB67_42
; %bb.43:
	s_or_b32 exec_lo, exec_lo, s3
.LBB67_44:
	s_delay_alu instid0(SALU_CYCLE_1)
	s_or_b32 exec_lo, exec_lo, s9
	v_lshlrev_b32_e32 v1, 2, v0
	s_mov_b32 s2, exec_lo
	ds_store_b32 v1, v8
	s_wait_storecnt 0x0
	s_wait_loadcnt_dscnt 0x0
	s_barrier_signal -1
	s_barrier_wait -1
	global_inv scope:SCOPE_SE
	v_cmpx_gt_u32_e32 0x80, v0
	s_cbranch_execz .LBB67_46
; %bb.45:
	ds_load_2addr_stride64_b32 v[2:3], v1 offset1:2
	s_wait_dscnt 0x0
	v_add_f32_e32 v2, v2, v3
	ds_store_b32 v1, v2
.LBB67_46:
	s_wait_alu 0xfffe
	s_or_b32 exec_lo, exec_lo, s2
	s_delay_alu instid0(SALU_CYCLE_1)
	s_mov_b32 s2, exec_lo
	s_wait_loadcnt_dscnt 0x0
	s_barrier_signal -1
	s_barrier_wait -1
	global_inv scope:SCOPE_SE
	v_cmpx_gt_u32_e32 64, v0
	s_cbranch_execz .LBB67_48
; %bb.47:
	ds_load_2addr_stride64_b32 v[2:3], v1 offset1:1
	s_wait_dscnt 0x0
	v_add_f32_e32 v2, v2, v3
	ds_store_b32 v1, v2
.LBB67_48:
	s_wait_alu 0xfffe
	s_or_b32 exec_lo, exec_lo, s2
	s_delay_alu instid0(SALU_CYCLE_1)
	s_mov_b32 s2, exec_lo
	s_wait_loadcnt_dscnt 0x0
	s_barrier_signal -1
	s_barrier_wait -1
	global_inv scope:SCOPE_SE
	v_cmpx_gt_u32_e32 32, v0
	s_cbranch_execz .LBB67_50
; %bb.49:
	ds_load_2addr_b32 v[2:3], v1 offset1:32
	s_wait_dscnt 0x0
	v_add_f32_e32 v2, v2, v3
	ds_store_b32 v1, v2
.LBB67_50:
	s_wait_alu 0xfffe
	s_or_b32 exec_lo, exec_lo, s2
	s_delay_alu instid0(SALU_CYCLE_1)
	s_mov_b32 s2, exec_lo
	s_wait_loadcnt_dscnt 0x0
	s_barrier_signal -1
	s_barrier_wait -1
	global_inv scope:SCOPE_SE
	v_cmpx_gt_u32_e32 16, v0
	s_cbranch_execz .LBB67_52
; %bb.51:
	ds_load_2addr_b32 v[2:3], v1 offset1:16
	s_wait_dscnt 0x0
	v_add_f32_e32 v2, v2, v3
	ds_store_b32 v1, v2
.LBB67_52:
	;; [unrolled: 16-line block ×5, first 2 shown]
	s_wait_alu 0xfffe
	s_or_b32 exec_lo, exec_lo, s2
	v_cmp_eq_u32_e32 vcc_lo, 0, v0
	s_wait_loadcnt_dscnt 0x0
	s_barrier_signal -1
	s_barrier_wait -1
	global_inv scope:SCOPE_SE
	s_and_saveexec_b32 s2, vcc_lo
	s_cbranch_execz .LBB67_60
; %bb.59:
	v_mov_b32_e32 v3, 0
	ds_load_b64 v[1:2], v3
	s_wait_dscnt 0x0
	v_add_f32_e32 v1, v1, v2
	ds_store_b32 v3, v1
.LBB67_60:
	s_wait_alu 0xfffe
	s_or_b32 exec_lo, exec_lo, s2
	s_wait_loadcnt_dscnt 0x0
	s_barrier_signal -1
	s_barrier_wait -1
	global_inv scope:SCOPE_SE
	s_and_saveexec_b32 s10, vcc_lo
	s_cbranch_execz .LBB67_69
; %bb.61:
	s_cmp_eq_u32 s28, 0
	s_cbranch_scc1 .LBB67_67
; %bb.62:
	s_ashr_i32 s9, s8, 31
	v_mov_b32_e32 v1, 0
	s_wait_alu 0xfffe
	s_lshl_b64 s[2:3], s[8:9], 2
	s_wait_alu 0xfffe
	s_add_nc_u64 s[2:3], s[6:7], s[2:3]
	s_branch .LBB67_64
.LBB67_63:                              ;   in Loop: Header=BB67_64 Depth=1
	s_wait_alu 0xfffe
	s_or_b32 exec_lo, exec_lo, s6
	s_wait_loadcnt 0x0
	v_readfirstlane_b32 s6, v2
	s_wait_alu 0xf1ff
	s_delay_alu instid0(VALU_DEP_1)
	v_cmp_eq_u32_e32 vcc_lo, s6, v7
	s_cbranch_vccz .LBB67_66
.LBB67_64:                              ; =>This Inner Loop Header: Depth=1
	v_mbcnt_lo_u32_b32 v2, exec_lo, 0
	s_delay_alu instid0(VALU_DEP_1)
	v_cmp_eq_u32_e32 vcc_lo, 0, v2
                                        ; implicit-def: $vgpr2
	s_and_saveexec_b32 s6, vcc_lo
	s_cbranch_execz .LBB67_63
; %bb.65:                               ;   in Loop: Header=BB67_64 Depth=1
	global_load_b32 v2, v1, s[2:3] scope:SCOPE_DEV
	s_branch .LBB67_63
.LBB67_66:
	v_mov_b32_e32 v1, 0
	global_load_u16 v2, v1, s[4:5]
	s_wait_loadcnt 0x0
	v_xor_b32_e32 v2, 1, v2
	global_store_b16 v1, v2, s[4:5]
.LBB67_67:
	s_mov_b32 s2, exec_lo
	s_wait_alu 0xfffe
	v_mbcnt_lo_u32_b32 v1, s2, 0
	s_delay_alu instid0(VALU_DEP_1)
	v_cmp_eq_u32_e32 vcc_lo, 0, v1
	s_and_b32 s3, exec_lo, vcc_lo
	s_wait_alu 0xfffe
	s_mov_b32 exec_lo, s3
	s_cbranch_execz .LBB67_69
; %bb.68:
	s_bcnt1_i32_b32 s2, s2
	s_wait_alu 0xfffe
	v_cvt_f32_ubyte0_e32 v3, s2
	v_mov_b32_e32 v1, 0
	s_lshl_b64 s[2:3], s[20:21], 2
	s_wait_alu 0xfffe
	s_add_nc_u64 s[2:3], s[26:27], s[2:3]
	ds_load_b32 v2, v1
	s_wait_dscnt 0x0
	v_mul_f32_e32 v2, v2, v3
	global_atomic_add_f32 v1, v2, s[2:3] scope:SCOPE_DEV
.LBB67_69:
	s_wait_alu 0xfffe
	s_or_b32 exec_lo, exec_lo, s10
.LBB67_70:
	s_mov_b32 s2, 0
.LBB67_71:
	s_wait_alu 0xfffe
	s_and_not1_b32 vcc_lo, exec_lo, s2
	s_wait_alu 0xfffe
	s_cbranch_vccnz .LBB67_115
; %bb.72:
	s_load_b64 s[0:1], s[0:1], 0x8
	v_sub_co_u32 v1, s2, v0, s38
	s_wait_alu 0xf1ff
	v_sub_co_ci_u32_e64 v2, null, 0, 0, s2
	s_mov_b32 s39, 0
	s_wait_kmcnt 0x0
	v_add_co_u32 v1, vcc_lo, s34, v1
	s_wait_alu 0xfffd
	v_add_co_ci_u32_e64 v2, null, s35, v2, vcc_lo
	s_delay_alu instid0(VALU_DEP_2) | instskip(SKIP_1) | instid1(VALU_DEP_2)
	v_add_co_u32 v3, vcc_lo, 0x300, v1
	s_wait_alu 0xfffd
	v_add_co_ci_u32_e64 v4, null, 0, v2, vcc_lo
	s_delay_alu instid0(VALU_DEP_1)
	v_cmp_le_i64_e32 vcc_lo, s[0:1], v[3:4]
	s_and_saveexec_b32 s0, vcc_lo
	s_wait_alu 0xfffe
	s_xor_b32 s1, exec_lo, s0
	s_cbranch_execz .LBB67_77
; %bb.73:
	s_lshl_b64 s[2:3], s[22:23], 3
	s_mov_b32 s4, exec_lo
	s_wait_alu 0xfffe
	s_add_nc_u64 s[2:3], s[12:13], s[2:3]
	s_load_b64 s[2:3], s[2:3], 0x0
	s_wait_kmcnt 0x0
	s_sub_nc_u64 s[2:3], s[2:3], s[38:39]
	s_wait_alu 0xfffe
	v_cmpx_gt_i64_e64 s[2:3], v[1:2]
	s_cbranch_execz .LBB67_76
; %bb.74:
	v_lshlrev_b64_e32 v[3:4], 1, v[1:2]
	v_lshlrev_b64_e32 v[5:6], 2, v[1:2]
	v_lshlrev_b32_e32 v7, 2, v0
	s_mov_b32 s5, 0
	s_delay_alu instid0(VALU_DEP_3)
	v_add_co_u32 v3, vcc_lo, s16, v3
	s_wait_alu 0xfffd
	v_add_co_ci_u32_e64 v4, null, s17, v4, vcc_lo
	v_add_co_u32 v5, vcc_lo, s14, v5
	s_wait_alu 0xfffd
	v_add_co_ci_u32_e64 v6, null, s15, v6, vcc_lo
.LBB67_75:                              ; =>This Inner Loop Header: Depth=1
	global_load_b32 v8, v[5:6], off
	global_load_u16 v10, v[3:4], off
	s_wait_loadcnt 0x1
	v_subrev_nc_u32_e32 v8, s38, v8
	s_delay_alu instid0(VALU_DEP_1) | instskip(NEXT) | instid1(VALU_DEP_1)
	v_ashrrev_i32_e32 v9, 31, v8
	v_lshlrev_b64_e32 v[8:9], 1, v[8:9]
	s_delay_alu instid0(VALU_DEP_1) | instskip(SKIP_1) | instid1(VALU_DEP_2)
	v_add_co_u32 v8, vcc_lo, s18, v8
	s_wait_alu 0xfffd
	v_add_co_ci_u32_e64 v9, null, s19, v9, vcc_lo
	v_add_co_u32 v1, vcc_lo, 0x100, v1
	s_wait_alu 0xfffd
	v_add_co_ci_u32_e64 v2, null, 0, v2, vcc_lo
	global_load_u16 v8, v[8:9], off
	s_wait_loadcnt 0x1
	v_cvt_f32_f16_e32 v9, v10
	v_add_co_u32 v3, vcc_lo, 0x200, v3
	v_cmp_le_i64_e64 s0, s[2:3], v[1:2]
	s_wait_alu 0xfffd
	v_add_co_ci_u32_e64 v4, null, 0, v4, vcc_lo
	v_mul_f32_e32 v9, s36, v9
	v_add_co_u32 v5, vcc_lo, 0x400, v5
	s_wait_alu 0xfffd
	v_add_co_ci_u32_e64 v6, null, 0, v6, vcc_lo
	s_or_b32 s5, s0, s5
	s_wait_loadcnt 0x0
	v_cvt_f32_f16_e32 v8, v8
	s_delay_alu instid0(VALU_DEP_1)
	v_mul_f32_e32 v8, v9, v8
	ds_store_b32 v7, v8
	v_add_nc_u32_e32 v7, 0x400, v7
	s_and_not1_b32 exec_lo, exec_lo, s5
	s_cbranch_execnz .LBB67_75
.LBB67_76:
	s_or_b32 exec_lo, exec_lo, s4
                                        ; implicit-def: $vgpr1_vgpr2
.LBB67_77:
	s_wait_alu 0xfffe
	s_or_saveexec_b32 s0, s1
	v_lshlrev_b32_e32 v7, 2, v0
	s_wait_alu 0xfffe
	s_xor_b32 exec_lo, exec_lo, s0
	s_cbranch_execz .LBB67_79
; %bb.78:
	v_lshlrev_b64_e32 v[3:4], 2, v[1:2]
	v_lshlrev_b64_e32 v[1:2], 1, v[1:2]
	s_delay_alu instid0(VALU_DEP_2) | instskip(SKIP_1) | instid1(VALU_DEP_3)
	v_add_co_u32 v3, vcc_lo, s14, v3
	s_wait_alu 0xfffd
	v_add_co_ci_u32_e64 v4, null, s15, v4, vcc_lo
	s_delay_alu instid0(VALU_DEP_3)
	v_add_co_u32 v1, vcc_lo, s16, v1
	s_wait_alu 0xfffd
	v_add_co_ci_u32_e64 v2, null, s17, v2, vcc_lo
	s_clause 0x3
	global_load_b32 v5, v[3:4], off
	global_load_b32 v6, v[3:4], off offset:1024
	global_load_b32 v8, v[3:4], off offset:2048
	;; [unrolled: 1-line block ×3, first 2 shown]
	s_clause 0x3
	global_load_u16 v12, v[1:2], off
	global_load_u16 v13, v[1:2], off offset:512
	global_load_u16 v14, v[1:2], off offset:1024
	;; [unrolled: 1-line block ×3, first 2 shown]
	s_wait_loadcnt 0x7
	v_subrev_nc_u32_e32 v3, s38, v5
	s_wait_loadcnt 0x6
	v_subrev_nc_u32_e32 v5, s38, v6
	;; [unrolled: 2-line block ×4, first 2 shown]
	v_ashrrev_i32_e32 v4, 31, v3
	v_ashrrev_i32_e32 v6, 31, v5
	;; [unrolled: 1-line block ×3, first 2 shown]
	s_delay_alu instid0(VALU_DEP_4) | instskip(NEXT) | instid1(VALU_DEP_4)
	v_ashrrev_i32_e32 v11, 31, v10
	v_lshlrev_b64_e32 v[3:4], 1, v[3:4]
	s_delay_alu instid0(VALU_DEP_4) | instskip(NEXT) | instid1(VALU_DEP_4)
	v_lshlrev_b64_e32 v[1:2], 1, v[5:6]
	v_lshlrev_b64_e32 v[5:6], 1, v[8:9]
	s_delay_alu instid0(VALU_DEP_4) | instskip(NEXT) | instid1(VALU_DEP_4)
	v_lshlrev_b64_e32 v[8:9], 1, v[10:11]
	v_add_co_u32 v3, vcc_lo, s18, v3
	s_wait_alu 0xfffd
	v_add_co_ci_u32_e64 v4, null, s19, v4, vcc_lo
	v_add_co_u32 v1, vcc_lo, s18, v1
	s_wait_alu 0xfffd
	v_add_co_ci_u32_e64 v2, null, s19, v2, vcc_lo
	;; [unrolled: 3-line block ×4, first 2 shown]
	s_clause 0x3
	global_load_u16 v3, v[3:4], off
	global_load_u16 v1, v[1:2], off
	;; [unrolled: 1-line block ×4, first 2 shown]
	s_wait_loadcnt 0x7
	v_cvt_f32_f16_e32 v5, v12
	s_wait_loadcnt 0x6
	v_cvt_f32_f16_e32 v6, v13
	;; [unrolled: 2-line block ×4, first 2 shown]
	v_dual_mul_f32 v5, s36, v5 :: v_dual_mul_f32 v6, s36, v6
	s_delay_alu instid0(VALU_DEP_2)
	v_dual_mul_f32 v8, s36, v8 :: v_dual_mul_f32 v9, s36, v9
	s_wait_loadcnt 0x3
	v_cvt_f32_f16_e32 v3, v3
	s_wait_loadcnt 0x2
	v_cvt_f32_f16_e32 v1, v1
	;; [unrolled: 2-line block ×4, first 2 shown]
	v_mul_f32_e32 v3, v5, v3
	s_delay_alu instid0(VALU_DEP_3) | instskip(NEXT) | instid1(VALU_DEP_3)
	v_dual_mul_f32 v1, v6, v1 :: v_dual_mul_f32 v2, v8, v2
	v_mul_f32_e32 v4, v9, v4
	ds_store_2addr_stride64_b32 v7, v3, v1 offset1:4
	ds_store_2addr_stride64_b32 v7, v2, v4 offset0:8 offset1:12
.LBB67_79:
	s_or_b32 exec_lo, exec_lo, s0
	s_cmp_lt_i32 s28, 2
	s_mov_b32 s0, -1
	s_wait_storecnt 0x0
	s_wait_loadcnt_dscnt 0x0
	s_barrier_signal -1
	s_barrier_wait -1
	global_inv scope:SCOPE_SE
	s_cbranch_scc0 .LBB67_90
; %bb.80:
	v_add_co_u32 v5, s0, s20, v0
	s_wait_alu 0xf1fe
	v_add_co_ci_u32_e64 v6, null, s21, 0, s0
	s_mov_b32 s1, exec_lo
	v_cmpx_gt_i64_e64 s[22:23], v[5:6]
	s_cbranch_execz .LBB67_89
; %bb.81:
	s_cmp_neq_f32 s24, 0
	s_mov_b32 s3, 0
	s_cselect_b32 s2, -1, 0
	s_lshl_b32 s0, s34, 2
	s_wait_alu 0xfffe
	s_sub_co_i32 s4, 0, s0
	s_branch .LBB67_83
.LBB67_82:                              ;   in Loop: Header=BB67_83 Depth=1
	v_add_co_u32 v5, vcc_lo, 0x100, v5
	s_wait_alu 0xfffd
	v_add_co_ci_u32_e64 v6, null, 0, v6, vcc_lo
	v_add_co_u32 v1, s0, s26, v1
	s_wait_alu 0xf1ff
	v_add_co_ci_u32_e64 v2, null, s27, v2, s0
	s_delay_alu instid0(VALU_DEP_3)
	v_cmp_le_i64_e32 vcc_lo, s[22:23], v[5:6]
	global_store_b32 v[1:2], v3, off
	s_or_b32 s3, vcc_lo, s3
	s_wait_alu 0xfffe
	s_and_not1_b32 exec_lo, exec_lo, s3
	s_cbranch_execz .LBB67_89
.LBB67_83:                              ; =>This Loop Header: Depth=1
                                        ;     Child Loop BB67_85 Depth 2
	v_lshlrev_b64_e32 v[1:2], 3, v[5:6]
	s_mov_b32 s0, exec_lo
	s_delay_alu instid0(VALU_DEP_1) | instskip(SKIP_1) | instid1(VALU_DEP_2)
	v_add_co_u32 v1, vcc_lo, s12, v1
	s_wait_alu 0xfffd
	v_add_co_ci_u32_e64 v2, null, s13, v2, vcc_lo
	global_load_b128 v[1:4], v[1:2], off
	s_wait_loadcnt 0x0
	v_subrev_nc_u32_e32 v2, s34, v1
	v_subrev_nc_u32_e32 v4, s34, v3
	v_mov_b32_e32 v3, 0
	s_delay_alu instid0(VALU_DEP_2)
	v_cmpx_lt_i32_e64 v2, v4
	s_cbranch_execz .LBB67_87
; %bb.84:                               ;   in Loop: Header=BB67_83 Depth=1
	v_lshl_add_u32 v1, v1, 2, s4
	v_mov_b32_e32 v3, 0
	s_mov_b32 s5, 0
.LBB67_85:                              ;   Parent Loop BB67_83 Depth=1
                                        ; =>  This Inner Loop Header: Depth=2
	ds_load_b32 v8, v1
	v_add_nc_u32_e32 v2, 1, v2
	v_add_nc_u32_e32 v1, 4, v1
	s_wait_dscnt 0x0
	v_add_f32_e32 v3, v3, v8
	s_delay_alu instid0(VALU_DEP_3)
	v_cmp_ge_i32_e32 vcc_lo, v2, v4
	s_wait_alu 0xfffe
	s_or_b32 s5, vcc_lo, s5
	s_wait_alu 0xfffe
	s_and_not1_b32 exec_lo, exec_lo, s5
	s_cbranch_execnz .LBB67_85
; %bb.86:                               ;   in Loop: Header=BB67_83 Depth=1
	s_or_b32 exec_lo, exec_lo, s5
.LBB67_87:                              ;   in Loop: Header=BB67_83 Depth=1
	s_wait_alu 0xfffe
	s_or_b32 exec_lo, exec_lo, s0
	v_lshlrev_b64_e32 v[1:2], 2, v[5:6]
	s_and_b32 vcc_lo, exec_lo, s2
	s_wait_alu 0xfffe
	s_cbranch_vccz .LBB67_82
; %bb.88:                               ;   in Loop: Header=BB67_83 Depth=1
	s_delay_alu instid0(VALU_DEP_1)
	v_add_co_u32 v8, vcc_lo, s26, v1
	s_wait_alu 0xfffd
	v_add_co_ci_u32_e64 v9, null, s27, v2, vcc_lo
	global_load_b32 v4, v[8:9], off
	s_wait_loadcnt 0x0
	v_fmac_f32_e32 v3, s24, v4
	s_branch .LBB67_82
.LBB67_89:
	s_wait_alu 0xfffe
	s_or_b32 exec_lo, exec_lo, s1
	s_mov_b32 s0, 0
.LBB67_90:
	s_wait_alu 0xfffe
	s_and_not1_b32 vcc_lo, exec_lo, s0
	s_wait_alu 0xfffe
	s_cbranch_vccnz .LBB67_115
; %bb.91:
	s_clz_i32_u32 s0, s28
	s_add_co_i32 s1, s28, -1
	s_wait_alu 0xfffe
	s_xor_b32 s0, s0, 31
	v_mov_b32_e32 v3, 0
	s_wait_alu 0xfffe
	v_lshrrev_b32_e32 v4, s0, v0
	v_and_b32_e32 v0, s1, v0
	s_mov_b32 s1, exec_lo
	s_delay_alu instid0(VALU_DEP_2) | instskip(SKIP_2) | instid1(VALU_DEP_1)
	v_add_co_u32 v1, s0, s20, v4
	s_wait_alu 0xf1ff
	v_add_co_ci_u32_e64 v2, null, s21, 0, s0
	v_cmp_le_i64_e32 vcc_lo, s[22:23], v[1:2]
	v_cmpx_gt_i64_e64 s[22:23], v[1:2]
	s_cbranch_execz .LBB67_97
; %bb.92:
	v_lshlrev_b32_e32 v3, 3, v4
	s_mov_b32 s2, exec_lo
	s_clause 0x1
	global_load_b32 v4, v3, s[30:31]
	global_load_b32 v3, v3, s[30:31] offset:8
	s_wait_loadcnt 0x1
	v_subrev_nc_u32_e32 v5, s34, v4
	s_wait_loadcnt 0x0
	v_subrev_nc_u32_e32 v4, s34, v3
	v_mov_b32_e32 v3, 0
	s_delay_alu instid0(VALU_DEP_3) | instskip(NEXT) | instid1(VALU_DEP_1)
	v_add_nc_u32_e32 v5, v0, v5
	v_cmpx_lt_i32_e64 v5, v4
	s_cbranch_execz .LBB67_96
; %bb.93:
	v_dual_mov_b32 v3, 0 :: v_dual_lshlrev_b32 v6, 2, v5
	s_lshl_b32 s4, s28, 2
	s_mov_b32 s3, 0
.LBB67_94:                              ; =>This Inner Loop Header: Depth=1
	ds_load_b32 v8, v6
	v_add_nc_u32_e32 v5, s28, v5
	s_wait_alu 0xfffe
	v_add_nc_u32_e32 v6, s4, v6
	s_delay_alu instid0(VALU_DEP_2)
	v_cmp_ge_i32_e64 s0, v5, v4
	s_or_b32 s3, s0, s3
	s_wait_dscnt 0x0
	v_add_f32_e32 v3, v3, v8
	s_wait_alu 0xfffe
	s_and_not1_b32 exec_lo, exec_lo, s3
	s_cbranch_execnz .LBB67_94
; %bb.95:
	s_or_b32 exec_lo, exec_lo, s3
.LBB67_96:
	s_wait_alu 0xfffe
	s_or_b32 exec_lo, exec_lo, s2
.LBB67_97:
	s_wait_alu 0xfffe
	s_or_b32 exec_lo, exec_lo, s1
	s_cmp_lt_u32 s28, 0x81
	s_wait_loadcnt 0x0
	s_wait_storecnt 0x0
	s_barrier_signal -1
	s_barrier_wait -1
	global_inv scope:SCOPE_SE
	ds_store_b32 v7, v3
	s_wait_loadcnt_dscnt 0x0
	s_barrier_signal -1
	s_barrier_wait -1
	global_inv scope:SCOPE_SE
	s_cbranch_scc1 .LBB67_99
; %bb.98:
	ds_load_b32 v4, v7 offset:512
	s_wait_loadcnt_dscnt 0x0
	s_barrier_signal -1
	s_barrier_wait -1
	global_inv scope:SCOPE_SE
	v_add_f32_e32 v3, v3, v4
	ds_store_b32 v7, v3
.LBB67_99:
	s_cmp_lt_u32 s28, 0x41
	s_wait_loadcnt_dscnt 0x0
	s_barrier_signal -1
	s_barrier_wait -1
	global_inv scope:SCOPE_SE
	s_cbranch_scc1 .LBB67_101
; %bb.100:
	ds_load_b32 v4, v7 offset:256
	s_wait_loadcnt_dscnt 0x0
	s_barrier_signal -1
	s_barrier_wait -1
	global_inv scope:SCOPE_SE
	v_add_f32_e32 v3, v3, v4
	ds_store_b32 v7, v3
.LBB67_101:
	s_cmp_lt_u32 s28, 33
	;; [unrolled: 15-line block ×5, first 2 shown]
	s_wait_loadcnt_dscnt 0x0
	s_barrier_signal -1
	s_barrier_wait -1
	global_inv scope:SCOPE_SE
	s_cbranch_scc1 .LBB67_109
; %bb.108:
	ds_load_b32 v4, v7 offset:16
	s_wait_loadcnt_dscnt 0x0
	s_barrier_signal -1
	s_barrier_wait -1
	global_inv scope:SCOPE_SE
	v_add_f32_e32 v3, v3, v4
	ds_store_b32 v7, v3
.LBB67_109:
	s_cmp_eq_u32 s28, 2
	s_wait_loadcnt_dscnt 0x0
	s_barrier_signal -1
	s_barrier_wait -1
	global_inv scope:SCOPE_SE
	s_cbranch_scc1 .LBB67_111
; %bb.110:
	ds_load_b32 v4, v7 offset:8
	s_wait_loadcnt_dscnt 0x0
	s_barrier_signal -1
	s_barrier_wait -1
	global_inv scope:SCOPE_SE
	v_add_f32_e32 v3, v3, v4
	ds_store_b32 v7, v3
.LBB67_111:
	s_wait_loadcnt_dscnt 0x0
	s_barrier_signal -1
	s_barrier_wait -1
	global_inv scope:SCOPE_SE
	ds_load_b32 v4, v7 offset:4
	v_cmp_eq_u32_e64 s0, 0, v0
	s_xor_b32 s1, vcc_lo, -1
	s_wait_loadcnt_dscnt 0x0
	s_barrier_signal -1
	s_barrier_wait -1
	s_wait_alu 0xfffe
	s_and_b32 s0, s0, s1
	global_inv scope:SCOPE_SE
	v_add_f32_e32 v3, v3, v4
	ds_store_b32 v7, v3
	s_wait_alu 0xfffe
	s_and_saveexec_b32 s1, s0
	s_cbranch_execz .LBB67_115
; %bb.112:
	v_lshlrev_b64_e32 v[0:1], 2, v[1:2]
	s_cmp_eq_f32 s24, 0
	s_cbranch_scc1 .LBB67_114
; %bb.113:
	s_delay_alu instid0(VALU_DEP_1) | instskip(SKIP_1) | instid1(VALU_DEP_2)
	v_add_co_u32 v4, vcc_lo, s26, v0
	s_wait_alu 0xfffd
	v_add_co_ci_u32_e64 v5, null, s27, v1, vcc_lo
	global_load_b32 v2, v[4:5], off
	s_wait_loadcnt 0x0
	v_fmac_f32_e32 v3, s24, v2
.LBB67_114:
	s_delay_alu instid0(VALU_DEP_1) | instskip(SKIP_1) | instid1(VALU_DEP_2)
	v_add_co_u32 v0, vcc_lo, s26, v0
	s_wait_alu 0xfffd
	v_add_co_ci_u32_e64 v1, null, s27, v1, vcc_lo
	global_store_b32 v[0:1], v3, off
.LBB67_115:
	s_endpgm
	.section	.rodata,"a",@progbits
	.p2align	6, 0x0
	.amdhsa_kernel _ZN9rocsparseL22csrmvn_adaptive_kernelIliDF16_DF16_ffEEvbT_PKS1_PjPKT0_NS_24const_host_device_scalarIT4_EES3_S7_PKT1_PKT2_SA_PT3_21rocsparse_index_base_b
		.amdhsa_group_segment_fixed_size 4096
		.amdhsa_private_segment_fixed_size 0
		.amdhsa_kernarg_size 104
		.amdhsa_user_sgpr_count 2
		.amdhsa_user_sgpr_dispatch_ptr 0
		.amdhsa_user_sgpr_queue_ptr 0
		.amdhsa_user_sgpr_kernarg_segment_ptr 1
		.amdhsa_user_sgpr_dispatch_id 0
		.amdhsa_user_sgpr_private_segment_size 0
		.amdhsa_wavefront_size32 1
		.amdhsa_uses_dynamic_stack 0
		.amdhsa_enable_private_segment 0
		.amdhsa_system_sgpr_workgroup_id_x 1
		.amdhsa_system_sgpr_workgroup_id_y 0
		.amdhsa_system_sgpr_workgroup_id_z 0
		.amdhsa_system_sgpr_workgroup_info 0
		.amdhsa_system_vgpr_workitem_id 0
		.amdhsa_next_free_vgpr 16
		.amdhsa_next_free_sgpr 52
		.amdhsa_reserve_vcc 1
		.amdhsa_float_round_mode_32 0
		.amdhsa_float_round_mode_16_64 0
		.amdhsa_float_denorm_mode_32 3
		.amdhsa_float_denorm_mode_16_64 3
		.amdhsa_fp16_overflow 0
		.amdhsa_workgroup_processor_mode 1
		.amdhsa_memory_ordered 1
		.amdhsa_forward_progress 1
		.amdhsa_inst_pref_size 42
		.amdhsa_round_robin_scheduling 0
		.amdhsa_exception_fp_ieee_invalid_op 0
		.amdhsa_exception_fp_denorm_src 0
		.amdhsa_exception_fp_ieee_div_zero 0
		.amdhsa_exception_fp_ieee_overflow 0
		.amdhsa_exception_fp_ieee_underflow 0
		.amdhsa_exception_fp_ieee_inexact 0
		.amdhsa_exception_int_div_zero 0
	.end_amdhsa_kernel
	.section	.text._ZN9rocsparseL22csrmvn_adaptive_kernelIliDF16_DF16_ffEEvbT_PKS1_PjPKT0_NS_24const_host_device_scalarIT4_EES3_S7_PKT1_PKT2_SA_PT3_21rocsparse_index_base_b,"axG",@progbits,_ZN9rocsparseL22csrmvn_adaptive_kernelIliDF16_DF16_ffEEvbT_PKS1_PjPKT0_NS_24const_host_device_scalarIT4_EES3_S7_PKT1_PKT2_SA_PT3_21rocsparse_index_base_b,comdat
.Lfunc_end67:
	.size	_ZN9rocsparseL22csrmvn_adaptive_kernelIliDF16_DF16_ffEEvbT_PKS1_PjPKT0_NS_24const_host_device_scalarIT4_EES3_S7_PKT1_PKT2_SA_PT3_21rocsparse_index_base_b, .Lfunc_end67-_ZN9rocsparseL22csrmvn_adaptive_kernelIliDF16_DF16_ffEEvbT_PKS1_PjPKT0_NS_24const_host_device_scalarIT4_EES3_S7_PKT1_PKT2_SA_PT3_21rocsparse_index_base_b
                                        ; -- End function
	.set _ZN9rocsparseL22csrmvn_adaptive_kernelIliDF16_DF16_ffEEvbT_PKS1_PjPKT0_NS_24const_host_device_scalarIT4_EES3_S7_PKT1_PKT2_SA_PT3_21rocsparse_index_base_b.num_vgpr, 16
	.set _ZN9rocsparseL22csrmvn_adaptive_kernelIliDF16_DF16_ffEEvbT_PKS1_PjPKT0_NS_24const_host_device_scalarIT4_EES3_S7_PKT1_PKT2_SA_PT3_21rocsparse_index_base_b.num_agpr, 0
	.set _ZN9rocsparseL22csrmvn_adaptive_kernelIliDF16_DF16_ffEEvbT_PKS1_PjPKT0_NS_24const_host_device_scalarIT4_EES3_S7_PKT1_PKT2_SA_PT3_21rocsparse_index_base_b.numbered_sgpr, 52
	.set _ZN9rocsparseL22csrmvn_adaptive_kernelIliDF16_DF16_ffEEvbT_PKS1_PjPKT0_NS_24const_host_device_scalarIT4_EES3_S7_PKT1_PKT2_SA_PT3_21rocsparse_index_base_b.num_named_barrier, 0
	.set _ZN9rocsparseL22csrmvn_adaptive_kernelIliDF16_DF16_ffEEvbT_PKS1_PjPKT0_NS_24const_host_device_scalarIT4_EES3_S7_PKT1_PKT2_SA_PT3_21rocsparse_index_base_b.private_seg_size, 0
	.set _ZN9rocsparseL22csrmvn_adaptive_kernelIliDF16_DF16_ffEEvbT_PKS1_PjPKT0_NS_24const_host_device_scalarIT4_EES3_S7_PKT1_PKT2_SA_PT3_21rocsparse_index_base_b.uses_vcc, 1
	.set _ZN9rocsparseL22csrmvn_adaptive_kernelIliDF16_DF16_ffEEvbT_PKS1_PjPKT0_NS_24const_host_device_scalarIT4_EES3_S7_PKT1_PKT2_SA_PT3_21rocsparse_index_base_b.uses_flat_scratch, 0
	.set _ZN9rocsparseL22csrmvn_adaptive_kernelIliDF16_DF16_ffEEvbT_PKS1_PjPKT0_NS_24const_host_device_scalarIT4_EES3_S7_PKT1_PKT2_SA_PT3_21rocsparse_index_base_b.has_dyn_sized_stack, 0
	.set _ZN9rocsparseL22csrmvn_adaptive_kernelIliDF16_DF16_ffEEvbT_PKS1_PjPKT0_NS_24const_host_device_scalarIT4_EES3_S7_PKT1_PKT2_SA_PT3_21rocsparse_index_base_b.has_recursion, 0
	.set _ZN9rocsparseL22csrmvn_adaptive_kernelIliDF16_DF16_ffEEvbT_PKS1_PjPKT0_NS_24const_host_device_scalarIT4_EES3_S7_PKT1_PKT2_SA_PT3_21rocsparse_index_base_b.has_indirect_call, 0
	.section	.AMDGPU.csdata,"",@progbits
; Kernel info:
; codeLenInByte = 5324
; TotalNumSgprs: 54
; NumVgprs: 16
; ScratchSize: 0
; MemoryBound: 0
; FloatMode: 240
; IeeeMode: 1
; LDSByteSize: 4096 bytes/workgroup (compile time only)
; SGPRBlocks: 0
; VGPRBlocks: 1
; NumSGPRsForWavesPerEU: 54
; NumVGPRsForWavesPerEU: 16
; Occupancy: 16
; WaveLimiterHint : 1
; COMPUTE_PGM_RSRC2:SCRATCH_EN: 0
; COMPUTE_PGM_RSRC2:USER_SGPR: 2
; COMPUTE_PGM_RSRC2:TRAP_HANDLER: 0
; COMPUTE_PGM_RSRC2:TGID_X_EN: 1
; COMPUTE_PGM_RSRC2:TGID_Y_EN: 0
; COMPUTE_PGM_RSRC2:TGID_Z_EN: 0
; COMPUTE_PGM_RSRC2:TIDIG_COMP_CNT: 0
	.section	.text._ZN9rocsparseL27csrmvn_symm_adaptive_kernelIliDF16_DF16_ffEEvbT_S1_PKS1_NS_24const_host_device_scalarIT4_EES3_PKT0_PKT1_PKT2_S6_PT3_21rocsparse_index_base_b,"axG",@progbits,_ZN9rocsparseL27csrmvn_symm_adaptive_kernelIliDF16_DF16_ffEEvbT_S1_PKS1_NS_24const_host_device_scalarIT4_EES3_PKT0_PKT1_PKT2_S6_PT3_21rocsparse_index_base_b,comdat
	.globl	_ZN9rocsparseL27csrmvn_symm_adaptive_kernelIliDF16_DF16_ffEEvbT_S1_PKS1_NS_24const_host_device_scalarIT4_EES3_PKT0_PKT1_PKT2_S6_PT3_21rocsparse_index_base_b ; -- Begin function _ZN9rocsparseL27csrmvn_symm_adaptive_kernelIliDF16_DF16_ffEEvbT_S1_PKS1_NS_24const_host_device_scalarIT4_EES3_PKT0_PKT1_PKT2_S6_PT3_21rocsparse_index_base_b
	.p2align	8
	.type	_ZN9rocsparseL27csrmvn_symm_adaptive_kernelIliDF16_DF16_ffEEvbT_S1_PKS1_NS_24const_host_device_scalarIT4_EES3_PKT0_PKT1_PKT2_S6_PT3_21rocsparse_index_base_b,@function
_ZN9rocsparseL27csrmvn_symm_adaptive_kernelIliDF16_DF16_ffEEvbT_S1_PKS1_NS_24const_host_device_scalarIT4_EES3_PKT0_PKT1_PKT2_S6_PT3_21rocsparse_index_base_b: ; @_ZN9rocsparseL27csrmvn_symm_adaptive_kernelIliDF16_DF16_ffEEvbT_S1_PKS1_NS_24const_host_device_scalarIT4_EES3_PKT0_PKT1_PKT2_S6_PT3_21rocsparse_index_base_b
; %bb.0:
	s_clause 0x2
	s_load_b64 s[24:25], s[0:1], 0x58
	s_load_b64 s[30:31], s[0:1], 0x20
	;; [unrolled: 1-line block ×3, first 2 shown]
	s_wait_kmcnt 0x0
	s_bitcmp1_b32 s25, 0
	s_cselect_b32 s4, -1, 0
	s_delay_alu instid0(SALU_CYCLE_1)
	s_and_b32 vcc_lo, exec_lo, s4
	s_xor_b32 s4, s4, -1
	s_cbranch_vccnz .LBB68_2
; %bb.1:
	s_load_b32 s30, s[30:31], 0x0
.LBB68_2:
	s_and_not1_b32 vcc_lo, exec_lo, s4
	s_cbranch_vccnz .LBB68_4
; %bb.3:
	s_load_b32 s2, s[2:3], 0x0
.LBB68_4:
	s_wait_kmcnt 0x0
	s_cmp_neq_f32 s30, 0
	s_cselect_b32 s3, -1, 0
	s_cmp_neq_f32 s2, 1.0
	s_cselect_b32 s2, -1, 0
	s_delay_alu instid0(SALU_CYCLE_1) | instskip(NEXT) | instid1(SALU_CYCLE_1)
	s_or_b32 s2, s3, s2
	s_and_not1_b32 vcc_lo, exec_lo, s2
	s_cbranch_vccnz .LBB68_137
; %bb.5:
	s_load_b64 s[4:5], s[0:1], 0x18
	s_mov_b32 s2, ttmp9
	s_ashr_i32 s3, ttmp9, 31
	v_dual_mov_b32 v1, 0 :: v_dual_lshlrev_b32 v16, 2, v0
	s_lshl_b64 s[2:3], s[2:3], 3
	ds_store_2addr_stride64_b32 v16, v1, v1 offset1:4
	ds_store_2addr_stride64_b32 v16, v1, v1 offset0:8 offset1:12
	s_wait_dscnt 0x0
	s_barrier_signal -1
	s_barrier_wait -1
	global_inv scope:SCOPE_SE
	s_wait_kmcnt 0x0
	s_add_nc_u64 s[2:3], s[4:5], s[2:3]
	s_load_b128 s[16:19], s[2:3], 0x0
	s_clause 0x1
	s_load_b256 s[8:15], s[0:1], 0x28
	s_load_b64 s[20:21], s[0:1], 0x50
	s_wait_kmcnt 0x0
	s_sub_nc_u64 s[22:23], s[18:19], s[16:17]
	s_delay_alu instid0(SALU_CYCLE_1)
	v_cmp_gt_i64_e64 s2, s[22:23], 2
	s_and_b32 vcc_lo, exec_lo, s2
	s_mov_b32 s2, -1
	s_cbranch_vccnz .LBB68_36
; %bb.6:
	v_cmp_le_i64_e64 s2, s[18:19], s[16:17]
	v_sub_co_u32 v7, s3, v0, s24
	s_delay_alu instid0(VALU_DEP_1)
	v_sub_co_ci_u32_e64 v8, null, 0, 0, s3
	s_mov_b32 s25, 0
	s_and_b32 vcc_lo, exec_lo, s2
	s_cbranch_vccnz .LBB68_26
; %bb.7:
	v_cmp_gt_u32_e64 s2, 0x100, v0
	v_cmp_gt_u32_e64 s3, 64, v0
	;; [unrolled: 1-line block ×4, first 2 shown]
	v_cmp_eq_u32_e64 s6, 0, v0
	v_mov_b32_e32 v9, 0
	s_mov_b64 s[26:27], s[16:17]
	s_branch .LBB68_9
.LBB68_8:                               ;   in Loop: Header=BB68_9 Depth=1
	s_wait_alu 0xfffe
	s_or_b32 exec_lo, exec_lo, s7
	s_add_nc_u64 s[26:27], s[26:27], 1
	s_wait_alu 0xfffe
	v_cmp_ge_i64_e64 s7, s[26:27], s[18:19]
	s_and_b32 vcc_lo, exec_lo, s7
	s_wait_alu 0xfffe
	s_cbranch_vccnz .LBB68_26
.LBB68_9:                               ; =>This Loop Header: Depth=1
                                        ;     Child Loop BB68_11 Depth 2
	s_lshl_b64 s[28:29], s[26:27], 3
	v_mov_b32_e32 v10, 0
	s_wait_alu 0xfffe
	s_add_nc_u64 s[28:29], s[8:9], s[28:29]
	s_mov_b32 s31, exec_lo
	s_load_b128 s[36:39], s[28:29], 0x0
	s_wait_kmcnt 0x0
	v_add_co_u32 v1, vcc_lo, s36, v7
	s_wait_alu 0xfffd
	v_add_co_ci_u32_e64 v2, null, s37, v8, vcc_lo
	s_sub_nc_u64 s[28:29], s[38:39], s[24:25]
	s_wait_alu 0xfffe
	v_cmpx_gt_i64_e64 s[28:29], v[1:2]
	s_cbranch_execz .LBB68_13
; %bb.10:                               ;   in Loop: Header=BB68_9 Depth=1
	v_lshlrev_b64_e32 v[3:4], 2, v[1:2]
	v_lshlrev_b64_e32 v[5:6], 1, v[1:2]
	v_mov_b32_e32 v10, 0
	s_mov_b32 s33, 0
	s_delay_alu instid0(VALU_DEP_3)
	v_add_co_u32 v3, vcc_lo, s10, v3
	s_wait_alu 0xfffd
	v_add_co_ci_u32_e64 v4, null, s11, v4, vcc_lo
	v_add_co_u32 v5, vcc_lo, s12, v5
	s_wait_alu 0xfffd
	v_add_co_ci_u32_e64 v6, null, s13, v6, vcc_lo
.LBB68_11:                              ;   Parent Loop BB68_9 Depth=1
                                        ; =>  This Inner Loop Header: Depth=2
	global_load_b32 v11, v[3:4], off
	s_wait_loadcnt 0x0
	v_subrev_nc_u32_e32 v11, s24, v11
	s_delay_alu instid0(VALU_DEP_1) | instskip(NEXT) | instid1(VALU_DEP_1)
	v_ashrrev_i32_e32 v12, 31, v11
	v_lshlrev_b64_e32 v[11:12], 1, v[11:12]
	s_delay_alu instid0(VALU_DEP_1) | instskip(SKIP_1) | instid1(VALU_DEP_2)
	v_add_co_u32 v11, vcc_lo, s14, v11
	s_wait_alu 0xfffd
	v_add_co_ci_u32_e64 v12, null, s15, v12, vcc_lo
	v_add_co_u32 v1, vcc_lo, 0x100, v1
	global_load_u16 v13, v[5:6], off
	global_load_u16 v11, v[11:12], off
	s_wait_alu 0xfffd
	v_add_co_ci_u32_e64 v2, null, 0, v2, vcc_lo
	v_add_co_u32 v3, vcc_lo, 0x400, v3
	s_wait_alu 0xfffd
	v_add_co_ci_u32_e64 v4, null, 0, v4, vcc_lo
	s_delay_alu instid0(VALU_DEP_3)
	v_cmp_le_i64_e32 vcc_lo, s[28:29], v[1:2]
	v_add_co_u32 v5, s7, 0x200, v5
	s_wait_alu 0xf1ff
	v_add_co_ci_u32_e64 v6, null, 0, v6, s7
	s_or_b32 s33, vcc_lo, s33
	s_wait_loadcnt 0x0
	v_fma_mix_f32 v10, v13, v11, v10 op_sel_hi:[1,1,0]
	s_and_not1_b32 exec_lo, exec_lo, s33
	s_cbranch_execnz .LBB68_11
; %bb.12:                               ;   in Loop: Header=BB68_9 Depth=1
	s_or_b32 exec_lo, exec_lo, s33
.LBB68_13:                              ;   in Loop: Header=BB68_9 Depth=1
	s_delay_alu instid0(SALU_CYCLE_1)
	s_or_b32 exec_lo, exec_lo, s31
	ds_store_b32 v16, v10
	s_wait_loadcnt_dscnt 0x0
	s_barrier_signal -1
	s_barrier_wait -1
	global_inv scope:SCOPE_SE
	s_and_saveexec_b32 s7, s2
	s_cbranch_execz .LBB68_15
; %bb.14:                               ;   in Loop: Header=BB68_9 Depth=1
	ds_load_2addr_stride64_b32 v[1:2], v16 offset1:4
	ds_load_2addr_stride64_b32 v[3:4], v16 offset0:8 offset1:12
	s_wait_dscnt 0x0
	v_add_f32_e32 v2, v2, v3
	s_delay_alu instid0(VALU_DEP_1) | instskip(NEXT) | instid1(VALU_DEP_1)
	v_add_f32_e32 v2, v2, v4
	v_add_f32_e32 v1, v1, v2
	ds_store_b32 v16, v1
.LBB68_15:                              ;   in Loop: Header=BB68_9 Depth=1
	s_wait_alu 0xfffe
	s_or_b32 exec_lo, exec_lo, s7
	s_wait_loadcnt_dscnt 0x0
	s_barrier_signal -1
	s_barrier_wait -1
	global_inv scope:SCOPE_SE
	s_and_saveexec_b32 s7, s3
	s_cbranch_execz .LBB68_17
; %bb.16:                               ;   in Loop: Header=BB68_9 Depth=1
	ds_load_2addr_stride64_b32 v[1:2], v16 offset1:1
	ds_load_2addr_stride64_b32 v[3:4], v16 offset0:2 offset1:3
	s_wait_dscnt 0x0
	v_add_f32_e32 v2, v2, v3
	s_delay_alu instid0(VALU_DEP_1) | instskip(NEXT) | instid1(VALU_DEP_1)
	v_add_f32_e32 v2, v2, v4
	v_add_f32_e32 v1, v1, v2
	ds_store_b32 v16, v1
.LBB68_17:                              ;   in Loop: Header=BB68_9 Depth=1
	s_wait_alu 0xfffe
	s_or_b32 exec_lo, exec_lo, s7
	s_wait_loadcnt_dscnt 0x0
	s_barrier_signal -1
	s_barrier_wait -1
	global_inv scope:SCOPE_SE
	s_and_saveexec_b32 s7, s4
	s_cbranch_execz .LBB68_19
; %bb.18:                               ;   in Loop: Header=BB68_9 Depth=1
	ds_load_2addr_b32 v[1:2], v16 offset1:16
	ds_load_2addr_b32 v[3:4], v16 offset0:32 offset1:48
	s_wait_dscnt 0x0
	v_add_f32_e32 v2, v2, v3
	s_delay_alu instid0(VALU_DEP_1) | instskip(NEXT) | instid1(VALU_DEP_1)
	v_add_f32_e32 v2, v2, v4
	v_add_f32_e32 v1, v1, v2
	ds_store_b32 v16, v1
.LBB68_19:                              ;   in Loop: Header=BB68_9 Depth=1
	s_wait_alu 0xfffe
	s_or_b32 exec_lo, exec_lo, s7
	s_wait_loadcnt_dscnt 0x0
	s_barrier_signal -1
	s_barrier_wait -1
	global_inv scope:SCOPE_SE
	s_and_saveexec_b32 s7, s5
	s_cbranch_execz .LBB68_21
; %bb.20:                               ;   in Loop: Header=BB68_9 Depth=1
	ds_load_2addr_b32 v[1:2], v16 offset1:4
	ds_load_2addr_b32 v[3:4], v16 offset0:8 offset1:12
	s_wait_dscnt 0x0
	v_add_f32_e32 v2, v2, v3
	s_delay_alu instid0(VALU_DEP_1) | instskip(NEXT) | instid1(VALU_DEP_1)
	v_add_f32_e32 v2, v2, v4
	v_add_f32_e32 v1, v1, v2
	ds_store_b32 v16, v1
.LBB68_21:                              ;   in Loop: Header=BB68_9 Depth=1
	s_wait_alu 0xfffe
	s_or_b32 exec_lo, exec_lo, s7
	s_wait_loadcnt_dscnt 0x0
	s_barrier_signal -1
	s_barrier_wait -1
	global_inv scope:SCOPE_SE
	s_and_saveexec_b32 s7, s6
	s_cbranch_execz .LBB68_23
; %bb.22:                               ;   in Loop: Header=BB68_9 Depth=1
	ds_load_2addr_b32 v[1:2], v9 offset0:1 offset1:2
	ds_load_b32 v3, v9 offset:12
	ds_load_b32 v4, v16
	s_wait_dscnt 0x2
	v_add_f32_e32 v1, v1, v2
	s_wait_dscnt 0x1
	s_delay_alu instid0(VALU_DEP_1) | instskip(SKIP_1) | instid1(VALU_DEP_1)
	v_add_f32_e32 v1, v1, v3
	s_wait_dscnt 0x0
	v_add_f32_e32 v1, v4, v1
	ds_store_b32 v16, v1
.LBB68_23:                              ;   in Loop: Header=BB68_9 Depth=1
	s_wait_alu 0xfffe
	s_or_b32 exec_lo, exec_lo, s7
	s_wait_loadcnt_dscnt 0x0
	s_barrier_signal -1
	s_barrier_wait -1
	global_inv scope:SCOPE_SE
	s_and_saveexec_b32 s7, s6
	s_cbranch_execz .LBB68_8
; %bb.24:                               ;   in Loop: Header=BB68_9 Depth=1
	s_mov_b32 s28, exec_lo
	s_wait_alu 0xfffe
	v_mbcnt_lo_u32_b32 v1, s28, 0
	s_delay_alu instid0(VALU_DEP_1)
	v_cmp_eq_u32_e32 vcc_lo, 0, v1
	s_and_b32 s29, exec_lo, vcc_lo
	s_wait_alu 0xfffe
	s_mov_b32 exec_lo, s29
	s_cbranch_execz .LBB68_8
; %bb.25:                               ;   in Loop: Header=BB68_9 Depth=1
	ds_load_b32 v1, v9
	s_bcnt1_i32_b32 s28, s28
	s_wait_alu 0xfffe
	v_cvt_f32_ubyte0_e32 v2, s28
	s_lshl_b64 s[28:29], s[26:27], 2
	s_wait_alu 0xfffe
	s_add_nc_u64 s[28:29], s[20:21], s[28:29]
	s_wait_dscnt 0x0
	v_mul_f32_e32 v1, s30, v1
	s_delay_alu instid0(VALU_DEP_1)
	v_mul_f32_e32 v1, v1, v2
	global_atomic_add_f32 v9, v1, s[28:29] scope:SCOPE_DEV
	s_branch .LBB68_8
.LBB68_26:
	s_lshl_b64 s[2:3], s[16:17], 3
	s_lshl_b64 s[4:5], s[18:19], 3
	s_wait_alu 0xfffe
	s_add_nc_u64 s[2:3], s[8:9], s[2:3]
	s_add_nc_u64 s[4:5], s[8:9], s[4:5]
	s_clause 0x1
	s_load_b64 s[2:3], s[2:3], 0x0
	s_load_b64 s[4:5], s[4:5], 0x0
	s_wait_kmcnt 0x0
	v_add_co_u32 v1, vcc_lo, s2, v7
	s_wait_alu 0xfffd
	v_add_co_ci_u32_e64 v2, null, s3, v8, vcc_lo
	s_sub_nc_u64 s[4:5], s[4:5], s[24:25]
	s_mov_b32 s3, exec_lo
	v_cmpx_gt_i64_e64 s[4:5], v[1:2]
	s_cbranch_execz .LBB68_35
; %bb.27:
	s_add_nc_u64 s[6:7], s[18:19], -1
	s_add_nc_u64 s[26:27], s[18:19], -2
	s_wait_alu 0xfffe
	v_cmp_lt_i64_e64 s2, s[16:17], s[6:7]
	s_cmp_lg_u64 s[16:17], s[26:27]
	s_mov_b32 s26, 0
	s_cselect_b32 s25, -1, 0
	s_wait_alu 0xfffe
	s_and_b32 s25, s2, s25
	s_branch .LBB68_29
.LBB68_28:                              ;   in Loop: Header=BB68_29 Depth=1
	s_wait_alu 0xfffe
	s_or_b32 exec_lo, exec_lo, s2
	v_add_co_u32 v1, vcc_lo, 0x100, v1
	s_wait_alu 0xfffd
	v_add_co_ci_u32_e64 v2, null, 0, v2, vcc_lo
	s_delay_alu instid0(VALU_DEP_1)
	v_cmp_le_i64_e32 vcc_lo, s[4:5], v[1:2]
	s_or_b32 s26, vcc_lo, s26
	s_wait_alu 0xfffe
	s_and_not1_b32 exec_lo, exec_lo, s26
	s_cbranch_execz .LBB68_35
.LBB68_29:                              ; =>This Loop Header: Depth=1
                                        ;     Child Loop BB68_31 Depth 2
	v_dual_mov_b32 v3, s16 :: v_dual_mov_b32 v4, s17
	v_dual_mov_b32 v5, s6 :: v_dual_mov_b32 v6, s7
	s_wait_alu 0xfffe
	s_and_not1_b32 vcc_lo, exec_lo, s25
	s_wait_alu 0xfffe
	s_cbranch_vccnz .LBB68_33
; %bb.30:                               ;   in Loop: Header=BB68_29 Depth=1
	v_dual_mov_b32 v3, s16 :: v_dual_mov_b32 v4, s17
	v_dual_mov_b32 v5, s6 :: v_dual_mov_b32 v6, s7
	s_mov_b32 s27, 0
.LBB68_31:                              ;   Parent Loop BB68_29 Depth=1
                                        ; =>  This Inner Loop Header: Depth=2
	s_delay_alu instid0(VALU_DEP_1) | instskip(SKIP_1) | instid1(VALU_DEP_2)
	v_add_co_u32 v7, vcc_lo, v5, v3
	s_wait_alu 0xfffd
	v_add_co_ci_u32_e64 v8, null, v6, v4, vcc_lo
	s_delay_alu instid0(VALU_DEP_1) | instskip(NEXT) | instid1(VALU_DEP_1)
	v_lshrrev_b32_e32 v9, 31, v8
	v_add_co_u32 v7, vcc_lo, v7, v9
	s_wait_alu 0xfffd
	v_add_co_ci_u32_e64 v8, null, 0, v8, vcc_lo
	s_delay_alu instid0(VALU_DEP_1) | instskip(NEXT) | instid1(VALU_DEP_1)
	v_ashrrev_i64 v[7:8], 1, v[7:8]
	v_lshlrev_b64_e32 v[9:10], 3, v[7:8]
	s_delay_alu instid0(VALU_DEP_1) | instskip(SKIP_1) | instid1(VALU_DEP_2)
	v_add_co_u32 v9, vcc_lo, s8, v9
	s_wait_alu 0xfffd
	v_add_co_ci_u32_e64 v10, null, s9, v10, vcc_lo
	global_load_b64 v[9:10], v[9:10], off
	s_wait_loadcnt 0x0
	v_sub_co_u32 v9, vcc_lo, v9, s24
	s_wait_alu 0xfffd
	v_subrev_co_ci_u32_e64 v10, null, 0, v10, vcc_lo
	s_delay_alu instid0(VALU_DEP_1) | instskip(SKIP_3) | instid1(VALU_DEP_2)
	v_cmp_lt_i64_e32 vcc_lo, v[1:2], v[9:10]
	s_wait_alu 0xfffd
	v_dual_cndmask_b32 v6, v6, v8 :: v_dual_cndmask_b32 v5, v5, v7
	v_dual_cndmask_b32 v4, v8, v4 :: v_dual_cndmask_b32 v3, v7, v3
	v_add_co_u32 v7, vcc_lo, v5, -1
	s_wait_alu 0xfffd
	s_delay_alu instid0(VALU_DEP_3) | instskip(NEXT) | instid1(VALU_DEP_3)
	v_add_co_ci_u32_e64 v8, null, -1, v6, vcc_lo
	v_cmp_ge_i64_e32 vcc_lo, v[3:4], v[5:6]
	s_delay_alu instid0(VALU_DEP_2)
	v_cmp_eq_u64_e64 s2, v[3:4], v[7:8]
	s_or_b32 s2, vcc_lo, s2
	s_wait_alu 0xfffe
	s_and_b32 s2, exec_lo, s2
	s_wait_alu 0xfffe
	s_or_b32 s27, s2, s27
	s_wait_alu 0xfffe
	s_and_not1_b32 exec_lo, exec_lo, s27
	s_cbranch_execnz .LBB68_31
; %bb.32:                               ;   in Loop: Header=BB68_29 Depth=1
	s_or_b32 exec_lo, exec_lo, s27
.LBB68_33:                              ;   in Loop: Header=BB68_29 Depth=1
	v_lshlrev_b64_e32 v[7:8], 3, v[5:6]
	v_lshlrev_b64_e32 v[9:10], 2, v[1:2]
	s_mov_b32 s2, exec_lo
	s_delay_alu instid0(VALU_DEP_2) | instskip(SKIP_1) | instid1(VALU_DEP_3)
	v_add_co_u32 v7, vcc_lo, s8, v7
	s_wait_alu 0xfffd
	v_add_co_ci_u32_e64 v8, null, s9, v8, vcc_lo
	s_delay_alu instid0(VALU_DEP_3)
	v_add_co_u32 v9, vcc_lo, s10, v9
	s_wait_alu 0xfffd
	v_add_co_ci_u32_e64 v10, null, s11, v10, vcc_lo
	global_load_b64 v[7:8], v[7:8], off
	global_load_b32 v9, v[9:10], off
	s_wait_loadcnt 0x1
	v_sub_co_u32 v7, vcc_lo, v7, s24
	s_wait_alu 0xfffd
	v_subrev_co_ci_u32_e64 v8, null, 0, v8, vcc_lo
	s_delay_alu instid0(VALU_DEP_1) | instskip(SKIP_2) | instid1(VALU_DEP_1)
	v_cmp_lt_i64_e32 vcc_lo, v[1:2], v[7:8]
	s_wait_loadcnt 0x0
	v_subrev_nc_u32_e32 v7, s24, v9
	v_ashrrev_i32_e32 v8, 31, v7
	s_wait_alu 0xfffd
	v_dual_cndmask_b32 v4, v6, v4 :: v_dual_cndmask_b32 v3, v5, v3
	s_delay_alu instid0(VALU_DEP_1)
	v_cmpx_ne_u64_e64 v[3:4], v[7:8]
	s_cbranch_execz .LBB68_28
; %bb.34:                               ;   in Loop: Header=BB68_29 Depth=1
	v_lshlrev_b64_e32 v[5:6], 1, v[1:2]
	v_lshlrev_b64_e32 v[3:4], 1, v[3:4]
	s_delay_alu instid0(VALU_DEP_2) | instskip(SKIP_1) | instid1(VALU_DEP_3)
	v_add_co_u32 v5, vcc_lo, s12, v5
	s_wait_alu 0xfffd
	v_add_co_ci_u32_e64 v6, null, s13, v6, vcc_lo
	s_delay_alu instid0(VALU_DEP_3)
	v_add_co_u32 v3, vcc_lo, s14, v3
	s_wait_alu 0xfffd
	v_add_co_ci_u32_e64 v4, null, s15, v4, vcc_lo
	global_load_u16 v5, v[5:6], off
	global_load_u16 v6, v[3:4], off
	v_lshlrev_b64_e32 v[3:4], 2, v[7:8]
	s_delay_alu instid0(VALU_DEP_1) | instskip(SKIP_1) | instid1(VALU_DEP_2)
	v_add_co_u32 v3, vcc_lo, s20, v3
	s_wait_alu 0xfffd
	v_add_co_ci_u32_e64 v4, null, s21, v4, vcc_lo
	s_wait_loadcnt 0x1
	v_cvt_f32_f16_e32 v5, v5
	s_wait_loadcnt 0x0
	v_cvt_f32_f16_e32 v6, v6
	s_delay_alu instid0(VALU_DEP_2) | instskip(NEXT) | instid1(VALU_DEP_1)
	v_mul_f32_e32 v5, s30, v5
	v_mul_f32_e32 v5, v5, v6
	global_atomic_add_f32 v[3:4], v5, off scope:SCOPE_DEV
	s_branch .LBB68_28
.LBB68_35:
	s_wait_alu 0xfffe
	s_or_b32 exec_lo, exec_lo, s3
	s_mov_b32 s2, 0
.LBB68_36:
	s_wait_alu 0xfffe
	s_and_b32 vcc_lo, exec_lo, s2
	s_wait_alu 0xfffe
	s_cbranch_vccz .LBB68_137
; %bb.37:
	s_load_b32 s2, s[0:1], 0x6c
	s_mov_b32 s25, 0
	s_mov_b64 s[28:29], 0
	s_wait_alu 0xfffe
	s_mov_b32 s7, s25
	s_wait_kmcnt 0x0
	s_and_b32 s6, s2, 0xffff
	s_wait_alu 0xfffe
	v_cmp_lt_u64_e64 s2, s[6:7], s[22:23]
	s_and_b32 vcc_lo, exec_lo, s2
	s_wait_alu 0xfffe
	s_cbranch_vccnz .LBB68_39
; %bb.38:
	v_cvt_f32_u32_e32 v1, s22
	s_sub_co_i32 s3, 0, s22
	s_delay_alu instid0(VALU_DEP_1) | instskip(NEXT) | instid1(TRANS32_DEP_1)
	v_rcp_iflag_f32_e32 v1, v1
	v_mul_f32_e32 v1, 0x4f7ffffe, v1
	s_delay_alu instid0(VALU_DEP_1) | instskip(NEXT) | instid1(VALU_DEP_1)
	v_cvt_u32_f32_e32 v1, v1
	v_readfirstlane_b32 s2, v1
	s_wait_alu 0xfffe
	s_mul_i32 s3, s3, s2
	s_wait_alu 0xfffe
	s_mul_hi_u32 s3, s2, s3
	s_wait_alu 0xfffe
	s_add_co_i32 s2, s2, s3
	s_wait_alu 0xfffe
	s_mul_hi_u32 s2, s6, s2
	s_wait_alu 0xfffe
	s_mul_i32 s3, s2, s22
	s_add_co_i32 s4, s2, 1
	s_wait_alu 0xfffe
	s_sub_co_i32 s3, s6, s3
	s_wait_alu 0xfffe
	s_sub_co_i32 s5, s3, s22
	s_cmp_ge_u32 s3, s22
	s_cselect_b32 s2, s4, s2
	s_wait_alu 0xfffe
	s_cselect_b32 s3, s5, s3
	s_add_co_i32 s4, s2, 1
	s_wait_alu 0xfffe
	s_cmp_ge_u32 s3, s22
	s_cselect_b32 s28, s4, s2
.LBB68_39:
	s_lshl_b64 s[2:3], s[16:17], 3
	v_sub_co_u32 v1, s7, v0, s24
	s_wait_alu 0xfffe
	s_add_nc_u64 s[26:27], s[8:9], s[2:3]
	s_load_b64 s[4:5], s[26:27], 0x0
	s_load_b128 s[0:3], s[0:1], 0x8
	v_sub_co_ci_u32_e64 v2, null, 0, 0, s7
	s_wait_kmcnt 0x0
	v_add_co_u32 v4, vcc_lo, s4, v1
	s_wait_alu 0xfffd
	s_delay_alu instid0(VALU_DEP_2) | instskip(SKIP_1) | instid1(VALU_DEP_3)
	v_add_co_ci_u32_e64 v5, null, s5, v2, vcc_lo
	v_mov_b32_e32 v1, 0
	v_add_co_u32 v2, vcc_lo, 0x300, v4
	s_wait_alu 0xfffd
	s_delay_alu instid0(VALU_DEP_3) | instskip(NEXT) | instid1(VALU_DEP_1)
	v_add_co_ci_u32_e64 v3, null, 0, v5, vcc_lo
	v_cmp_le_i64_e32 vcc_lo, s[0:1], v[2:3]
	s_and_saveexec_b32 s0, vcc_lo
	s_wait_alu 0xfffe
	s_xor_b32 s7, exec_lo, s0
	s_cbranch_execz .LBB68_44
; %bb.40:
	s_lshl_b64 s[0:1], s[18:19], 3
	s_mov_b32 s29, exec_lo
	s_wait_alu 0xfffe
	s_add_nc_u64 s[0:1], s[8:9], s[0:1]
	s_load_b64 s[0:1], s[0:1], 0x0
	s_wait_kmcnt 0x0
	s_sub_nc_u64 s[34:35], s[0:1], s[4:5]
	s_delay_alu instid0(SALU_CYCLE_1)
	v_cmpx_gt_i64_e64 s[34:35], v[0:1]
	s_cbranch_execz .LBB68_43
; %bb.41:
	v_lshlrev_b64_e32 v[6:7], 1, v[4:5]
	v_dual_mov_b32 v10, v16 :: v_dual_mov_b32 v9, v1
	v_mov_b32_e32 v8, v0
	s_mov_b32 s31, 0
	s_delay_alu instid0(VALU_DEP_3)
	v_add_co_u32 v6, s0, s12, v6
	s_wait_alu 0xf1ff
	v_add_co_ci_u32_e64 v7, null, s13, v7, s0
.LBB68_42:                              ; =>This Inner Loop Header: Depth=1
	global_load_u16 v11, v[6:7], off
	v_add_co_u32 v8, s0, 0x100, v8
	s_wait_alu 0xf1ff
	v_add_co_ci_u32_e64 v9, null, 0, v9, s0
	v_add_co_u32 v6, s0, 0x200, v6
	s_wait_alu 0xf1ff
	v_add_co_ci_u32_e64 v7, null, 0, v7, s0
	s_delay_alu instid0(VALU_DEP_3) | instskip(SKIP_4) | instid1(VALU_DEP_1)
	v_cmp_le_i64_e64 s1, s[34:35], v[8:9]
	s_wait_alu 0xfffe
	s_or_b32 s31, s1, s31
	s_wait_loadcnt 0x0
	v_cvt_f32_f16_e32 v11, v11
	v_mul_f32_e32 v11, s30, v11
	ds_store_b32 v10, v11
	v_add_nc_u32_e32 v10, 0x400, v10
	s_wait_alu 0xfffe
	s_and_not1_b32 exec_lo, exec_lo, s31
	s_cbranch_execnz .LBB68_42
.LBB68_43:
	s_or_b32 exec_lo, exec_lo, s29
.LBB68_44:
	s_wait_alu 0xfffe
	s_and_not1_saveexec_b32 s1, s7
	s_cbranch_execz .LBB68_46
; %bb.45:
	v_lshlrev_b64_e32 v[6:7], 1, v[4:5]
	s_delay_alu instid0(VALU_DEP_1) | instskip(SKIP_1) | instid1(VALU_DEP_2)
	v_add_co_u32 v6, s0, s12, v6
	s_wait_alu 0xf1ff
	v_add_co_ci_u32_e64 v7, null, s13, v7, s0
	s_clause 0x3
	global_load_u16 v8, v[6:7], off
	global_load_u16 v9, v[6:7], off offset:512
	global_load_u16 v10, v[6:7], off offset:1024
	;; [unrolled: 1-line block ×3, first 2 shown]
	s_wait_loadcnt 0x3
	v_cvt_f32_f16_e32 v7, v8
	s_wait_loadcnt 0x2
	v_cvt_f32_f16_e32 v8, v9
	;; [unrolled: 2-line block ×4, first 2 shown]
	v_dual_mul_f32 v7, s30, v7 :: v_dual_mul_f32 v8, s30, v8
	s_delay_alu instid0(VALU_DEP_2)
	v_dual_mul_f32 v9, s30, v9 :: v_dual_mul_f32 v6, s30, v6
	ds_store_2addr_stride64_b32 v16, v7, v8 offset1:4
	ds_store_2addr_stride64_b32 v16, v9, v6 offset0:8 offset1:12
.LBB68_46:
	s_wait_alu 0xfffe
	s_or_b32 exec_lo, exec_lo, s1
	v_lshl_add_u32 v17, v0, 2, 0x1000
	s_mov_b32 s1, exec_lo
	v_cmpx_gt_i64_e64 s[2:3], v[0:1]
	s_cbranch_execz .LBB68_49
; %bb.47:
	v_mov_b32_e32 v7, v1
	v_lshl_add_u32 v8, v0, 2, 0x1000
	v_dual_mov_b32 v9, 0 :: v_dual_mov_b32 v6, v0
	s_mov_b32 s7, 0
.LBB68_48:                              ; =>This Inner Loop Header: Depth=1
	s_delay_alu instid0(VALU_DEP_1)
	v_add_co_u32 v6, s0, 0x100, v6
	s_wait_alu 0xf1ff
	v_add_co_ci_u32_e64 v7, null, 0, v7, s0
	ds_store_b32 v8, v9
	v_add_nc_u32_e32 v8, 0x400, v8
	v_cmp_le_i64_e64 s0, s[2:3], v[6:7]
	s_wait_alu 0xfffe
	s_or_b32 s7, s0, s7
	s_wait_alu 0xfffe
	s_and_not1_b32 exec_lo, exec_lo, s7
	s_cbranch_execnz .LBB68_48
.LBB68_49:
	s_wait_alu 0xfffe
	s_or_b32 exec_lo, exec_lo, s1
	v_cmp_ge_i64_e64 s7, s[18:19], s[2:3]
	s_sub_nc_u64 s[0:1], s[18:19], s[2:3]
	s_wait_storecnt 0x0
	s_wait_loadcnt_dscnt 0x0
	s_barrier_signal -1
	s_barrier_wait -1
	global_inv scope:SCOPE_SE
	s_and_b32 s7, s7, exec_lo
	s_wait_alu 0xfffe
	s_cselect_b32 s13, s1, 0
	s_cselect_b32 s12, s0, 0
	s_and_saveexec_b32 s0, vcc_lo
	s_wait_alu 0xfffe
	s_xor_b32 s7, exec_lo, s0
	s_cbranch_execz .LBB68_66
; %bb.50:
	s_lshl_b64 s[0:1], s[18:19], 3
	s_mov_b32 s29, exec_lo
	s_wait_alu 0xfffe
	s_add_nc_u64 s[0:1], s[8:9], s[0:1]
	s_load_b64 s[0:1], s[0:1], 0x0
	s_wait_kmcnt 0x0
	s_sub_nc_u64 s[30:31], s[0:1], s[4:5]
	s_wait_alu 0xfffe
	v_cmpx_gt_i64_e64 s[30:31], v[0:1]
	s_cbranch_execz .LBB68_65
; %bb.51:
	s_add_nc_u64 s[34:35], s[18:19], -2
	s_sub_nc_u64 s[36:37], s[0:1], s[24:25]
	s_wait_alu 0xfffe
	s_cmp_lg_u64 s[16:17], s[34:35]
	s_add_nc_u64 s[34:35], s[18:19], -1
	s_cselect_b32 s33, -1, 0
	s_mov_b64 s[38:39], 0
	s_mov_b32 s1, 0
	s_branch .LBB68_54
.LBB68_52:                              ;   in Loop: Header=BB68_54 Depth=1
	s_wait_alu 0xfffe
	s_or_b32 exec_lo, exec_lo, s0
.LBB68_53:                              ;   in Loop: Header=BB68_54 Depth=1
	s_delay_alu instid0(SALU_CYCLE_1) | instskip(SKIP_2) | instid1(VALU_DEP_1)
	s_or_b32 exec_lo, exec_lo, s40
	v_lshlrev_b64_e32 v[2:3], 1, v[2:3]
	s_add_nc_u64 s[38:39], s[38:39], 0x100
	v_add_co_u32 v2, vcc_lo, s14, v2
	s_wait_alu 0xfffd
	s_delay_alu instid0(VALU_DEP_2)
	v_add_co_ci_u32_e64 v3, null, s15, v3, vcc_lo
	global_load_u16 v6, v[2:3], off
	s_wait_alu 0xfffe
	v_add_co_u32 v2, s0, s38, v0
	s_wait_alu 0xf1ff
	v_add_co_ci_u32_e64 v3, null, s39, 0, s0
	s_delay_alu instid0(VALU_DEP_1)
	v_cmp_le_i64_e32 vcc_lo, s[30:31], v[2:3]
	v_lshlrev_b32_e32 v2, 2, v10
	s_or_b32 s1, vcc_lo, s1
	s_wait_loadcnt 0x0
	v_cvt_f32_f16_e32 v6, v6
	s_wait_dscnt 0x0
	s_delay_alu instid0(VALU_DEP_1)
	v_mul_f32_e32 v3, v11, v6
	ds_store_b32 v2, v3
	s_wait_alu 0xfffe
	s_and_not1_b32 exec_lo, exec_lo, s1
	s_cbranch_execz .LBB68_65
.LBB68_54:                              ; =>This Loop Header: Depth=1
                                        ;     Child Loop BB68_56 Depth 2
	v_add_co_u32 v6, vcc_lo, s38, v4
	s_wait_alu 0xfffd
	v_add_co_ci_u32_e64 v7, null, s39, v5, vcc_lo
	v_dual_mov_b32 v8, s16 :: v_dual_mov_b32 v9, s17
	s_wait_alu 0xfffe
	v_dual_mov_b32 v10, s34 :: v_dual_mov_b32 v11, s35
	s_and_not1_b32 vcc_lo, exec_lo, s33
	s_wait_alu 0xfffe
	s_cbranch_vccnz .LBB68_58
; %bb.55:                               ;   in Loop: Header=BB68_54 Depth=1
	v_dual_mov_b32 v8, s16 :: v_dual_mov_b32 v9, s17
	v_dual_mov_b32 v10, s34 :: v_dual_mov_b32 v11, s35
	s_mov_b32 s40, 0
.LBB68_56:                              ;   Parent Loop BB68_54 Depth=1
                                        ; =>  This Inner Loop Header: Depth=2
	s_delay_alu instid0(VALU_DEP_1) | instskip(SKIP_1) | instid1(VALU_DEP_2)
	v_add_co_u32 v2, vcc_lo, v10, v8
	s_wait_alu 0xfffd
	v_add_co_ci_u32_e64 v3, null, v11, v9, vcc_lo
	s_delay_alu instid0(VALU_DEP_1) | instskip(NEXT) | instid1(VALU_DEP_1)
	v_lshrrev_b32_e32 v12, 31, v3
	v_add_co_u32 v2, vcc_lo, v2, v12
	s_wait_alu 0xfffd
	v_add_co_ci_u32_e64 v3, null, 0, v3, vcc_lo
	s_delay_alu instid0(VALU_DEP_1) | instskip(NEXT) | instid1(VALU_DEP_1)
	v_ashrrev_i64 v[2:3], 1, v[2:3]
	v_lshlrev_b64_e32 v[12:13], 3, v[2:3]
	s_delay_alu instid0(VALU_DEP_1) | instskip(SKIP_1) | instid1(VALU_DEP_2)
	v_add_co_u32 v12, vcc_lo, s8, v12
	s_wait_alu 0xfffd
	v_add_co_ci_u32_e64 v13, null, s9, v13, vcc_lo
	global_load_b64 v[12:13], v[12:13], off
	s_wait_loadcnt 0x0
	v_sub_co_u32 v12, vcc_lo, v12, s24
	s_wait_alu 0xfffd
	v_subrev_co_ci_u32_e64 v13, null, 0, v13, vcc_lo
	s_delay_alu instid0(VALU_DEP_1) | instskip(SKIP_3) | instid1(VALU_DEP_2)
	v_cmp_lt_i64_e32 vcc_lo, v[6:7], v[12:13]
	s_wait_alu 0xfffd
	v_dual_cndmask_b32 v11, v11, v3 :: v_dual_cndmask_b32 v10, v10, v2
	v_dual_cndmask_b32 v9, v3, v9 :: v_dual_cndmask_b32 v8, v2, v8
	v_add_co_u32 v2, vcc_lo, v10, -1
	s_wait_alu 0xfffd
	s_delay_alu instid0(VALU_DEP_3) | instskip(NEXT) | instid1(VALU_DEP_3)
	v_add_co_ci_u32_e64 v3, null, -1, v11, vcc_lo
	v_cmp_ge_i64_e32 vcc_lo, v[8:9], v[10:11]
	s_delay_alu instid0(VALU_DEP_2)
	v_cmp_eq_u64_e64 s0, v[8:9], v[2:3]
	s_or_b32 s0, vcc_lo, s0
	s_wait_alu 0xfffe
	s_and_b32 s0, exec_lo, s0
	s_wait_alu 0xfffe
	s_or_b32 s40, s0, s40
	s_delay_alu instid0(SALU_CYCLE_1)
	s_and_not1_b32 exec_lo, exec_lo, s40
	s_cbranch_execnz .LBB68_56
; %bb.57:                               ;   in Loop: Header=BB68_54 Depth=1
	s_or_b32 exec_lo, exec_lo, s40
.LBB68_58:                              ;   in Loop: Header=BB68_54 Depth=1
	s_delay_alu instid0(VALU_DEP_1) | instskip(SKIP_2) | instid1(VALU_DEP_3)
	v_lshlrev_b64_e32 v[2:3], 3, v[10:11]
	v_lshlrev_b64_e32 v[12:13], 2, v[6:7]
	v_cmp_le_i64_e64 s0, s[36:37], v[6:7]
	v_add_co_u32 v2, vcc_lo, s8, v2
	s_wait_alu 0xfffd
	s_delay_alu instid0(VALU_DEP_4) | instskip(NEXT) | instid1(VALU_DEP_4)
	v_add_co_ci_u32_e64 v3, null, s9, v3, vcc_lo
	v_add_co_u32 v12, vcc_lo, s10, v12
	s_wait_alu 0xfffd
	v_add_co_ci_u32_e64 v13, null, s11, v13, vcc_lo
	global_load_b64 v[2:3], v[2:3], off
	global_load_b32 v14, v[12:13], off
	s_wait_loadcnt 0x1
	v_sub_co_u32 v12, vcc_lo, v2, s24
	s_wait_alu 0xfffd
	v_subrev_co_ci_u32_e64 v13, null, 0, v3, vcc_lo
	s_wait_loadcnt 0x0
	v_subrev_nc_u32_e32 v2, s24, v14
	s_delay_alu instid0(VALU_DEP_2) | instskip(NEXT) | instid1(VALU_DEP_2)
	v_cmp_lt_i64_e32 vcc_lo, v[6:7], v[12:13]
	v_ashrrev_i32_e32 v3, 31, v2
	s_wait_alu 0xfffd
	v_dual_cndmask_b32 v9, v11, v9 :: v_dual_cndmask_b32 v8, v10, v8
	v_add_co_u32 v10, null, s38, v0
                                        ; implicit-def: $vgpr11
	s_delay_alu instid0(VALU_DEP_2) | instskip(NEXT) | instid1(VALU_DEP_2)
	v_cmp_eq_u64_e32 vcc_lo, v[8:9], v[2:3]
	v_lshlrev_b32_e32 v12, 2, v10
	s_or_b32 s0, vcc_lo, s0
	s_wait_alu 0xfffe
	s_and_saveexec_b32 s40, s0
	s_delay_alu instid0(SALU_CYCLE_1)
	s_xor_b32 s0, exec_lo, s40
; %bb.59:                               ;   in Loop: Header=BB68_54 Depth=1
	ds_load_b32 v11, v12
                                        ; implicit-def: $vgpr12
                                        ; implicit-def: $vgpr8_vgpr9
; %bb.60:                               ;   in Loop: Header=BB68_54 Depth=1
	s_wait_alu 0xfffe
	s_and_not1_saveexec_b32 s40, s0
	s_cbranch_execz .LBB68_53
; %bb.61:                               ;   in Loop: Header=BB68_54 Depth=1
	v_cmp_gt_i64_e32 vcc_lo, s[12:13], v[2:3]
	v_cmp_le_i64_e64 s0, s[18:19], v[2:3]
	v_lshlrev_b64_e32 v[6:7], 1, v[8:9]
                                        ; implicit-def: $vgpr11
	s_or_b32 s0, vcc_lo, s0
	s_wait_alu 0xfffe
	s_and_saveexec_b32 s41, s0
	s_delay_alu instid0(SALU_CYCLE_1)
	s_xor_b32 s0, exec_lo, s41
	s_cbranch_execz .LBB68_63
; %bb.62:                               ;   in Loop: Header=BB68_54 Depth=1
	v_add_co_u32 v6, vcc_lo, s14, v6
	s_wait_alu 0xfffd
	v_add_co_ci_u32_e64 v7, null, s15, v7, vcc_lo
	s_wait_dscnt 0x0
	ds_load_b32 v11, v12
                                        ; implicit-def: $vgpr12
	global_load_u16 v8, v[6:7], off
	v_lshlrev_b64_e32 v[6:7], 2, v[2:3]
	s_delay_alu instid0(VALU_DEP_1) | instskip(SKIP_1) | instid1(VALU_DEP_2)
	v_add_co_u32 v6, vcc_lo, s20, v6
	s_wait_alu 0xfffd
	v_add_co_ci_u32_e64 v7, null, s21, v7, vcc_lo
	s_wait_loadcnt 0x0
	v_cvt_f32_f16_e32 v8, v8
	s_wait_dscnt 0x0
	s_delay_alu instid0(VALU_DEP_1)
	v_mul_f32_e32 v8, v11, v8
	global_atomic_add_f32 v[6:7], v8, off scope:SCOPE_DEV
                                        ; implicit-def: $vgpr6_vgpr7
.LBB68_63:                              ;   in Loop: Header=BB68_54 Depth=1
	s_wait_alu 0xfffe
	s_and_not1_saveexec_b32 s0, s0
	s_cbranch_execz .LBB68_52
; %bb.64:                               ;   in Loop: Header=BB68_54 Depth=1
	v_add_co_u32 v6, vcc_lo, s14, v6
	s_wait_alu 0xfffd
	v_add_co_ci_u32_e64 v7, null, s15, v7, vcc_lo
	s_wait_dscnt 0x0
	ds_load_b32 v11, v12
	global_load_u16 v6, v[6:7], off
	v_subrev_nc_u32_e32 v7, s12, v2
	s_delay_alu instid0(VALU_DEP_1) | instskip(SKIP_3) | instid1(VALU_DEP_1)
	v_lshl_add_u32 v7, v7, 2, 0x1000
	s_wait_loadcnt 0x0
	v_cvt_f32_f16_e32 v6, v6
	s_wait_dscnt 0x0
	v_mul_f32_e32 v6, v11, v6
	ds_add_f32 v7, v6
	s_branch .LBB68_52
.LBB68_65:
	s_or_b32 exec_lo, exec_lo, s29
                                        ; implicit-def: $vgpr2_vgpr3
                                        ; implicit-def: $vgpr4
.LBB68_66:
	s_wait_alu 0xfffe
	s_and_not1_saveexec_b32 s1, s7
	s_cbranch_execz .LBB68_108
; %bb.67:
	s_add_nc_u64 s[30:31], s[18:19], -1
	s_add_nc_u64 s[34:35], s[18:19], -2
	v_dual_mov_b32 v8, s16 :: v_dual_mov_b32 v9, s17
	s_wait_alu 0xfffe
	v_dual_mov_b32 v10, s30 :: v_dual_mov_b32 v11, s31
	s_cmp_lg_u64 s[16:17], s[34:35]
	s_cselect_b32 s7, -1, 0
	s_cmp_eq_u64 s[16:17], s[34:35]
	s_cbranch_scc1 .LBB68_71
; %bb.68:
	v_dual_mov_b32 v8, s16 :: v_dual_mov_b32 v9, s17
	v_dual_mov_b32 v10, s30 :: v_dual_mov_b32 v11, s31
	s_mov_b32 s29, 0
.LBB68_69:                              ; =>This Inner Loop Header: Depth=1
	s_delay_alu instid0(VALU_DEP_1) | instskip(SKIP_1) | instid1(VALU_DEP_2)
	v_add_co_u32 v6, vcc_lo, v10, v8
	s_wait_alu 0xfffd
	v_add_co_ci_u32_e64 v7, null, v11, v9, vcc_lo
	s_delay_alu instid0(VALU_DEP_1) | instskip(NEXT) | instid1(VALU_DEP_1)
	v_lshrrev_b32_e32 v12, 31, v7
	v_add_co_u32 v6, vcc_lo, v6, v12
	s_wait_alu 0xfffd
	v_add_co_ci_u32_e64 v7, null, 0, v7, vcc_lo
	s_delay_alu instid0(VALU_DEP_1) | instskip(NEXT) | instid1(VALU_DEP_1)
	v_ashrrev_i64 v[6:7], 1, v[6:7]
	v_lshlrev_b64_e32 v[12:13], 3, v[6:7]
	s_delay_alu instid0(VALU_DEP_1) | instskip(SKIP_1) | instid1(VALU_DEP_2)
	v_add_co_u32 v12, vcc_lo, s8, v12
	s_wait_alu 0xfffd
	v_add_co_ci_u32_e64 v13, null, s9, v13, vcc_lo
	global_load_b64 v[12:13], v[12:13], off
	s_wait_loadcnt 0x0
	v_sub_co_u32 v12, vcc_lo, v12, s24
	s_wait_alu 0xfffd
	v_subrev_co_ci_u32_e64 v13, null, 0, v13, vcc_lo
	s_delay_alu instid0(VALU_DEP_1) | instskip(SKIP_3) | instid1(VALU_DEP_2)
	v_cmp_lt_i64_e32 vcc_lo, v[4:5], v[12:13]
	s_wait_alu 0xfffd
	v_dual_cndmask_b32 v11, v11, v7 :: v_dual_cndmask_b32 v10, v10, v6
	v_dual_cndmask_b32 v9, v7, v9 :: v_dual_cndmask_b32 v8, v6, v8
	v_add_co_u32 v6, vcc_lo, v10, -1
	s_wait_alu 0xfffd
	s_delay_alu instid0(VALU_DEP_3) | instskip(NEXT) | instid1(VALU_DEP_3)
	v_add_co_ci_u32_e64 v7, null, -1, v11, vcc_lo
	v_cmp_ge_i64_e32 vcc_lo, v[8:9], v[10:11]
	s_delay_alu instid0(VALU_DEP_2)
	v_cmp_eq_u64_e64 s0, v[8:9], v[6:7]
	s_or_b32 s0, vcc_lo, s0
	s_wait_alu 0xfffe
	s_and_b32 s0, exec_lo, s0
	s_wait_alu 0xfffe
	s_or_b32 s29, s0, s29
	s_wait_alu 0xfffe
	s_and_not1_b32 exec_lo, exec_lo, s29
	s_cbranch_execnz .LBB68_69
; %bb.70:
	s_or_b32 exec_lo, exec_lo, s29
.LBB68_71:
	v_lshlrev_b64_e32 v[6:7], 3, v[10:11]
	v_lshlrev_b64_e32 v[12:13], 2, v[4:5]
	s_mov_b32 s29, exec_lo
	s_delay_alu instid0(VALU_DEP_2) | instskip(SKIP_1) | instid1(VALU_DEP_3)
	v_add_co_u32 v6, vcc_lo, s8, v6
	s_wait_alu 0xfffd
	v_add_co_ci_u32_e64 v7, null, s9, v7, vcc_lo
	global_load_b64 v[14:15], v[6:7], off
	v_add_co_u32 v6, vcc_lo, s10, v12
	s_wait_alu 0xfffd
	v_add_co_ci_u32_e64 v7, null, s11, v13, vcc_lo
	s_lshl_b64 s[10:11], s[18:19], 3
	s_wait_alu 0xfffe
	s_add_nc_u64 s[10:11], s[8:9], s[10:11]
	global_load_b32 v18, v[6:7], off
	s_wait_loadcnt 0x1
	v_sub_co_u32 v12, vcc_lo, v14, s24
	s_wait_alu 0xfffd
	v_subrev_co_ci_u32_e64 v13, null, 0, v15, vcc_lo
	s_delay_alu instid0(VALU_DEP_1) | instskip(SKIP_2) | instid1(VALU_DEP_1)
	v_cmp_lt_i64_e32 vcc_lo, v[4:5], v[12:13]
	s_wait_loadcnt 0x0
	v_subrev_nc_u32_e32 v12, s24, v18
	v_ashrrev_i32_e32 v13, 31, v12
	s_wait_alu 0xfffd
	v_dual_cndmask_b32 v9, v11, v9 :: v_dual_cndmask_b32 v8, v10, v8
	s_delay_alu instid0(VALU_DEP_1)
	v_cmpx_ne_u64_e64 v[8:9], v[12:13]
	s_cbranch_execz .LBB68_77
; %bb.72:
	s_load_b64 s[34:35], s[10:11], 0x0
	s_wait_kmcnt 0x0
	s_sub_nc_u64 s[34:35], s[34:35], s[24:25]
	s_wait_alu 0xfffe
	v_cmp_gt_i64_e32 vcc_lo, s[34:35], v[4:5]
	s_and_b32 exec_lo, exec_lo, vcc_lo
	s_cbranch_execz .LBB68_77
; %bb.73:
	v_cmp_gt_i64_e32 vcc_lo, s[12:13], v[12:13]
	v_cmp_le_i64_e64 s0, s[18:19], v[12:13]
	v_lshlrev_b64_e32 v[8:9], 1, v[8:9]
	s_or_b32 s0, vcc_lo, s0
	s_wait_alu 0xfffe
	s_and_saveexec_b32 s33, s0
	s_delay_alu instid0(SALU_CYCLE_1)
	s_xor_b32 s0, exec_lo, s33
	s_cbranch_execz .LBB68_75
; %bb.74:
	v_add_co_u32 v8, vcc_lo, s14, v8
	s_wait_alu 0xfffd
	v_add_co_ci_u32_e64 v9, null, s15, v9, vcc_lo
	ds_load_b32 v11, v16
	global_load_u16 v10, v[8:9], off
	v_lshlrev_b64_e32 v[8:9], 2, v[12:13]
	s_delay_alu instid0(VALU_DEP_1) | instskip(SKIP_1) | instid1(VALU_DEP_2)
	v_add_co_u32 v8, vcc_lo, s20, v8
	s_wait_alu 0xfffd
	v_add_co_ci_u32_e64 v9, null, s21, v9, vcc_lo
	s_wait_loadcnt 0x0
	v_cvt_f32_f16_e32 v10, v10
	s_wait_dscnt 0x0
	s_delay_alu instid0(VALU_DEP_1)
	v_mul_f32_e32 v10, v11, v10
	global_atomic_add_f32 v[8:9], v10, off scope:SCOPE_DEV
                                        ; implicit-def: $vgpr8_vgpr9
.LBB68_75:
	s_wait_alu 0xfffe
	s_and_not1_saveexec_b32 s0, s0
	s_cbranch_execz .LBB68_77
; %bb.76:
	v_add_co_u32 v8, vcc_lo, s14, v8
	s_wait_alu 0xfffd
	v_add_co_ci_u32_e64 v9, null, s15, v9, vcc_lo
	v_subrev_nc_u32_e32 v10, s12, v12
	global_load_u16 v8, v[8:9], off
	ds_load_b32 v9, v16
	v_lshl_add_u32 v10, v10, 2, 0x1000
	s_wait_loadcnt 0x0
	v_cvt_f32_f16_e32 v8, v8
	s_wait_dscnt 0x0
	s_delay_alu instid0(VALU_DEP_1)
	v_mul_f32_e32 v8, v9, v8
	ds_add_f32 v10, v8
.LBB68_77:
	s_or_b32 exec_lo, exec_lo, s29
	v_lshlrev_b64_e32 v[8:9], 1, v[12:13]
	ds_load_b32 v10, v16
	v_mov_b32_e32 v12, s30
	v_cndmask_b32_e64 v18, 0, 1, s7
	v_mov_b32_e32 v13, s31
	v_add_co_u32 v8, vcc_lo, s14, v8
	s_wait_alu 0xfffd
	v_add_co_ci_u32_e64 v9, null, s15, v9, vcc_lo
	global_load_u16 v8, v[8:9], off
	s_wait_loadcnt 0x0
	v_cvt_f32_f16_e32 v11, v8
	v_add_co_u32 v8, vcc_lo, 0x100, v4
	s_wait_alu 0xfffd
	v_add_co_ci_u32_e64 v9, null, 0, v5, vcc_lo
	s_wait_dscnt 0x0
	v_mul_f32_e32 v14, v10, v11
	v_dual_mov_b32 v10, s16 :: v_dual_mov_b32 v11, s17
	s_and_not1_b32 vcc_lo, exec_lo, s7
	ds_store_b32 v16, v14
	s_wait_alu 0xfffe
	s_cbranch_vccnz .LBB68_81
; %bb.78:
	v_dual_mov_b32 v10, s16 :: v_dual_mov_b32 v11, s17
	v_dual_mov_b32 v12, s30 :: v_dual_mov_b32 v13, s31
	s_mov_b32 s7, 0
.LBB68_79:                              ; =>This Inner Loop Header: Depth=1
	s_delay_alu instid0(VALU_DEP_1) | instskip(SKIP_1) | instid1(VALU_DEP_2)
	v_add_co_u32 v14, vcc_lo, v12, v10
	s_wait_alu 0xfffd
	v_add_co_ci_u32_e64 v15, null, v13, v11, vcc_lo
	s_delay_alu instid0(VALU_DEP_1) | instskip(NEXT) | instid1(VALU_DEP_1)
	v_lshrrev_b32_e32 v19, 31, v15
	v_add_co_u32 v14, vcc_lo, v14, v19
	s_wait_alu 0xfffd
	v_add_co_ci_u32_e64 v15, null, 0, v15, vcc_lo
	s_delay_alu instid0(VALU_DEP_1) | instskip(NEXT) | instid1(VALU_DEP_1)
	v_ashrrev_i64 v[14:15], 1, v[14:15]
	v_lshlrev_b64_e32 v[19:20], 3, v[14:15]
	s_delay_alu instid0(VALU_DEP_1) | instskip(SKIP_1) | instid1(VALU_DEP_2)
	v_add_co_u32 v19, vcc_lo, s8, v19
	s_wait_alu 0xfffd
	v_add_co_ci_u32_e64 v20, null, s9, v20, vcc_lo
	global_load_b64 v[19:20], v[19:20], off
	s_wait_loadcnt 0x0
	v_sub_co_u32 v19, vcc_lo, v19, s24
	s_wait_alu 0xfffd
	v_subrev_co_ci_u32_e64 v20, null, 0, v20, vcc_lo
	s_delay_alu instid0(VALU_DEP_1) | instskip(SKIP_3) | instid1(VALU_DEP_2)
	v_cmp_lt_i64_e32 vcc_lo, v[8:9], v[19:20]
	s_wait_alu 0xfffd
	v_dual_cndmask_b32 v13, v13, v15 :: v_dual_cndmask_b32 v12, v12, v14
	v_dual_cndmask_b32 v11, v15, v11 :: v_dual_cndmask_b32 v10, v14, v10
	v_add_co_u32 v14, vcc_lo, v12, -1
	s_wait_alu 0xfffd
	s_delay_alu instid0(VALU_DEP_3) | instskip(NEXT) | instid1(VALU_DEP_3)
	v_add_co_ci_u32_e64 v15, null, -1, v13, vcc_lo
	v_cmp_ge_i64_e32 vcc_lo, v[10:11], v[12:13]
	s_delay_alu instid0(VALU_DEP_2)
	v_cmp_eq_u64_e64 s0, v[10:11], v[14:15]
	s_or_b32 s0, vcc_lo, s0
	s_wait_alu 0xfffe
	s_and_b32 s0, exec_lo, s0
	s_wait_alu 0xfffe
	s_or_b32 s7, s0, s7
	s_wait_alu 0xfffe
	s_and_not1_b32 exec_lo, exec_lo, s7
	s_cbranch_execnz .LBB68_79
; %bb.80:
	s_or_b32 exec_lo, exec_lo, s7
.LBB68_81:
	v_lshlrev_b64_e32 v[14:15], 3, v[12:13]
	s_mov_b32 s7, exec_lo
	s_delay_alu instid0(VALU_DEP_1) | instskip(SKIP_1) | instid1(VALU_DEP_2)
	v_add_co_u32 v14, vcc_lo, s8, v14
	s_wait_alu 0xfffd
	v_add_co_ci_u32_e64 v15, null, s9, v15, vcc_lo
	global_load_b64 v[14:15], v[14:15], off
	global_load_b32 v19, v[6:7], off offset:1024
	s_wait_loadcnt 0x1
	v_sub_co_u32 v14, vcc_lo, v14, s24
	s_wait_alu 0xfffd
	v_subrev_co_ci_u32_e64 v15, null, 0, v15, vcc_lo
	s_delay_alu instid0(VALU_DEP_1) | instskip(SKIP_2) | instid1(VALU_DEP_1)
	v_cmp_lt_i64_e32 vcc_lo, v[8:9], v[14:15]
	s_wait_loadcnt 0x0
	v_subrev_nc_u32_e32 v14, s24, v19
	v_ashrrev_i32_e32 v15, 31, v14
	s_wait_alu 0xfffd
	v_dual_cndmask_b32 v11, v13, v11 :: v_dual_cndmask_b32 v10, v12, v10
	s_delay_alu instid0(VALU_DEP_1)
	v_cmpx_ne_u64_e64 v[10:11], v[14:15]
	s_cbranch_execz .LBB68_87
; %bb.82:
	s_load_b64 s[34:35], s[10:11], 0x0
	s_wait_kmcnt 0x0
	s_sub_nc_u64 s[34:35], s[34:35], s[24:25]
	s_wait_alu 0xfffe
	v_cmp_gt_i64_e32 vcc_lo, s[34:35], v[8:9]
	s_and_b32 exec_lo, exec_lo, vcc_lo
	s_cbranch_execz .LBB68_87
; %bb.83:
	v_cmp_gt_i64_e32 vcc_lo, s[12:13], v[14:15]
	v_cmp_le_i64_e64 s0, s[18:19], v[14:15]
	v_lshlrev_b64_e32 v[8:9], 1, v[10:11]
	s_or_b32 s0, vcc_lo, s0
	s_wait_alu 0xfffe
	s_and_saveexec_b32 s29, s0
	s_wait_alu 0xfffe
	s_xor_b32 s0, exec_lo, s29
	s_cbranch_execz .LBB68_85
; %bb.84:
	v_add_co_u32 v8, vcc_lo, s14, v8
	s_wait_alu 0xfffd
	v_add_co_ci_u32_e64 v9, null, s15, v9, vcc_lo
	ds_load_b32 v11, v16 offset:1024
	global_load_u16 v10, v[8:9], off
	v_lshlrev_b64_e32 v[8:9], 2, v[14:15]
	s_delay_alu instid0(VALU_DEP_1) | instskip(SKIP_1) | instid1(VALU_DEP_2)
	v_add_co_u32 v8, vcc_lo, s20, v8
	s_wait_alu 0xfffd
	v_add_co_ci_u32_e64 v9, null, s21, v9, vcc_lo
	s_wait_loadcnt 0x0
	v_cvt_f32_f16_e32 v10, v10
	s_wait_dscnt 0x0
	s_delay_alu instid0(VALU_DEP_1)
	v_mul_f32_e32 v10, v11, v10
	global_atomic_add_f32 v[8:9], v10, off scope:SCOPE_DEV
                                        ; implicit-def: $vgpr8_vgpr9
.LBB68_85:
	s_wait_alu 0xfffe
	s_and_not1_saveexec_b32 s0, s0
	s_cbranch_execz .LBB68_87
; %bb.86:
	v_add_co_u32 v8, vcc_lo, s14, v8
	s_wait_alu 0xfffd
	v_add_co_ci_u32_e64 v9, null, s15, v9, vcc_lo
	v_subrev_nc_u32_e32 v10, s12, v14
	global_load_u16 v8, v[8:9], off
	ds_load_b32 v9, v16 offset:1024
	v_lshl_add_u32 v10, v10, 2, 0x1000
	s_wait_loadcnt 0x0
	v_cvt_f32_f16_e32 v8, v8
	s_wait_dscnt 0x0
	s_delay_alu instid0(VALU_DEP_1)
	v_mul_f32_e32 v8, v9, v8
	ds_add_f32 v10, v8
.LBB68_87:
	s_wait_alu 0xfffe
	s_or_b32 exec_lo, exec_lo, s7
	v_lshlrev_b64_e32 v[8:9], 1, v[14:15]
	v_dual_mov_b32 v10, s30 :: v_dual_mov_b32 v11, s31
	s_delay_alu instid0(VALU_DEP_2) | instskip(SKIP_1) | instid1(VALU_DEP_3)
	v_add_co_u32 v8, vcc_lo, s14, v8
	s_wait_alu 0xfffd
	v_add_co_ci_u32_e64 v9, null, s15, v9, vcc_lo
	v_add_co_u32 v4, vcc_lo, 0x200, v4
	s_wait_alu 0xfffd
	v_add_co_ci_u32_e64 v5, null, 0, v5, vcc_lo
	global_load_u16 v8, v[8:9], off
	ds_load_b32 v9, v16 offset:1024
	v_cmp_ne_u32_e32 vcc_lo, 1, v18
	s_and_b32 vcc_lo, exec_lo, vcc_lo
	s_wait_loadcnt 0x0
	v_cvt_f32_f16_e32 v8, v8
	s_wait_dscnt 0x0
	s_delay_alu instid0(VALU_DEP_1)
	v_mul_f32_e32 v12, v9, v8
	v_dual_mov_b32 v8, s16 :: v_dual_mov_b32 v9, s17
	ds_store_b32 v16, v12 offset:1024
	s_wait_alu 0xfffe
	s_cbranch_vccnz .LBB68_91
; %bb.88:
	v_dual_mov_b32 v8, s16 :: v_dual_mov_b32 v9, s17
	v_dual_mov_b32 v10, s30 :: v_dual_mov_b32 v11, s31
	s_mov_b32 s7, 0
.LBB68_89:                              ; =>This Inner Loop Header: Depth=1
	s_delay_alu instid0(VALU_DEP_1) | instskip(SKIP_1) | instid1(VALU_DEP_2)
	v_add_co_u32 v12, vcc_lo, v10, v8
	s_wait_alu 0xfffd
	v_add_co_ci_u32_e64 v13, null, v11, v9, vcc_lo
	s_delay_alu instid0(VALU_DEP_1) | instskip(NEXT) | instid1(VALU_DEP_1)
	v_lshrrev_b32_e32 v14, 31, v13
	v_add_co_u32 v12, vcc_lo, v12, v14
	s_wait_alu 0xfffd
	v_add_co_ci_u32_e64 v13, null, 0, v13, vcc_lo
	s_delay_alu instid0(VALU_DEP_1) | instskip(NEXT) | instid1(VALU_DEP_1)
	v_ashrrev_i64 v[12:13], 1, v[12:13]
	v_lshlrev_b64_e32 v[14:15], 3, v[12:13]
	s_delay_alu instid0(VALU_DEP_1) | instskip(SKIP_1) | instid1(VALU_DEP_2)
	v_add_co_u32 v14, vcc_lo, s8, v14
	s_wait_alu 0xfffd
	v_add_co_ci_u32_e64 v15, null, s9, v15, vcc_lo
	global_load_b64 v[14:15], v[14:15], off
	s_wait_loadcnt 0x0
	v_sub_co_u32 v14, vcc_lo, v14, s24
	s_wait_alu 0xfffd
	v_subrev_co_ci_u32_e64 v15, null, 0, v15, vcc_lo
	s_delay_alu instid0(VALU_DEP_1) | instskip(SKIP_3) | instid1(VALU_DEP_2)
	v_cmp_lt_i64_e32 vcc_lo, v[4:5], v[14:15]
	s_wait_alu 0xfffd
	v_dual_cndmask_b32 v11, v11, v13 :: v_dual_cndmask_b32 v10, v10, v12
	v_dual_cndmask_b32 v9, v13, v9 :: v_dual_cndmask_b32 v8, v12, v8
	v_add_co_u32 v12, vcc_lo, v10, -1
	s_wait_alu 0xfffd
	s_delay_alu instid0(VALU_DEP_3) | instskip(NEXT) | instid1(VALU_DEP_3)
	v_add_co_ci_u32_e64 v13, null, -1, v11, vcc_lo
	v_cmp_ge_i64_e32 vcc_lo, v[8:9], v[10:11]
	s_delay_alu instid0(VALU_DEP_2)
	v_cmp_eq_u64_e64 s0, v[8:9], v[12:13]
	s_or_b32 s0, vcc_lo, s0
	s_wait_alu 0xfffe
	s_and_b32 s0, exec_lo, s0
	s_wait_alu 0xfffe
	s_or_b32 s7, s0, s7
	s_wait_alu 0xfffe
	s_and_not1_b32 exec_lo, exec_lo, s7
	s_cbranch_execnz .LBB68_89
; %bb.90:
	s_or_b32 exec_lo, exec_lo, s7
.LBB68_91:
	v_lshlrev_b64_e32 v[12:13], 3, v[10:11]
	s_mov_b32 s7, exec_lo
	s_delay_alu instid0(VALU_DEP_1) | instskip(SKIP_1) | instid1(VALU_DEP_2)
	v_add_co_u32 v12, vcc_lo, s8, v12
	s_wait_alu 0xfffd
	v_add_co_ci_u32_e64 v13, null, s9, v13, vcc_lo
	global_load_b64 v[12:13], v[12:13], off
	global_load_b32 v14, v[6:7], off offset:2048
	s_wait_loadcnt 0x1
	v_sub_co_u32 v12, vcc_lo, v12, s24
	s_wait_alu 0xfffd
	v_subrev_co_ci_u32_e64 v13, null, 0, v13, vcc_lo
	s_delay_alu instid0(VALU_DEP_1) | instskip(SKIP_2) | instid1(VALU_DEP_1)
	v_cmp_lt_i64_e32 vcc_lo, v[4:5], v[12:13]
	s_wait_loadcnt 0x0
	v_subrev_nc_u32_e32 v12, s24, v14
	v_ashrrev_i32_e32 v13, 31, v12
	s_wait_alu 0xfffd
	v_dual_cndmask_b32 v9, v11, v9 :: v_dual_cndmask_b32 v8, v10, v8
	s_delay_alu instid0(VALU_DEP_1)
	v_cmpx_ne_u64_e64 v[8:9], v[12:13]
	s_cbranch_execz .LBB68_97
; %bb.92:
	s_load_b64 s[34:35], s[10:11], 0x0
	s_wait_kmcnt 0x0
	s_sub_nc_u64 s[34:35], s[34:35], s[24:25]
	s_wait_alu 0xfffe
	v_cmp_gt_i64_e32 vcc_lo, s[34:35], v[4:5]
	s_and_b32 exec_lo, exec_lo, vcc_lo
	s_cbranch_execz .LBB68_97
; %bb.93:
	v_cmp_gt_i64_e32 vcc_lo, s[12:13], v[12:13]
	v_cmp_le_i64_e64 s0, s[18:19], v[12:13]
	v_lshlrev_b64_e32 v[4:5], 1, v[8:9]
	s_or_b32 s0, vcc_lo, s0
	s_wait_alu 0xfffe
	s_and_saveexec_b32 s29, s0
	s_wait_alu 0xfffe
	s_xor_b32 s0, exec_lo, s29
	s_cbranch_execz .LBB68_95
; %bb.94:
	v_add_co_u32 v4, vcc_lo, s14, v4
	s_wait_alu 0xfffd
	v_add_co_ci_u32_e64 v5, null, s15, v5, vcc_lo
	ds_load_b32 v9, v16 offset:2048
	global_load_u16 v8, v[4:5], off
	v_lshlrev_b64_e32 v[4:5], 2, v[12:13]
	s_delay_alu instid0(VALU_DEP_1) | instskip(SKIP_1) | instid1(VALU_DEP_2)
	v_add_co_u32 v4, vcc_lo, s20, v4
	s_wait_alu 0xfffd
	v_add_co_ci_u32_e64 v5, null, s21, v5, vcc_lo
	s_wait_loadcnt 0x0
	v_cvt_f32_f16_e32 v8, v8
	s_wait_dscnt 0x0
	s_delay_alu instid0(VALU_DEP_1)
	v_mul_f32_e32 v8, v9, v8
	global_atomic_add_f32 v[4:5], v8, off scope:SCOPE_DEV
                                        ; implicit-def: $vgpr4_vgpr5
.LBB68_95:
	s_wait_alu 0xfffe
	s_and_not1_saveexec_b32 s0, s0
	s_cbranch_execz .LBB68_97
; %bb.96:
	v_add_co_u32 v4, vcc_lo, s14, v4
	s_wait_alu 0xfffd
	v_add_co_ci_u32_e64 v5, null, s15, v5, vcc_lo
	v_subrev_nc_u32_e32 v8, s12, v12
	global_load_u16 v4, v[4:5], off
	ds_load_b32 v5, v16 offset:2048
	v_lshl_add_u32 v8, v8, 2, 0x1000
	s_wait_loadcnt 0x0
	v_cvt_f32_f16_e32 v4, v4
	s_wait_dscnt 0x0
	s_delay_alu instid0(VALU_DEP_1)
	v_mul_f32_e32 v4, v5, v4
	ds_add_f32 v8, v4
.LBB68_97:
	s_wait_alu 0xfffe
	s_or_b32 exec_lo, exec_lo, s7
	v_lshlrev_b64_e32 v[4:5], 1, v[12:13]
	v_dual_mov_b32 v8, s30 :: v_dual_mov_b32 v9, s31
	s_delay_alu instid0(VALU_DEP_2) | instskip(SKIP_1) | instid1(VALU_DEP_3)
	v_add_co_u32 v4, vcc_lo, s14, v4
	s_wait_alu 0xfffd
	v_add_co_ci_u32_e64 v5, null, s15, v5, vcc_lo
	v_cmp_ne_u32_e32 vcc_lo, 1, v18
	global_load_u16 v4, v[4:5], off
	ds_load_b32 v5, v16 offset:2048
	s_and_b32 vcc_lo, exec_lo, vcc_lo
	s_wait_loadcnt 0x0
	v_cvt_f32_f16_e32 v4, v4
	s_wait_dscnt 0x0
	s_delay_alu instid0(VALU_DEP_1)
	v_mul_f32_e32 v10, v5, v4
	v_dual_mov_b32 v4, s16 :: v_dual_mov_b32 v5, s17
	ds_store_b32 v16, v10 offset:2048
	s_wait_alu 0xfffe
	s_cbranch_vccnz .LBB68_101
; %bb.98:
	v_dual_mov_b32 v4, s16 :: v_dual_mov_b32 v5, s17
	v_dual_mov_b32 v8, s30 :: v_dual_mov_b32 v9, s31
	s_mov_b32 s7, 0
.LBB68_99:                              ; =>This Inner Loop Header: Depth=1
	s_delay_alu instid0(VALU_DEP_1) | instskip(SKIP_1) | instid1(VALU_DEP_2)
	v_add_co_u32 v10, vcc_lo, v8, v4
	s_wait_alu 0xfffd
	v_add_co_ci_u32_e64 v11, null, v9, v5, vcc_lo
	s_delay_alu instid0(VALU_DEP_1) | instskip(NEXT) | instid1(VALU_DEP_1)
	v_lshrrev_b32_e32 v12, 31, v11
	v_add_co_u32 v10, vcc_lo, v10, v12
	s_wait_alu 0xfffd
	v_add_co_ci_u32_e64 v11, null, 0, v11, vcc_lo
	s_delay_alu instid0(VALU_DEP_1) | instskip(NEXT) | instid1(VALU_DEP_1)
	v_ashrrev_i64 v[10:11], 1, v[10:11]
	v_lshlrev_b64_e32 v[12:13], 3, v[10:11]
	s_delay_alu instid0(VALU_DEP_1) | instskip(SKIP_1) | instid1(VALU_DEP_2)
	v_add_co_u32 v12, vcc_lo, s8, v12
	s_wait_alu 0xfffd
	v_add_co_ci_u32_e64 v13, null, s9, v13, vcc_lo
	global_load_b64 v[12:13], v[12:13], off
	s_wait_loadcnt 0x0
	v_sub_co_u32 v12, vcc_lo, v12, s24
	s_wait_alu 0xfffd
	v_subrev_co_ci_u32_e64 v13, null, 0, v13, vcc_lo
	s_delay_alu instid0(VALU_DEP_1) | instskip(SKIP_3) | instid1(VALU_DEP_2)
	v_cmp_lt_i64_e32 vcc_lo, v[2:3], v[12:13]
	s_wait_alu 0xfffd
	v_dual_cndmask_b32 v9, v9, v11 :: v_dual_cndmask_b32 v8, v8, v10
	v_dual_cndmask_b32 v5, v11, v5 :: v_dual_cndmask_b32 v4, v10, v4
	v_add_co_u32 v10, vcc_lo, v8, -1
	s_wait_alu 0xfffd
	s_delay_alu instid0(VALU_DEP_3) | instskip(NEXT) | instid1(VALU_DEP_3)
	v_add_co_ci_u32_e64 v11, null, -1, v9, vcc_lo
	v_cmp_ge_i64_e32 vcc_lo, v[4:5], v[8:9]
	s_delay_alu instid0(VALU_DEP_2)
	v_cmp_eq_u64_e64 s0, v[4:5], v[10:11]
	s_or_b32 s0, vcc_lo, s0
	s_wait_alu 0xfffe
	s_and_b32 s0, exec_lo, s0
	s_wait_alu 0xfffe
	s_or_b32 s7, s0, s7
	s_wait_alu 0xfffe
	s_and_not1_b32 exec_lo, exec_lo, s7
	s_cbranch_execnz .LBB68_99
; %bb.100:
	s_or_b32 exec_lo, exec_lo, s7
.LBB68_101:
	v_lshlrev_b64_e32 v[10:11], 3, v[8:9]
	s_mov_b32 s7, exec_lo
	s_delay_alu instid0(VALU_DEP_1) | instskip(SKIP_1) | instid1(VALU_DEP_2)
	v_add_co_u32 v10, vcc_lo, s8, v10
	s_wait_alu 0xfffd
	v_add_co_ci_u32_e64 v11, null, s9, v11, vcc_lo
	global_load_b64 v[10:11], v[10:11], off
	global_load_b32 v12, v[6:7], off offset:3072
	s_wait_loadcnt 0x1
	v_sub_co_u32 v6, vcc_lo, v10, s24
	s_wait_alu 0xfffd
	v_subrev_co_ci_u32_e64 v7, null, 0, v11, vcc_lo
	s_delay_alu instid0(VALU_DEP_1) | instskip(SKIP_2) | instid1(VALU_DEP_1)
	v_cmp_lt_i64_e32 vcc_lo, v[2:3], v[6:7]
	s_wait_loadcnt 0x0
	v_subrev_nc_u32_e32 v6, s24, v12
	v_ashrrev_i32_e32 v7, 31, v6
	s_wait_alu 0xfffd
	v_dual_cndmask_b32 v5, v9, v5 :: v_dual_cndmask_b32 v4, v8, v4
	s_delay_alu instid0(VALU_DEP_1)
	v_cmpx_ne_u64_e64 v[4:5], v[6:7]
	s_cbranch_execz .LBB68_107
; %bb.102:
	s_load_b64 s[10:11], s[10:11], 0x0
	s_wait_kmcnt 0x0
	s_sub_nc_u64 s[10:11], s[10:11], s[24:25]
	s_wait_alu 0xfffe
	v_cmp_gt_i64_e32 vcc_lo, s[10:11], v[2:3]
	s_and_b32 exec_lo, exec_lo, vcc_lo
	s_cbranch_execz .LBB68_107
; %bb.103:
	v_cmp_gt_i64_e32 vcc_lo, s[12:13], v[6:7]
	v_cmp_le_i64_e64 s0, s[18:19], v[6:7]
	v_lshlrev_b64_e32 v[2:3], 1, v[4:5]
	s_or_b32 s0, vcc_lo, s0
	s_wait_alu 0xfffe
	s_and_saveexec_b32 s10, s0
	s_wait_alu 0xfffe
	s_xor_b32 s0, exec_lo, s10
	s_cbranch_execz .LBB68_105
; %bb.104:
	v_add_co_u32 v2, vcc_lo, s14, v2
	s_wait_alu 0xfffd
	v_add_co_ci_u32_e64 v3, null, s15, v3, vcc_lo
	ds_load_b32 v5, v16 offset:3072
	global_load_u16 v4, v[2:3], off
	v_lshlrev_b64_e32 v[2:3], 2, v[6:7]
	s_delay_alu instid0(VALU_DEP_1) | instskip(SKIP_1) | instid1(VALU_DEP_2)
	v_add_co_u32 v2, vcc_lo, s20, v2
	s_wait_alu 0xfffd
	v_add_co_ci_u32_e64 v3, null, s21, v3, vcc_lo
	s_wait_loadcnt 0x0
	v_cvt_f32_f16_e32 v4, v4
	s_wait_dscnt 0x0
	s_delay_alu instid0(VALU_DEP_1)
	v_mul_f32_e32 v4, v5, v4
	global_atomic_add_f32 v[2:3], v4, off scope:SCOPE_DEV
                                        ; implicit-def: $vgpr2_vgpr3
.LBB68_105:
	s_wait_alu 0xfffe
	s_and_not1_saveexec_b32 s0, s0
	s_cbranch_execz .LBB68_107
; %bb.106:
	v_add_co_u32 v2, vcc_lo, s14, v2
	s_wait_alu 0xfffd
	v_add_co_ci_u32_e64 v3, null, s15, v3, vcc_lo
	v_subrev_nc_u32_e32 v4, s12, v6
	global_load_u16 v2, v[2:3], off
	ds_load_b32 v3, v16 offset:3072
	v_lshl_add_u32 v4, v4, 2, 0x1000
	s_wait_loadcnt 0x0
	v_cvt_f32_f16_e32 v2, v2
	s_wait_dscnt 0x0
	s_delay_alu instid0(VALU_DEP_1)
	v_mul_f32_e32 v2, v3, v2
	ds_add_f32 v4, v2
.LBB68_107:
	s_wait_alu 0xfffe
	s_or_b32 exec_lo, exec_lo, s7
	v_lshlrev_b64_e32 v[2:3], 1, v[6:7]
	s_delay_alu instid0(VALU_DEP_1) | instskip(SKIP_1) | instid1(VALU_DEP_2)
	v_add_co_u32 v2, vcc_lo, s14, v2
	s_wait_alu 0xfffd
	v_add_co_ci_u32_e64 v3, null, s15, v3, vcc_lo
	global_load_u16 v2, v[2:3], off
	ds_load_b32 v3, v16 offset:3072
	s_wait_loadcnt 0x0
	v_cvt_f32_f16_e32 v2, v2
	s_wait_dscnt 0x0
	s_delay_alu instid0(VALU_DEP_1)
	v_mul_f32_e32 v2, v3, v2
	ds_store_b32 v16, v2 offset:3072
.LBB68_108:
	s_wait_alu 0xfffe
	s_or_b32 exec_lo, exec_lo, s1
	v_cmp_lt_i64_e64 s0, s[18:19], s[2:3]
	s_mov_b32 s1, exec_lo
	s_wait_storecnt 0x0
	s_wait_loadcnt_dscnt 0x0
	s_barrier_signal -1
	s_barrier_wait -1
	global_inv scope:SCOPE_SE
	s_and_b32 s0, s0, exec_lo
	s_cselect_b32 s13, s19, s3
	s_cselect_b32 s12, s18, s2
	s_wait_alu 0xfffe
	s_sub_nc_u64 s[10:11], s[12:13], s[22:23]
	s_wait_alu 0xfffe
	v_cmpx_gt_i64_e64 s[10:11], v[0:1]
	s_cbranch_execz .LBB68_111
; %bb.109:
	v_cmp_gt_i64_e64 s0, s[18:19], s[2:3]
	v_dual_mov_b32 v5, v1 :: v_dual_lshlrev_b32 v2, 2, v0
	v_mov_b32_e32 v4, v0
	s_and_b32 s0, s0, exec_lo
	s_cselect_b32 s15, s19, s3
	s_cselect_b32 s14, s18, s2
	s_lshl_b64 s[2:3], s[2:3], 2
	s_wait_alu 0xfffe
	s_lshl_b64 s[14:15], s[14:15], 2
	s_wait_alu 0xfffe
	v_add_co_u32 v2, s0, s14, v2
	s_wait_alu 0xf1ff
	v_add_co_ci_u32_e64 v3, null, s15, 0, s0
	s_delay_alu instid0(VALU_DEP_2) | instskip(SKIP_1) | instid1(VALU_DEP_2)
	v_sub_co_u32 v2, vcc_lo, v2, s2
	s_wait_alu 0xfffd
	v_subrev_co_ci_u32_e64 v3, null, s3, v3, vcc_lo
	s_mov_b32 s2, 0
	v_add_co_u32 v2, vcc_lo, s20, v2
	s_wait_alu 0xfffd
	v_add_co_ci_u32_e64 v3, null, s21, v3, vcc_lo
.LBB68_110:                             ; =>This Inner Loop Header: Depth=1
	ds_load_b32 v6, v17
	v_add_co_u32 v4, vcc_lo, 0x100, v4
	s_wait_alu 0xfffd
	v_add_co_ci_u32_e64 v5, null, 0, v5, vcc_lo
	v_add_nc_u32_e32 v17, 0x400, v17
	s_delay_alu instid0(VALU_DEP_2)
	v_cmp_le_i64_e32 vcc_lo, s[10:11], v[4:5]
	s_wait_alu 0xfffe
	s_or_b32 s2, vcc_lo, s2
	s_wait_dscnt 0x0
	global_atomic_add_f32 v[2:3], v6, off scope:SCOPE_DEV
	v_add_co_u32 v2, s0, 0x400, v2
	s_wait_alu 0xf1ff
	v_add_co_ci_u32_e64 v3, null, 0, v3, s0
	s_wait_alu 0xfffe
	s_and_not1_b32 exec_lo, exec_lo, s2
	s_cbranch_execnz .LBB68_110
.LBB68_111:
	s_or_b32 exec_lo, exec_lo, s1
	s_add_co_i32 s0, s28, -1
	v_add_co_u32 v6, s2, s16, v0
	s_wait_alu 0xfffe
	s_ashr_i32 s1, s0, 1
	v_add_co_ci_u32_e64 v7, null, s17, 0, s2
	s_wait_alu 0xfffe
	s_or_b32 s0, s1, s0
	s_wait_loadcnt 0x0
	s_wait_storecnt 0x0
	s_wait_alu 0xfffe
	s_ashr_i32 s1, s0, 2
	s_barrier_signal -1
	s_wait_alu 0xfffe
	s_or_b32 s0, s1, s0
	s_barrier_wait -1
	s_wait_alu 0xfffe
	s_ashr_i32 s1, s0, 4
	global_inv scope:SCOPE_SE
	s_wait_alu 0xfffe
	s_or_b32 s0, s1, s0
	s_wait_alu 0xfffe
	s_ashr_i32 s1, s0, 8
	s_wait_alu 0xfffe
	s_or_b32 s0, s1, s0
	s_wait_alu 0xfffe
	s_ashr_i32 s1, s0, 16
	s_wait_alu 0xfffe
	s_or_b32 s1, s1, s0
	s_mov_b32 s0, -1
	s_wait_alu 0xfffe
	s_add_co_i32 s1, s1, 1
	s_wait_alu 0xfffe
	s_ashr_i32 s2, s1, 1
	s_wait_alu 0xfffe
	s_cmp_gt_i32 s2, 1
	s_cbranch_scc1 .LBB68_120
; %bb.112:
	s_mov_b32 s0, exec_lo
	v_cmpx_gt_i64_e64 s[18:19], v[6:7]
	s_cbranch_execz .LBB68_119
; %bb.113:
	s_sub_co_i32 s1, s12, s18
	v_dual_mov_b32 v9, v7 :: v_dual_mov_b32 v8, v6
	s_lshl_b32 s7, s4, 2
	s_wait_alu 0xfffe
	s_lshl_b32 s1, s1, 2
	s_mov_b32 s3, 0
	s_wait_alu 0xfffe
	s_addk_co_i32 s1, 0x1000
	s_sub_co_i32 s7, 0, s7
	s_branch .LBB68_115
.LBB68_114:                             ;   in Loop: Header=BB68_115 Depth=1
	s_wait_alu 0xfffe
	s_or_b32 exec_lo, exec_lo, s11
	v_lshl_add_u32 v2, v8, 2, s1
	ds_load_b32 v4, v2
	v_lshlrev_b64_e32 v[2:3], 2, v[8:9]
	s_delay_alu instid0(VALU_DEP_1) | instskip(SKIP_1) | instid1(VALU_DEP_2)
	v_add_co_u32 v2, vcc_lo, s20, v2
	s_wait_alu 0xfffd
	v_add_co_ci_u32_e64 v3, null, s21, v3, vcc_lo
	v_add_co_u32 v8, vcc_lo, v8, s6
	s_wait_alu 0xfffd
	v_add_co_ci_u32_e64 v9, null, 0, v9, vcc_lo
	s_delay_alu instid0(VALU_DEP_1)
	v_cmp_le_i64_e32 vcc_lo, s[18:19], v[8:9]
	s_wait_dscnt 0x0
	v_add_f32_e32 v4, v12, v4
	s_or_b32 s3, vcc_lo, s3
	global_atomic_add_f32 v[2:3], v4, off scope:SCOPE_DEV
	s_wait_alu 0xfffe
	s_and_not1_b32 exec_lo, exec_lo, s3
	s_cbranch_execz .LBB68_119
.LBB68_115:                             ; =>This Loop Header: Depth=1
                                        ;     Child Loop BB68_117 Depth 2
	v_lshlrev_b64_e32 v[2:3], 3, v[8:9]
	v_mov_b32_e32 v12, 0
	s_mov_b32 s11, exec_lo
	s_delay_alu instid0(VALU_DEP_2) | instskip(SKIP_1) | instid1(VALU_DEP_3)
	v_add_co_u32 v2, vcc_lo, s8, v2
	s_wait_alu 0xfffd
	v_add_co_ci_u32_e64 v3, null, s9, v3, vcc_lo
	global_load_b128 v[2:5], v[2:3], off
	s_wait_loadcnt 0x0
	v_cmpx_lt_i64_e64 v[2:3], v[4:5]
	s_cbranch_execz .LBB68_114
; %bb.116:                              ;   in Loop: Header=BB68_115 Depth=1
	v_sub_co_u32 v4, vcc_lo, v4, s4
	s_wait_alu 0xfffd
	v_subrev_co_ci_u32_e64 v5, null, s5, v5, vcc_lo
	v_sub_co_u32 v10, vcc_lo, v2, s4
	s_wait_alu 0xfffd
	v_subrev_co_ci_u32_e64 v11, null, s5, v3, vcc_lo
	s_wait_alu 0xfffe
	v_lshl_add_u32 v2, v2, 2, s7
	v_mov_b32_e32 v12, 0
	s_mov_b32 s12, 0
.LBB68_117:                             ;   Parent Loop BB68_115 Depth=1
                                        ; =>  This Inner Loop Header: Depth=2
	ds_load_b32 v3, v2
	v_add_co_u32 v10, vcc_lo, v10, 1
	s_wait_alu 0xfffd
	v_add_co_ci_u32_e64 v11, null, 0, v11, vcc_lo
	v_add_nc_u32_e32 v2, 4, v2
	s_delay_alu instid0(VALU_DEP_2)
	v_cmp_ge_i64_e32 vcc_lo, v[10:11], v[4:5]
	s_wait_alu 0xfffe
	s_or_b32 s12, vcc_lo, s12
	s_wait_dscnt 0x0
	v_add_f32_e32 v12, v12, v3
	s_wait_alu 0xfffe
	s_and_not1_b32 exec_lo, exec_lo, s12
	s_cbranch_execnz .LBB68_117
; %bb.118:                              ;   in Loop: Header=BB68_115 Depth=1
	s_or_b32 exec_lo, exec_lo, s12
	s_branch .LBB68_114
.LBB68_119:
	s_wait_alu 0xfffe
	s_or_b32 exec_lo, exec_lo, s0
	s_mov_b32 s0, 0
.LBB68_120:
	s_wait_alu 0xfffe
	s_and_not1_b32 vcc_lo, exec_lo, s0
	s_wait_alu 0xfffe
	s_cbranch_vccnz .LBB68_137
; %bb.121:
	s_cvt_f32_u32 s0, s2
	s_sub_co_i32 s1, 0, s2
	s_wait_alu 0xfffe
	s_delay_alu instid0(SALU_CYCLE_1) | instskip(NEXT) | instid1(TRANS32_DEP_1)
	v_rcp_iflag_f32_e32 v2, s0
	v_readfirstlane_b32 s0, v2
	s_mul_f32 s0, s0, 0x4f7ffffe
	s_wait_alu 0xfffe
	s_delay_alu instid0(SALU_CYCLE_2) | instskip(SKIP_1) | instid1(SALU_CYCLE_2)
	s_cvt_u32_f32 s0, s0
	s_wait_alu 0xfffe
	s_mul_i32 s3, s1, s0
	s_wait_alu 0xfffe
	s_mul_hi_u32 s3, s0, s3
	s_wait_alu 0xfffe
	s_add_co_i32 s0, s0, s3
	s_mov_b32 s3, 0
	s_wait_alu 0xfffe
	v_mul_hi_u32 v2, v0, s0
	s_mov_b32 s0, exec_lo
	s_delay_alu instid0(VALU_DEP_1) | instskip(NEXT) | instid1(VALU_DEP_1)
	v_mul_lo_u32 v3, v2, s2
	v_sub_nc_u32_e32 v3, v0, v3
	s_delay_alu instid0(VALU_DEP_1) | instskip(SKIP_2) | instid1(VALU_DEP_2)
	v_subrev_nc_u32_e32 v5, s2, v3
	v_cmp_le_u32_e32 vcc_lo, s2, v3
	s_wait_alu 0xfffd
	v_dual_cndmask_b32 v3, v3, v5 :: v_dual_add_nc_u32 v4, 1, v2
	s_delay_alu instid0(VALU_DEP_1) | instskip(NEXT) | instid1(VALU_DEP_2)
	v_dual_cndmask_b32 v2, v2, v4 :: v_dual_mov_b32 v5, 0
	v_cmp_le_u32_e32 vcc_lo, s2, v3
	s_delay_alu instid0(VALU_DEP_2) | instskip(SKIP_1) | instid1(VALU_DEP_1)
	v_add_nc_u32_e32 v4, 1, v2
	s_wait_alu 0xfffd
	v_cndmask_b32_e32 v4, v2, v4, vcc_lo
	s_delay_alu instid0(VALU_DEP_1) | instskip(NEXT) | instid1(VALU_DEP_1)
	v_lshlrev_b64_e32 v[2:3], 3, v[4:5]
	v_add_co_u32 v2, vcc_lo, s26, v2
	s_wait_alu 0xfffd
	s_delay_alu instid0(VALU_DEP_2)
	v_add_co_ci_u32_e64 v3, null, s27, v3, vcc_lo
	global_load_b128 v[8:11], v[2:3], off
	s_wait_loadcnt 0x0
	v_sub_co_u32 v2, vcc_lo, v8, s4
	s_wait_alu 0xfffd
	v_subrev_co_ci_u32_e64 v3, null, s5, v9, vcc_lo
	v_sub_co_u32 v12, vcc_lo, v10, s4
	s_wait_alu 0xfffd
	v_subrev_co_ci_u32_e64 v13, null, s5, v11, vcc_lo
	v_mov_b32_e32 v8, v5
	s_delay_alu instid0(VALU_DEP_3) | instskip(SKIP_1) | instid1(VALU_DEP_3)
	v_sub_co_u32 v14, vcc_lo, v12, v2
	s_wait_alu 0xfffd
	v_sub_co_ci_u32_e64 v9, null, v13, v3, vcc_lo
                                        ; implicit-def: $vgpr10_vgpr11
	s_delay_alu instid0(VALU_DEP_1)
	v_cmpx_ne_u64_e32 0, v[8:9]
	s_wait_alu 0xfffe
	s_xor_b32 s6, exec_lo, s0
	s_cbranch_execz .LBB68_123
; %bb.122:
	s_add_nc_u64 s[4:5], s[2:3], 0
	s_mov_b32 s15, s3
	s_wait_alu 0xfffe
	s_xor_b64 s[4:5], s[4:5], 0
	s_mov_b32 s19, s3
	s_wait_alu 0xfffe
	s_cvt_f32_u32 s0, s4
	s_cvt_f32_u32 s7, s5
	s_sub_nc_u64 s[12:13], 0, s[4:5]
	v_ashrrev_i32_e32 v17, 31, v9
	s_wait_alu 0xfffe
	s_fmamk_f32 s0, s7, 0x4f800000, s0
	s_delay_alu instid0(VALU_DEP_1) | instskip(SKIP_1) | instid1(SALU_CYCLE_1)
	v_add_co_u32 v8, vcc_lo, v14, v17
	s_wait_alu 0xfffe
	v_s_rcp_f32 s0, s0
	s_wait_alu 0xfffd
	v_add_co_ci_u32_e64 v9, null, v9, v17, vcc_lo
	v_xor_b32_e32 v18, v8, v17
	s_delay_alu instid0(VALU_DEP_2) | instskip(NEXT) | instid1(TRANS32_DEP_1)
	v_xor_b32_e32 v19, v9, v17
	s_mul_f32 s0, s0, 0x5f7ffffc
	s_wait_alu 0xfffe
	s_delay_alu instid0(SALU_CYCLE_2) | instskip(SKIP_1) | instid1(SALU_CYCLE_2)
	s_mul_f32 s7, s0, 0x2f800000
	s_wait_alu 0xfffe
	s_trunc_f32 s7, s7
	s_wait_alu 0xfffe
	s_delay_alu instid0(SALU_CYCLE_2) | instskip(SKIP_2) | instid1(SALU_CYCLE_1)
	s_fmamk_f32 s0, s7, 0xcf800000, s0
	s_cvt_u32_f32 s9, s7
	s_wait_alu 0xfffe
	s_cvt_u32_f32 s8, s0
	s_wait_alu 0xfffe
	s_delay_alu instid0(SALU_CYCLE_2)
	s_mul_u64 s[16:17], s[12:13], s[8:9]
	s_wait_alu 0xfffe
	s_mul_hi_u32 s25, s8, s17
	s_mul_i32 s24, s8, s17
	s_mul_hi_u32 s14, s8, s16
	s_mul_i32 s7, s9, s16
	s_wait_alu 0xfffe
	s_add_nc_u64 s[14:15], s[14:15], s[24:25]
	s_mul_hi_u32 s0, s9, s16
	s_mul_hi_u32 s11, s9, s17
	s_wait_alu 0xfffe
	s_add_co_u32 s7, s14, s7
	s_add_co_ci_u32 s18, s15, s0
	s_mul_i32 s16, s9, s17
	s_add_co_ci_u32 s17, s11, 0
	s_wait_alu 0xfffe
	s_add_nc_u64 s[14:15], s[18:19], s[16:17]
	s_mov_b32 s17, s3
	s_wait_alu 0xfffe
	s_add_co_u32 s8, s8, s14
	s_cselect_b32 s0, -1, 0
	s_wait_alu 0xfffe
	s_cmp_lg_u32 s0, 0
	s_add_co_ci_u32 s9, s9, s15
	s_mov_b32 s15, s3
	s_wait_alu 0xfffe
	s_mul_u64 s[12:13], s[12:13], s[8:9]
	s_wait_alu 0xfffe
	s_mul_hi_u32 s19, s8, s13
	s_mul_i32 s18, s8, s13
	s_mul_hi_u32 s16, s8, s12
	s_mul_i32 s3, s9, s12
	s_wait_alu 0xfffe
	s_add_nc_u64 s[16:17], s[16:17], s[18:19]
	s_mul_hi_u32 s0, s9, s12
	s_mul_hi_u32 s7, s9, s13
	s_wait_alu 0xfffe
	s_add_co_u32 s3, s16, s3
	s_add_co_ci_u32 s14, s17, s0
	s_mul_i32 s12, s9, s13
	s_add_co_ci_u32 s13, s7, 0
	s_wait_alu 0xfffe
	s_add_nc_u64 s[12:13], s[14:15], s[12:13]
	s_wait_alu 0xfffe
	s_add_co_u32 s0, s8, s12
	s_cselect_b32 s3, -1, 0
	s_wait_alu 0xfffe
	v_mul_hi_u32 v20, v18, s0
	s_cmp_lg_u32 s3, 0
	v_mad_co_u64_u32 v[10:11], null, v19, s0, 0
	s_add_co_ci_u32 s3, s9, s13
	s_wait_alu 0xfffe
	v_mad_co_u64_u32 v[8:9], null, v18, s3, 0
	v_mad_co_u64_u32 v[14:15], null, v19, s3, 0
	s_delay_alu instid0(VALU_DEP_2) | instskip(SKIP_1) | instid1(VALU_DEP_3)
	v_add_co_u32 v8, vcc_lo, v20, v8
	s_wait_alu 0xfffd
	v_add_co_ci_u32_e64 v9, null, 0, v9, vcc_lo
	s_delay_alu instid0(VALU_DEP_2) | instskip(SKIP_1) | instid1(VALU_DEP_2)
	v_add_co_u32 v8, vcc_lo, v8, v10
	s_wait_alu 0xfffd
	v_add_co_ci_u32_e32 v8, vcc_lo, v9, v11, vcc_lo
	s_wait_alu 0xfffd
	v_add_co_ci_u32_e32 v9, vcc_lo, 0, v15, vcc_lo
	s_delay_alu instid0(VALU_DEP_2) | instskip(SKIP_1) | instid1(VALU_DEP_2)
	v_add_co_u32 v10, vcc_lo, v8, v14
	s_wait_alu 0xfffd
	v_add_co_ci_u32_e64 v11, null, 0, v9, vcc_lo
	s_delay_alu instid0(VALU_DEP_2) | instskip(SKIP_1) | instid1(VALU_DEP_3)
	v_mul_lo_u32 v14, s5, v10
	v_mad_co_u64_u32 v[8:9], null, s4, v10, 0
	v_mul_lo_u32 v15, s4, v11
	s_delay_alu instid0(VALU_DEP_2) | instskip(NEXT) | instid1(VALU_DEP_2)
	v_sub_co_u32 v8, vcc_lo, v18, v8
	v_add3_u32 v9, v9, v15, v14
	v_add_co_u32 v15, s0, v10, 2
	s_wait_alu 0xf1ff
	v_add_co_ci_u32_e64 v18, null, 0, v11, s0
	s_delay_alu instid0(VALU_DEP_3) | instskip(SKIP_3) | instid1(VALU_DEP_3)
	v_sub_nc_u32_e32 v14, v19, v9
	v_sub_co_u32 v20, s0, v8, s4
	s_wait_alu 0xfffd
	v_sub_co_ci_u32_e64 v9, null, v19, v9, vcc_lo
	v_subrev_co_ci_u32_e64 v14, null, s5, v14, vcc_lo
	s_delay_alu instid0(VALU_DEP_3) | instskip(SKIP_1) | instid1(VALU_DEP_2)
	v_cmp_le_u32_e32 vcc_lo, s4, v20
	s_wait_alu 0xf1ff
	v_subrev_co_ci_u32_e64 v14, null, 0, v14, s0
	s_wait_alu 0xfffd
	v_cndmask_b32_e64 v19, 0, -1, vcc_lo
	v_cmp_eq_u32_e64 s0, s5, v9
	s_delay_alu instid0(VALU_DEP_3)
	v_cmp_le_u32_e32 vcc_lo, s5, v14
	s_wait_alu 0xfffd
	v_cndmask_b32_e64 v20, 0, -1, vcc_lo
	v_cmp_le_u32_e32 vcc_lo, s4, v8
	s_wait_alu 0xfffd
	v_cndmask_b32_e64 v8, 0, -1, vcc_lo
	;; [unrolled: 3-line block ×3, first 2 shown]
	v_cmp_eq_u32_e32 vcc_lo, s5, v14
	s_wait_alu 0xf1ff
	s_delay_alu instid0(VALU_DEP_2)
	v_cndmask_b32_e64 v8, v21, v8, s0
	s_wait_alu 0xfffd
	v_cndmask_b32_e32 v14, v20, v19, vcc_lo
	v_add_co_u32 v19, vcc_lo, v10, 1
	s_wait_alu 0xfffd
	v_add_co_ci_u32_e64 v20, null, 0, v11, vcc_lo
	s_delay_alu instid0(VALU_DEP_3) | instskip(SKIP_1) | instid1(VALU_DEP_2)
	v_cmp_ne_u32_e32 vcc_lo, 0, v14
	s_wait_alu 0xfffd
	v_dual_cndmask_b32 v9, v20, v18 :: v_dual_cndmask_b32 v14, v19, v15
	v_cmp_ne_u32_e32 vcc_lo, 0, v8
	s_wait_alu 0xfffd
	s_delay_alu instid0(VALU_DEP_2) | instskip(NEXT) | instid1(VALU_DEP_1)
	v_dual_cndmask_b32 v8, v11, v9 :: v_dual_cndmask_b32 v9, v10, v14
                                        ; implicit-def: $vgpr14
	v_xor_b32_e32 v8, v8, v17
	s_delay_alu instid0(VALU_DEP_2) | instskip(NEXT) | instid1(VALU_DEP_1)
	v_xor_b32_e32 v9, v9, v17
	v_sub_co_u32 v10, vcc_lo, v9, v17
	s_wait_alu 0xfffd
	s_delay_alu instid0(VALU_DEP_3)
	v_sub_co_ci_u32_e64 v11, null, v8, v17, vcc_lo
.LBB68_123:
	s_wait_alu 0xfffe
	s_and_not1_saveexec_b32 s0, s6
	s_cbranch_execz .LBB68_125
; %bb.124:
	v_cvt_f32_u32_e32 v8, s2
	s_delay_alu instid0(VALU_DEP_1) | instskip(NEXT) | instid1(TRANS32_DEP_1)
	v_rcp_iflag_f32_e32 v8, v8
	v_mul_f32_e32 v8, 0x4f7ffffe, v8
	s_delay_alu instid0(VALU_DEP_1) | instskip(NEXT) | instid1(VALU_DEP_1)
	v_cvt_u32_f32_e32 v8, v8
	v_mul_lo_u32 v9, s1, v8
	s_delay_alu instid0(VALU_DEP_1) | instskip(NEXT) | instid1(VALU_DEP_1)
	v_mul_hi_u32 v9, v8, v9
	v_add_nc_u32_e32 v8, v8, v9
	s_delay_alu instid0(VALU_DEP_1) | instskip(NEXT) | instid1(VALU_DEP_1)
	v_mul_hi_u32 v8, v14, v8
	v_mul_lo_u32 v9, v8, s2
	v_add_nc_u32_e32 v10, 1, v8
	s_delay_alu instid0(VALU_DEP_2) | instskip(NEXT) | instid1(VALU_DEP_1)
	v_sub_nc_u32_e32 v9, v14, v9
	v_subrev_nc_u32_e32 v11, s2, v9
	v_cmp_le_u32_e32 vcc_lo, s2, v9
	s_wait_alu 0xfffd
	s_delay_alu instid0(VALU_DEP_2) | instskip(SKIP_1) | instid1(VALU_DEP_2)
	v_dual_cndmask_b32 v9, v9, v11 :: v_dual_cndmask_b32 v8, v8, v10
	v_mov_b32_e32 v11, 0
	v_cmp_le_u32_e32 vcc_lo, s2, v9
	s_delay_alu instid0(VALU_DEP_3) | instskip(SKIP_1) | instid1(VALU_DEP_1)
	v_add_nc_u32_e32 v10, 1, v8
	s_wait_alu 0xfffd
	v_cndmask_b32_e32 v10, v8, v10, vcc_lo
.LBB68_125:
	s_wait_alu 0xfffe
	s_or_b32 exec_lo, exec_lo, s0
	v_mov_b32_e32 v14, 0
	s_mov_b32 s0, exec_lo
	v_cmpx_gt_i64_e64 s[22:23], v[4:5]
	s_cbranch_execz .LBB68_133
; %bb.126:
	s_add_co_i32 s1, s2, -1
	s_wait_alu 0xfffe
	v_and_b32_e32 v4, s1, v0
	v_mov_b32_e32 v14, 0
	s_mov_b32 s1, exec_lo
	s_delay_alu instid0(VALU_DEP_2)
	v_lshlrev_b32_e32 v15, 2, v4
	v_cmpx_lt_i64_e32 0, v[10:11]
	s_cbranch_execz .LBB68_130
; %bb.127:
	v_mov_b32_e32 v8, v10
	s_delay_alu instid0(VALU_DEP_3)
	v_lshl_add_u32 v5, v2, 2, v15
	v_dual_mov_b32 v14, 0 :: v_dual_mov_b32 v9, v11
	s_lshl_b32 s4, s2, 2
	s_mov_b32 s3, 0
.LBB68_128:                             ; =>This Inner Loop Header: Depth=1
	ds_load_b32 v17, v5
	v_add_co_u32 v8, vcc_lo, v8, -1
	s_wait_alu 0xfffd
	v_add_co_ci_u32_e64 v9, null, -1, v9, vcc_lo
	s_wait_alu 0xfffe
	v_add_nc_u32_e32 v5, s4, v5
	s_delay_alu instid0(VALU_DEP_2)
	v_cmp_eq_u64_e32 vcc_lo, 0, v[8:9]
	s_or_b32 s3, vcc_lo, s3
	s_wait_dscnt 0x0
	v_add_f32_e32 v14, v14, v17
	s_wait_alu 0xfffe
	s_and_not1_b32 exec_lo, exec_lo, s3
	s_cbranch_execnz .LBB68_128
; %bb.129:
	s_or_b32 exec_lo, exec_lo, s3
.LBB68_130:
	s_wait_alu 0xfffe
	s_or_b32 exec_lo, exec_lo, s1
	v_mad_co_u64_u32 v[2:3], null, v10, s2, v[2:3]
	v_mov_b32_e32 v5, 0
	s_mov_b32 s1, exec_lo
	s_delay_alu instid0(VALU_DEP_2) | instskip(NEXT) | instid1(VALU_DEP_3)
	v_mad_co_u64_u32 v[8:9], null, v11, s2, v[3:4]
	v_sub_co_u32 v9, vcc_lo, v12, v2
	s_wait_alu 0xfffd
	s_delay_alu instid0(VALU_DEP_2) | instskip(NEXT) | instid1(VALU_DEP_1)
	v_sub_co_ci_u32_e64 v10, null, v13, v8, vcc_lo
	v_cmpx_gt_i64_e64 v[9:10], v[4:5]
	s_cbranch_execz .LBB68_132
; %bb.131:
	v_lshl_add_u32 v2, v2, 2, v15
	ds_load_b32 v2, v2
	s_wait_dscnt 0x0
	v_add_f32_e32 v14, v14, v2
.LBB68_132:
	s_wait_alu 0xfffe
	s_or_b32 exec_lo, exec_lo, s1
.LBB68_133:
	s_wait_alu 0xfffe
	s_or_b32 exec_lo, exec_lo, s0
	s_wait_storecnt 0x0
	s_barrier_signal -1
	s_barrier_wait -1
	global_inv scope:SCOPE_SE
	ds_store_b32 v16, v14
	s_wait_loadcnt_dscnt 0x0
	s_barrier_signal -1
	s_barrier_wait -1
	global_inv scope:SCOPE_SE
	s_mov_b32 s0, exec_lo
	v_cmpx_gt_i64_e64 s[22:23], v[0:1]
	s_cbranch_execz .LBB68_137
; %bb.134:
	v_mul_lo_u32 v1, s2, v0
	s_delay_alu instid0(VALU_DEP_1)
	v_dual_mov_b32 v1, 0 :: v_dual_lshlrev_b32 v2, 2, v1
.LBB68_135:                             ; =>This Inner Loop Header: Depth=1
	ds_load_b32 v3, v2
	v_add_nc_u32_e32 v2, 4, v2
	s_add_co_i32 s2, s2, -1
	s_wait_alu 0xfffe
	s_cmp_eq_u32 s2, 0
	s_wait_dscnt 0x0
	v_add_f32_e32 v1, v1, v3
	s_cbranch_scc0 .LBB68_135
; %bb.136:
	v_lshlrev_b32_e32 v0, 2, v0
	s_lshl_b32 s0, s10, 2
	v_lshlrev_b64_e32 v[2:3], 2, v[6:7]
	s_wait_alu 0xfffe
	s_delay_alu instid0(VALU_DEP_2)
	v_add3_u32 v0, 0x1000, s0, v0
	ds_load_b32 v0, v0
	s_wait_dscnt 0x0
	v_add_f32_e32 v4, v1, v0
	v_add_co_u32 v0, vcc_lo, s20, v2
	s_wait_alu 0xfffd
	v_add_co_ci_u32_e64 v1, null, s21, v3, vcc_lo
	global_atomic_add_f32 v[0:1], v4, off scope:SCOPE_DEV
.LBB68_137:
	s_endpgm
	.section	.rodata,"a",@progbits
	.p2align	6, 0x0
	.amdhsa_kernel _ZN9rocsparseL27csrmvn_symm_adaptive_kernelIliDF16_DF16_ffEEvbT_S1_PKS1_NS_24const_host_device_scalarIT4_EES3_PKT0_PKT1_PKT2_S6_PT3_21rocsparse_index_base_b
		.amdhsa_group_segment_fixed_size 4096
		.amdhsa_private_segment_fixed_size 0
		.amdhsa_kernarg_size 352
		.amdhsa_user_sgpr_count 2
		.amdhsa_user_sgpr_dispatch_ptr 0
		.amdhsa_user_sgpr_queue_ptr 0
		.amdhsa_user_sgpr_kernarg_segment_ptr 1
		.amdhsa_user_sgpr_dispatch_id 0
		.amdhsa_user_sgpr_private_segment_size 0
		.amdhsa_wavefront_size32 1
		.amdhsa_uses_dynamic_stack 0
		.amdhsa_enable_private_segment 0
		.amdhsa_system_sgpr_workgroup_id_x 1
		.amdhsa_system_sgpr_workgroup_id_y 0
		.amdhsa_system_sgpr_workgroup_id_z 0
		.amdhsa_system_sgpr_workgroup_info 0
		.amdhsa_system_vgpr_workitem_id 0
		.amdhsa_next_free_vgpr 22
		.amdhsa_next_free_sgpr 42
		.amdhsa_reserve_vcc 1
		.amdhsa_float_round_mode_32 0
		.amdhsa_float_round_mode_16_64 0
		.amdhsa_float_denorm_mode_32 3
		.amdhsa_float_denorm_mode_16_64 3
		.amdhsa_fp16_overflow 0
		.amdhsa_workgroup_processor_mode 1
		.amdhsa_memory_ordered 1
		.amdhsa_forward_progress 1
		.amdhsa_inst_pref_size 77
		.amdhsa_round_robin_scheduling 0
		.amdhsa_exception_fp_ieee_invalid_op 0
		.amdhsa_exception_fp_denorm_src 0
		.amdhsa_exception_fp_ieee_div_zero 0
		.amdhsa_exception_fp_ieee_overflow 0
		.amdhsa_exception_fp_ieee_underflow 0
		.amdhsa_exception_fp_ieee_inexact 0
		.amdhsa_exception_int_div_zero 0
	.end_amdhsa_kernel
	.section	.text._ZN9rocsparseL27csrmvn_symm_adaptive_kernelIliDF16_DF16_ffEEvbT_S1_PKS1_NS_24const_host_device_scalarIT4_EES3_PKT0_PKT1_PKT2_S6_PT3_21rocsparse_index_base_b,"axG",@progbits,_ZN9rocsparseL27csrmvn_symm_adaptive_kernelIliDF16_DF16_ffEEvbT_S1_PKS1_NS_24const_host_device_scalarIT4_EES3_PKT0_PKT1_PKT2_S6_PT3_21rocsparse_index_base_b,comdat
.Lfunc_end68:
	.size	_ZN9rocsparseL27csrmvn_symm_adaptive_kernelIliDF16_DF16_ffEEvbT_S1_PKS1_NS_24const_host_device_scalarIT4_EES3_PKT0_PKT1_PKT2_S6_PT3_21rocsparse_index_base_b, .Lfunc_end68-_ZN9rocsparseL27csrmvn_symm_adaptive_kernelIliDF16_DF16_ffEEvbT_S1_PKS1_NS_24const_host_device_scalarIT4_EES3_PKT0_PKT1_PKT2_S6_PT3_21rocsparse_index_base_b
                                        ; -- End function
	.set _ZN9rocsparseL27csrmvn_symm_adaptive_kernelIliDF16_DF16_ffEEvbT_S1_PKS1_NS_24const_host_device_scalarIT4_EES3_PKT0_PKT1_PKT2_S6_PT3_21rocsparse_index_base_b.num_vgpr, 22
	.set _ZN9rocsparseL27csrmvn_symm_adaptive_kernelIliDF16_DF16_ffEEvbT_S1_PKS1_NS_24const_host_device_scalarIT4_EES3_PKT0_PKT1_PKT2_S6_PT3_21rocsparse_index_base_b.num_agpr, 0
	.set _ZN9rocsparseL27csrmvn_symm_adaptive_kernelIliDF16_DF16_ffEEvbT_S1_PKS1_NS_24const_host_device_scalarIT4_EES3_PKT0_PKT1_PKT2_S6_PT3_21rocsparse_index_base_b.numbered_sgpr, 42
	.set _ZN9rocsparseL27csrmvn_symm_adaptive_kernelIliDF16_DF16_ffEEvbT_S1_PKS1_NS_24const_host_device_scalarIT4_EES3_PKT0_PKT1_PKT2_S6_PT3_21rocsparse_index_base_b.num_named_barrier, 0
	.set _ZN9rocsparseL27csrmvn_symm_adaptive_kernelIliDF16_DF16_ffEEvbT_S1_PKS1_NS_24const_host_device_scalarIT4_EES3_PKT0_PKT1_PKT2_S6_PT3_21rocsparse_index_base_b.private_seg_size, 0
	.set _ZN9rocsparseL27csrmvn_symm_adaptive_kernelIliDF16_DF16_ffEEvbT_S1_PKS1_NS_24const_host_device_scalarIT4_EES3_PKT0_PKT1_PKT2_S6_PT3_21rocsparse_index_base_b.uses_vcc, 1
	.set _ZN9rocsparseL27csrmvn_symm_adaptive_kernelIliDF16_DF16_ffEEvbT_S1_PKS1_NS_24const_host_device_scalarIT4_EES3_PKT0_PKT1_PKT2_S6_PT3_21rocsparse_index_base_b.uses_flat_scratch, 0
	.set _ZN9rocsparseL27csrmvn_symm_adaptive_kernelIliDF16_DF16_ffEEvbT_S1_PKS1_NS_24const_host_device_scalarIT4_EES3_PKT0_PKT1_PKT2_S6_PT3_21rocsparse_index_base_b.has_dyn_sized_stack, 0
	.set _ZN9rocsparseL27csrmvn_symm_adaptive_kernelIliDF16_DF16_ffEEvbT_S1_PKS1_NS_24const_host_device_scalarIT4_EES3_PKT0_PKT1_PKT2_S6_PT3_21rocsparse_index_base_b.has_recursion, 0
	.set _ZN9rocsparseL27csrmvn_symm_adaptive_kernelIliDF16_DF16_ffEEvbT_S1_PKS1_NS_24const_host_device_scalarIT4_EES3_PKT0_PKT1_PKT2_S6_PT3_21rocsparse_index_base_b.has_indirect_call, 0
	.section	.AMDGPU.csdata,"",@progbits
; Kernel info:
; codeLenInByte = 9748
; TotalNumSgprs: 44
; NumVgprs: 22
; ScratchSize: 0
; MemoryBound: 0
; FloatMode: 240
; IeeeMode: 1
; LDSByteSize: 4096 bytes/workgroup (compile time only)
; SGPRBlocks: 0
; VGPRBlocks: 2
; NumSGPRsForWavesPerEU: 44
; NumVGPRsForWavesPerEU: 22
; Occupancy: 16
; WaveLimiterHint : 1
; COMPUTE_PGM_RSRC2:SCRATCH_EN: 0
; COMPUTE_PGM_RSRC2:USER_SGPR: 2
; COMPUTE_PGM_RSRC2:TRAP_HANDLER: 0
; COMPUTE_PGM_RSRC2:TGID_X_EN: 1
; COMPUTE_PGM_RSRC2:TGID_Y_EN: 0
; COMPUTE_PGM_RSRC2:TGID_Z_EN: 0
; COMPUTE_PGM_RSRC2:TIDIG_COMP_CNT: 0
	.section	.text._ZL33csrmvn_symm_large_adaptive_kernelIliDF16_DF16_ffEvbT_PKS0_N9rocsparse24const_host_device_scalarIT4_EES2_PKT0_PKT1_PKT2_S6_PT3_21rocsparse_index_base_b,"axG",@progbits,_ZL33csrmvn_symm_large_adaptive_kernelIliDF16_DF16_ffEvbT_PKS0_N9rocsparse24const_host_device_scalarIT4_EES2_PKT0_PKT1_PKT2_S6_PT3_21rocsparse_index_base_b,comdat
	.globl	_ZL33csrmvn_symm_large_adaptive_kernelIliDF16_DF16_ffEvbT_PKS0_N9rocsparse24const_host_device_scalarIT4_EES2_PKT0_PKT1_PKT2_S6_PT3_21rocsparse_index_base_b ; -- Begin function _ZL33csrmvn_symm_large_adaptive_kernelIliDF16_DF16_ffEvbT_PKS0_N9rocsparse24const_host_device_scalarIT4_EES2_PKT0_PKT1_PKT2_S6_PT3_21rocsparse_index_base_b
	.p2align	8
	.type	_ZL33csrmvn_symm_large_adaptive_kernelIliDF16_DF16_ffEvbT_PKS0_N9rocsparse24const_host_device_scalarIT4_EES2_PKT0_PKT1_PKT2_S6_PT3_21rocsparse_index_base_b,@function
_ZL33csrmvn_symm_large_adaptive_kernelIliDF16_DF16_ffEvbT_PKS0_N9rocsparse24const_host_device_scalarIT4_EES2_PKT0_PKT1_PKT2_S6_PT3_21rocsparse_index_base_b: ; @_ZL33csrmvn_symm_large_adaptive_kernelIliDF16_DF16_ffEvbT_PKS0_N9rocsparse24const_host_device_scalarIT4_EES2_PKT0_PKT1_PKT2_S6_PT3_21rocsparse_index_base_b
; %bb.0:
	s_clause 0x2
	s_load_b64 s[6:7], s[0:1], 0x50
	s_load_b64 s[20:21], s[0:1], 0x18
	;; [unrolled: 1-line block ×3, first 2 shown]
	s_wait_kmcnt 0x0
	s_bitcmp1_b32 s7, 0
	s_cselect_b32 s4, -1, 0
	s_delay_alu instid0(SALU_CYCLE_1)
	s_and_b32 vcc_lo, exec_lo, s4
	s_xor_b32 s4, s4, -1
	s_cbranch_vccnz .LBB69_2
; %bb.1:
	s_load_b32 s20, s[20:21], 0x0
.LBB69_2:
	s_and_not1_b32 vcc_lo, exec_lo, s4
	s_cbranch_vccnz .LBB69_4
; %bb.3:
	s_load_b32 s2, s[2:3], 0x0
.LBB69_4:
	s_wait_kmcnt 0x0
	s_cmp_neq_f32 s20, 0
	s_mov_b32 s7, 0
	s_cselect_b32 s3, -1, 0
	s_cmp_neq_f32 s2, 1.0
	s_cselect_b32 s2, -1, 0
	s_delay_alu instid0(SALU_CYCLE_1) | instskip(NEXT) | instid1(SALU_CYCLE_1)
	s_or_b32 s2, s3, s2
	s_and_not1_b32 vcc_lo, exec_lo, s2
	s_cbranch_vccnz .LBB69_32
; %bb.5:
	s_load_b64 s[4:5], s[0:1], 0x10
	s_mov_b32 s2, ttmp9
	s_ashr_i32 s3, ttmp9, 31
	v_dual_mov_b32 v7, 0 :: v_dual_lshlrev_b32 v6, 2, v0
	s_lshl_b64 s[2:3], s[2:3], 3
	ds_store_2addr_stride64_b32 v6, v7, v7 offset1:4
	ds_store_2addr_stride64_b32 v6, v7, v7 offset0:8 offset1:12
	s_wait_dscnt 0x0
	s_barrier_signal -1
	s_barrier_wait -1
	global_inv scope:SCOPE_SE
	s_wait_kmcnt 0x0
	s_add_nc_u64 s[2:3], s[4:5], s[2:3]
	s_load_b128 s[16:19], s[2:3], 0x0
	s_clause 0x1
	s_load_b256 s[8:15], s[0:1], 0x20
	s_load_b64 s[22:23], s[0:1], 0x48
	v_sub_co_u32 v8, s1, v0, s6
	s_delay_alu instid0(VALU_DEP_1)
	v_sub_co_ci_u32_e64 v9, null, 0, 0, s1
	s_wait_kmcnt 0x0
	v_cmp_ge_i64_e64 s0, s[16:17], s[18:19]
	s_and_b32 vcc_lo, exec_lo, s0
	s_cbranch_vccnz .LBB69_23
; %bb.6:
	v_cmp_gt_u32_e64 s0, 64, v0
	v_cmp_gt_u32_e64 s1, 16, v0
	;; [unrolled: 1-line block ×3, first 2 shown]
	v_cmp_eq_u32_e64 s3, 0, v0
	s_mov_b64 s[24:25], s[16:17]
	s_branch .LBB69_8
.LBB69_7:                               ;   in Loop: Header=BB69_8 Depth=1
	s_wait_alu 0xfffe
	s_or_b32 exec_lo, exec_lo, s4
	s_add_nc_u64 s[24:25], s[24:25], 1
	s_wait_alu 0xfffe
	v_cmp_ge_i64_e64 s4, s[24:25], s[18:19]
	s_and_b32 vcc_lo, exec_lo, s4
	s_wait_alu 0xfffe
	s_cbranch_vccnz .LBB69_23
.LBB69_8:                               ; =>This Loop Header: Depth=1
                                        ;     Child Loop BB69_10 Depth 2
	s_lshl_b64 s[4:5], s[24:25], 3
	v_mov_b32_e32 v10, 0
	s_wait_alu 0xfffe
	s_add_nc_u64 s[4:5], s[8:9], s[4:5]
	s_load_b128 s[28:31], s[4:5], 0x0
	s_mov_b32 s5, exec_lo
	s_wait_kmcnt 0x0
	v_add_co_u32 v0, vcc_lo, s28, v8
	s_wait_alu 0xfffd
	v_add_co_ci_u32_e64 v1, null, s29, v9, vcc_lo
	s_sub_nc_u64 s[26:27], s[30:31], s[6:7]
	s_wait_alu 0xfffe
	v_cmpx_gt_i64_e64 s[26:27], v[0:1]
	s_cbranch_execz .LBB69_12
; %bb.9:                                ;   in Loop: Header=BB69_8 Depth=1
	v_lshlrev_b64_e32 v[2:3], 2, v[0:1]
	v_lshlrev_b64_e32 v[4:5], 1, v[0:1]
	v_mov_b32_e32 v10, 0
	s_mov_b32 s21, 0
	s_delay_alu instid0(VALU_DEP_3)
	v_add_co_u32 v2, vcc_lo, s10, v2
	s_wait_alu 0xfffd
	v_add_co_ci_u32_e64 v3, null, s11, v3, vcc_lo
	v_add_co_u32 v4, vcc_lo, s12, v4
	s_wait_alu 0xfffd
	v_add_co_ci_u32_e64 v5, null, s13, v5, vcc_lo
.LBB69_10:                              ;   Parent Loop BB69_8 Depth=1
                                        ; =>  This Inner Loop Header: Depth=2
	global_load_b32 v11, v[2:3], off
	s_wait_loadcnt 0x0
	v_subrev_nc_u32_e32 v11, s6, v11
	s_delay_alu instid0(VALU_DEP_1) | instskip(NEXT) | instid1(VALU_DEP_1)
	v_ashrrev_i32_e32 v12, 31, v11
	v_lshlrev_b64_e32 v[11:12], 1, v[11:12]
	s_delay_alu instid0(VALU_DEP_1) | instskip(SKIP_1) | instid1(VALU_DEP_2)
	v_add_co_u32 v11, vcc_lo, s14, v11
	s_wait_alu 0xfffd
	v_add_co_ci_u32_e64 v12, null, s15, v12, vcc_lo
	v_add_co_u32 v0, vcc_lo, 0x100, v0
	global_load_u16 v13, v[4:5], off
	global_load_u16 v11, v[11:12], off
	s_wait_alu 0xfffd
	v_add_co_ci_u32_e64 v1, null, 0, v1, vcc_lo
	v_add_co_u32 v2, vcc_lo, 0x400, v2
	s_wait_alu 0xfffd
	v_add_co_ci_u32_e64 v3, null, 0, v3, vcc_lo
	s_delay_alu instid0(VALU_DEP_3)
	v_cmp_le_i64_e32 vcc_lo, s[26:27], v[0:1]
	v_add_co_u32 v4, s4, 0x200, v4
	s_wait_alu 0xf1ff
	v_add_co_ci_u32_e64 v5, null, 0, v5, s4
	s_wait_alu 0xfffe
	s_or_b32 s21, vcc_lo, s21
	s_wait_loadcnt 0x0
	v_fma_mix_f32 v10, v13, v11, v10 op_sel_hi:[1,1,0]
	s_wait_alu 0xfffe
	s_and_not1_b32 exec_lo, exec_lo, s21
	s_cbranch_execnz .LBB69_10
; %bb.11:                               ;   in Loop: Header=BB69_8 Depth=1
	s_or_b32 exec_lo, exec_lo, s21
.LBB69_12:                              ;   in Loop: Header=BB69_8 Depth=1
	s_delay_alu instid0(SALU_CYCLE_1)
	s_or_b32 exec_lo, exec_lo, s5
	ds_store_b32 v6, v10
	s_wait_loadcnt_dscnt 0x0
	s_barrier_signal -1
	s_barrier_wait -1
	global_inv scope:SCOPE_SE
	ds_load_2addr_stride64_b32 v[0:1], v6 offset1:4
	ds_load_2addr_stride64_b32 v[2:3], v6 offset0:8 offset1:12
	s_wait_dscnt 0x0
	v_add_f32_e32 v1, v1, v2
	s_delay_alu instid0(VALU_DEP_1) | instskip(NEXT) | instid1(VALU_DEP_1)
	v_add_f32_e32 v1, v1, v3
	v_add_f32_e32 v0, v0, v1
	ds_store_b32 v6, v0
	s_wait_loadcnt_dscnt 0x0
	s_barrier_signal -1
	s_barrier_wait -1
	global_inv scope:SCOPE_SE
	s_and_saveexec_b32 s4, s0
	s_cbranch_execz .LBB69_14
; %bb.13:                               ;   in Loop: Header=BB69_8 Depth=1
	ds_load_2addr_stride64_b32 v[0:1], v6 offset1:1
	ds_load_2addr_stride64_b32 v[2:3], v6 offset0:2 offset1:3
	s_wait_dscnt 0x0
	v_add_f32_e32 v1, v1, v2
	s_delay_alu instid0(VALU_DEP_1) | instskip(NEXT) | instid1(VALU_DEP_1)
	v_add_f32_e32 v1, v1, v3
	v_add_f32_e32 v0, v0, v1
	ds_store_b32 v6, v0
.LBB69_14:                              ;   in Loop: Header=BB69_8 Depth=1
	s_wait_alu 0xfffe
	s_or_b32 exec_lo, exec_lo, s4
	s_wait_loadcnt_dscnt 0x0
	s_barrier_signal -1
	s_barrier_wait -1
	global_inv scope:SCOPE_SE
	s_and_saveexec_b32 s4, s1
	s_cbranch_execz .LBB69_16
; %bb.15:                               ;   in Loop: Header=BB69_8 Depth=1
	ds_load_2addr_b32 v[0:1], v6 offset1:16
	ds_load_2addr_b32 v[2:3], v6 offset0:32 offset1:48
	s_wait_dscnt 0x0
	v_add_f32_e32 v1, v1, v2
	s_delay_alu instid0(VALU_DEP_1) | instskip(NEXT) | instid1(VALU_DEP_1)
	v_add_f32_e32 v1, v1, v3
	v_add_f32_e32 v0, v0, v1
	ds_store_b32 v6, v0
.LBB69_16:                              ;   in Loop: Header=BB69_8 Depth=1
	s_wait_alu 0xfffe
	s_or_b32 exec_lo, exec_lo, s4
	s_wait_loadcnt_dscnt 0x0
	s_barrier_signal -1
	s_barrier_wait -1
	global_inv scope:SCOPE_SE
	s_and_saveexec_b32 s4, s2
	s_cbranch_execz .LBB69_18
; %bb.17:                               ;   in Loop: Header=BB69_8 Depth=1
	ds_load_2addr_b32 v[0:1], v6 offset1:4
	ds_load_2addr_b32 v[2:3], v6 offset0:8 offset1:12
	s_wait_dscnt 0x0
	v_add_f32_e32 v1, v1, v2
	s_delay_alu instid0(VALU_DEP_1) | instskip(NEXT) | instid1(VALU_DEP_1)
	v_add_f32_e32 v1, v1, v3
	v_add_f32_e32 v0, v0, v1
	ds_store_b32 v6, v0
.LBB69_18:                              ;   in Loop: Header=BB69_8 Depth=1
	s_wait_alu 0xfffe
	s_or_b32 exec_lo, exec_lo, s4
	s_wait_loadcnt_dscnt 0x0
	s_barrier_signal -1
	s_barrier_wait -1
	global_inv scope:SCOPE_SE
	s_and_saveexec_b32 s4, s3
	s_cbranch_execz .LBB69_20
; %bb.19:                               ;   in Loop: Header=BB69_8 Depth=1
	ds_load_2addr_b32 v[0:1], v7 offset0:1 offset1:2
	ds_load_b32 v2, v7 offset:12
	ds_load_b32 v3, v6
	s_wait_dscnt 0x2
	v_add_f32_e32 v0, v0, v1
	s_wait_dscnt 0x1
	s_delay_alu instid0(VALU_DEP_1) | instskip(SKIP_1) | instid1(VALU_DEP_1)
	v_add_f32_e32 v0, v0, v2
	s_wait_dscnt 0x0
	v_add_f32_e32 v0, v3, v0
	ds_store_b32 v6, v0
.LBB69_20:                              ;   in Loop: Header=BB69_8 Depth=1
	s_wait_alu 0xfffe
	s_or_b32 exec_lo, exec_lo, s4
	s_wait_loadcnt_dscnt 0x0
	s_barrier_signal -1
	s_barrier_wait -1
	global_inv scope:SCOPE_SE
	s_and_saveexec_b32 s4, s3
	s_cbranch_execz .LBB69_7
; %bb.21:                               ;   in Loop: Header=BB69_8 Depth=1
	s_mov_b32 s5, exec_lo
	s_wait_alu 0xfffe
	v_mbcnt_lo_u32_b32 v0, s5, 0
	s_delay_alu instid0(VALU_DEP_1)
	v_cmp_eq_u32_e32 vcc_lo, 0, v0
	s_and_b32 s21, exec_lo, vcc_lo
	s_wait_alu 0xfffe
	s_mov_b32 exec_lo, s21
	s_cbranch_execz .LBB69_7
; %bb.22:                               ;   in Loop: Header=BB69_8 Depth=1
	ds_load_b32 v0, v7
	s_bcnt1_i32_b32 s5, s5
	s_lshl_b64 s[26:27], s[24:25], 2
	s_wait_alu 0xfffe
	v_cvt_f32_ubyte0_e32 v1, s5
	s_add_nc_u64 s[26:27], s[22:23], s[26:27]
	s_wait_dscnt 0x0
	v_mul_f32_e32 v0, s20, v0
	s_delay_alu instid0(VALU_DEP_1)
	v_mul_f32_e32 v0, v0, v1
	global_atomic_add_f32 v7, v0, s[26:27] scope:SCOPE_DEV
	s_branch .LBB69_7
.LBB69_23:
	s_lshl_b64 s[0:1], s[16:17], 3
	s_lshl_b64 s[2:3], s[18:19], 3
	s_wait_alu 0xfffe
	s_add_nc_u64 s[0:1], s[8:9], s[0:1]
	s_add_nc_u64 s[2:3], s[8:9], s[2:3]
	s_clause 0x1
	s_load_b64 s[0:1], s[0:1], 0x0
	s_load_b64 s[2:3], s[2:3], 0x0
	s_wait_kmcnt 0x0
	v_add_co_u32 v0, vcc_lo, s0, v8
	s_wait_alu 0xfffd
	v_add_co_ci_u32_e64 v1, null, s1, v9, vcc_lo
	s_sub_nc_u64 s[2:3], s[2:3], s[6:7]
	s_mov_b32 s0, exec_lo
	v_cmpx_gt_i64_e64 s[2:3], v[0:1]
	s_cbranch_execz .LBB69_32
; %bb.24:
	s_add_nc_u64 s[4:5], s[18:19], -1
	s_add_nc_u64 s[0:1], s[18:19], -2
	s_wait_alu 0xfffe
	v_cmp_lt_i64_e64 s7, s[16:17], s[4:5]
	s_cmp_lg_u64 s[16:17], s[0:1]
	s_cselect_b32 s0, -1, 0
	s_wait_alu 0xfffe
	s_and_b32 s1, s7, s0
	s_mov_b32 s7, 0
	s_branch .LBB69_26
.LBB69_25:                              ;   in Loop: Header=BB69_26 Depth=1
	s_wait_alu 0xfffe
	s_or_b32 exec_lo, exec_lo, s0
	v_add_co_u32 v0, vcc_lo, 0x100, v0
	s_wait_alu 0xfffd
	v_add_co_ci_u32_e64 v1, null, 0, v1, vcc_lo
	s_delay_alu instid0(VALU_DEP_1)
	v_cmp_le_i64_e32 vcc_lo, s[2:3], v[0:1]
	s_or_b32 s7, vcc_lo, s7
	s_wait_alu 0xfffe
	s_and_not1_b32 exec_lo, exec_lo, s7
	s_cbranch_execz .LBB69_32
.LBB69_26:                              ; =>This Loop Header: Depth=1
                                        ;     Child Loop BB69_28 Depth 2
	v_dual_mov_b32 v2, s16 :: v_dual_mov_b32 v3, s17
	v_dual_mov_b32 v4, s4 :: v_dual_mov_b32 v5, s5
	s_wait_alu 0xfffe
	s_and_not1_b32 vcc_lo, exec_lo, s1
	s_wait_alu 0xfffe
	s_cbranch_vccnz .LBB69_30
; %bb.27:                               ;   in Loop: Header=BB69_26 Depth=1
	v_dual_mov_b32 v2, s16 :: v_dual_mov_b32 v3, s17
	v_dual_mov_b32 v4, s4 :: v_dual_mov_b32 v5, s5
	s_mov_b32 s18, 0
.LBB69_28:                              ;   Parent Loop BB69_26 Depth=1
                                        ; =>  This Inner Loop Header: Depth=2
	s_delay_alu instid0(VALU_DEP_1) | instskip(SKIP_1) | instid1(VALU_DEP_2)
	v_add_co_u32 v6, vcc_lo, v4, v2
	s_wait_alu 0xfffd
	v_add_co_ci_u32_e64 v7, null, v5, v3, vcc_lo
	s_delay_alu instid0(VALU_DEP_1) | instskip(NEXT) | instid1(VALU_DEP_1)
	v_lshrrev_b32_e32 v8, 31, v7
	v_add_co_u32 v6, vcc_lo, v6, v8
	s_wait_alu 0xfffd
	v_add_co_ci_u32_e64 v7, null, 0, v7, vcc_lo
	s_delay_alu instid0(VALU_DEP_1) | instskip(NEXT) | instid1(VALU_DEP_1)
	v_ashrrev_i64 v[6:7], 1, v[6:7]
	v_lshlrev_b64_e32 v[8:9], 3, v[6:7]
	s_delay_alu instid0(VALU_DEP_1) | instskip(SKIP_1) | instid1(VALU_DEP_2)
	v_add_co_u32 v8, vcc_lo, s8, v8
	s_wait_alu 0xfffd
	v_add_co_ci_u32_e64 v9, null, s9, v9, vcc_lo
	global_load_b64 v[8:9], v[8:9], off
	s_wait_loadcnt 0x0
	v_sub_co_u32 v8, vcc_lo, v8, s6
	s_wait_alu 0xfffd
	v_subrev_co_ci_u32_e64 v9, null, 0, v9, vcc_lo
	s_delay_alu instid0(VALU_DEP_1) | instskip(SKIP_3) | instid1(VALU_DEP_2)
	v_cmp_lt_i64_e32 vcc_lo, v[0:1], v[8:9]
	s_wait_alu 0xfffd
	v_dual_cndmask_b32 v5, v5, v7 :: v_dual_cndmask_b32 v4, v4, v6
	v_dual_cndmask_b32 v3, v7, v3 :: v_dual_cndmask_b32 v2, v6, v2
	v_add_co_u32 v6, vcc_lo, v4, -1
	s_wait_alu 0xfffd
	s_delay_alu instid0(VALU_DEP_3) | instskip(NEXT) | instid1(VALU_DEP_3)
	v_add_co_ci_u32_e64 v7, null, -1, v5, vcc_lo
	v_cmp_ge_i64_e32 vcc_lo, v[2:3], v[4:5]
	s_delay_alu instid0(VALU_DEP_2)
	v_cmp_eq_u64_e64 s0, v[2:3], v[6:7]
	s_or_b32 s0, vcc_lo, s0
	s_wait_alu 0xfffe
	s_and_b32 s0, exec_lo, s0
	s_wait_alu 0xfffe
	s_or_b32 s18, s0, s18
	s_wait_alu 0xfffe
	s_and_not1_b32 exec_lo, exec_lo, s18
	s_cbranch_execnz .LBB69_28
; %bb.29:                               ;   in Loop: Header=BB69_26 Depth=1
	s_or_b32 exec_lo, exec_lo, s18
.LBB69_30:                              ;   in Loop: Header=BB69_26 Depth=1
	v_lshlrev_b64_e32 v[6:7], 3, v[4:5]
	v_lshlrev_b64_e32 v[8:9], 2, v[0:1]
	s_mov_b32 s0, exec_lo
	s_delay_alu instid0(VALU_DEP_2) | instskip(SKIP_1) | instid1(VALU_DEP_3)
	v_add_co_u32 v6, vcc_lo, s8, v6
	s_wait_alu 0xfffd
	v_add_co_ci_u32_e64 v7, null, s9, v7, vcc_lo
	s_delay_alu instid0(VALU_DEP_3)
	v_add_co_u32 v8, vcc_lo, s10, v8
	s_wait_alu 0xfffd
	v_add_co_ci_u32_e64 v9, null, s11, v9, vcc_lo
	global_load_b64 v[6:7], v[6:7], off
	global_load_b32 v8, v[8:9], off
	s_wait_loadcnt 0x1
	v_sub_co_u32 v6, vcc_lo, v6, s6
	s_wait_alu 0xfffd
	v_subrev_co_ci_u32_e64 v7, null, 0, v7, vcc_lo
	s_delay_alu instid0(VALU_DEP_1) | instskip(SKIP_2) | instid1(VALU_DEP_1)
	v_cmp_lt_i64_e32 vcc_lo, v[0:1], v[6:7]
	s_wait_loadcnt 0x0
	v_subrev_nc_u32_e32 v6, s6, v8
	v_ashrrev_i32_e32 v7, 31, v6
	s_wait_alu 0xfffd
	v_dual_cndmask_b32 v3, v5, v3 :: v_dual_cndmask_b32 v2, v4, v2
	s_delay_alu instid0(VALU_DEP_1)
	v_cmpx_ne_u64_e64 v[2:3], v[6:7]
	s_cbranch_execz .LBB69_25
; %bb.31:                               ;   in Loop: Header=BB69_26 Depth=1
	v_lshlrev_b64_e32 v[4:5], 1, v[0:1]
	v_lshlrev_b64_e32 v[2:3], 1, v[2:3]
	s_delay_alu instid0(VALU_DEP_2) | instskip(SKIP_1) | instid1(VALU_DEP_3)
	v_add_co_u32 v4, vcc_lo, s12, v4
	s_wait_alu 0xfffd
	v_add_co_ci_u32_e64 v5, null, s13, v5, vcc_lo
	s_delay_alu instid0(VALU_DEP_3)
	v_add_co_u32 v2, vcc_lo, s14, v2
	s_wait_alu 0xfffd
	v_add_co_ci_u32_e64 v3, null, s15, v3, vcc_lo
	global_load_u16 v4, v[4:5], off
	global_load_u16 v5, v[2:3], off
	v_lshlrev_b64_e32 v[2:3], 2, v[6:7]
	s_delay_alu instid0(VALU_DEP_1) | instskip(SKIP_1) | instid1(VALU_DEP_2)
	v_add_co_u32 v2, vcc_lo, s22, v2
	s_wait_alu 0xfffd
	v_add_co_ci_u32_e64 v3, null, s23, v3, vcc_lo
	s_wait_loadcnt 0x1
	v_cvt_f32_f16_e32 v4, v4
	s_wait_loadcnt 0x0
	v_cvt_f32_f16_e32 v5, v5
	s_delay_alu instid0(VALU_DEP_2) | instskip(NEXT) | instid1(VALU_DEP_1)
	v_mul_f32_e32 v4, s20, v4
	v_mul_f32_e32 v4, v4, v5
	global_atomic_add_f32 v[2:3], v4, off scope:SCOPE_DEV
	s_branch .LBB69_25
.LBB69_32:
	s_endpgm
	.section	.rodata,"a",@progbits
	.p2align	6, 0x0
	.amdhsa_kernel _ZL33csrmvn_symm_large_adaptive_kernelIliDF16_DF16_ffEvbT_PKS0_N9rocsparse24const_host_device_scalarIT4_EES2_PKT0_PKT1_PKT2_S6_PT3_21rocsparse_index_base_b
		.amdhsa_group_segment_fixed_size 4096
		.amdhsa_private_segment_fixed_size 0
		.amdhsa_kernarg_size 88
		.amdhsa_user_sgpr_count 2
		.amdhsa_user_sgpr_dispatch_ptr 0
		.amdhsa_user_sgpr_queue_ptr 0
		.amdhsa_user_sgpr_kernarg_segment_ptr 1
		.amdhsa_user_sgpr_dispatch_id 0
		.amdhsa_user_sgpr_private_segment_size 0
		.amdhsa_wavefront_size32 1
		.amdhsa_uses_dynamic_stack 0
		.amdhsa_enable_private_segment 0
		.amdhsa_system_sgpr_workgroup_id_x 1
		.amdhsa_system_sgpr_workgroup_id_y 0
		.amdhsa_system_sgpr_workgroup_id_z 0
		.amdhsa_system_sgpr_workgroup_info 0
		.amdhsa_system_vgpr_workitem_id 0
		.amdhsa_next_free_vgpr 14
		.amdhsa_next_free_sgpr 32
		.amdhsa_reserve_vcc 1
		.amdhsa_float_round_mode_32 0
		.amdhsa_float_round_mode_16_64 0
		.amdhsa_float_denorm_mode_32 3
		.amdhsa_float_denorm_mode_16_64 3
		.amdhsa_fp16_overflow 0
		.amdhsa_workgroup_processor_mode 1
		.amdhsa_memory_ordered 1
		.amdhsa_forward_progress 1
		.amdhsa_inst_pref_size 16
		.amdhsa_round_robin_scheduling 0
		.amdhsa_exception_fp_ieee_invalid_op 0
		.amdhsa_exception_fp_denorm_src 0
		.amdhsa_exception_fp_ieee_div_zero 0
		.amdhsa_exception_fp_ieee_overflow 0
		.amdhsa_exception_fp_ieee_underflow 0
		.amdhsa_exception_fp_ieee_inexact 0
		.amdhsa_exception_int_div_zero 0
	.end_amdhsa_kernel
	.section	.text._ZL33csrmvn_symm_large_adaptive_kernelIliDF16_DF16_ffEvbT_PKS0_N9rocsparse24const_host_device_scalarIT4_EES2_PKT0_PKT1_PKT2_S6_PT3_21rocsparse_index_base_b,"axG",@progbits,_ZL33csrmvn_symm_large_adaptive_kernelIliDF16_DF16_ffEvbT_PKS0_N9rocsparse24const_host_device_scalarIT4_EES2_PKT0_PKT1_PKT2_S6_PT3_21rocsparse_index_base_b,comdat
.Lfunc_end69:
	.size	_ZL33csrmvn_symm_large_adaptive_kernelIliDF16_DF16_ffEvbT_PKS0_N9rocsparse24const_host_device_scalarIT4_EES2_PKT0_PKT1_PKT2_S6_PT3_21rocsparse_index_base_b, .Lfunc_end69-_ZL33csrmvn_symm_large_adaptive_kernelIliDF16_DF16_ffEvbT_PKS0_N9rocsparse24const_host_device_scalarIT4_EES2_PKT0_PKT1_PKT2_S6_PT3_21rocsparse_index_base_b
                                        ; -- End function
	.set _ZL33csrmvn_symm_large_adaptive_kernelIliDF16_DF16_ffEvbT_PKS0_N9rocsparse24const_host_device_scalarIT4_EES2_PKT0_PKT1_PKT2_S6_PT3_21rocsparse_index_base_b.num_vgpr, 14
	.set _ZL33csrmvn_symm_large_adaptive_kernelIliDF16_DF16_ffEvbT_PKS0_N9rocsparse24const_host_device_scalarIT4_EES2_PKT0_PKT1_PKT2_S6_PT3_21rocsparse_index_base_b.num_agpr, 0
	.set _ZL33csrmvn_symm_large_adaptive_kernelIliDF16_DF16_ffEvbT_PKS0_N9rocsparse24const_host_device_scalarIT4_EES2_PKT0_PKT1_PKT2_S6_PT3_21rocsparse_index_base_b.numbered_sgpr, 32
	.set _ZL33csrmvn_symm_large_adaptive_kernelIliDF16_DF16_ffEvbT_PKS0_N9rocsparse24const_host_device_scalarIT4_EES2_PKT0_PKT1_PKT2_S6_PT3_21rocsparse_index_base_b.num_named_barrier, 0
	.set _ZL33csrmvn_symm_large_adaptive_kernelIliDF16_DF16_ffEvbT_PKS0_N9rocsparse24const_host_device_scalarIT4_EES2_PKT0_PKT1_PKT2_S6_PT3_21rocsparse_index_base_b.private_seg_size, 0
	.set _ZL33csrmvn_symm_large_adaptive_kernelIliDF16_DF16_ffEvbT_PKS0_N9rocsparse24const_host_device_scalarIT4_EES2_PKT0_PKT1_PKT2_S6_PT3_21rocsparse_index_base_b.uses_vcc, 1
	.set _ZL33csrmvn_symm_large_adaptive_kernelIliDF16_DF16_ffEvbT_PKS0_N9rocsparse24const_host_device_scalarIT4_EES2_PKT0_PKT1_PKT2_S6_PT3_21rocsparse_index_base_b.uses_flat_scratch, 0
	.set _ZL33csrmvn_symm_large_adaptive_kernelIliDF16_DF16_ffEvbT_PKS0_N9rocsparse24const_host_device_scalarIT4_EES2_PKT0_PKT1_PKT2_S6_PT3_21rocsparse_index_base_b.has_dyn_sized_stack, 0
	.set _ZL33csrmvn_symm_large_adaptive_kernelIliDF16_DF16_ffEvbT_PKS0_N9rocsparse24const_host_device_scalarIT4_EES2_PKT0_PKT1_PKT2_S6_PT3_21rocsparse_index_base_b.has_recursion, 0
	.set _ZL33csrmvn_symm_large_adaptive_kernelIliDF16_DF16_ffEvbT_PKS0_N9rocsparse24const_host_device_scalarIT4_EES2_PKT0_PKT1_PKT2_S6_PT3_21rocsparse_index_base_b.has_indirect_call, 0
	.section	.AMDGPU.csdata,"",@progbits
; Kernel info:
; codeLenInByte = 2016
; TotalNumSgprs: 34
; NumVgprs: 14
; ScratchSize: 0
; MemoryBound: 0
; FloatMode: 240
; IeeeMode: 1
; LDSByteSize: 4096 bytes/workgroup (compile time only)
; SGPRBlocks: 0
; VGPRBlocks: 1
; NumSGPRsForWavesPerEU: 34
; NumVGPRsForWavesPerEU: 14
; Occupancy: 16
; WaveLimiterHint : 1
; COMPUTE_PGM_RSRC2:SCRATCH_EN: 0
; COMPUTE_PGM_RSRC2:USER_SGPR: 2
; COMPUTE_PGM_RSRC2:TRAP_HANDLER: 0
; COMPUTE_PGM_RSRC2:TGID_X_EN: 1
; COMPUTE_PGM_RSRC2:TGID_Y_EN: 0
; COMPUTE_PGM_RSRC2:TGID_Z_EN: 0
; COMPUTE_PGM_RSRC2:TIDIG_COMP_CNT: 0
	.section	.text._ZN9rocsparseL22csrmvn_adaptive_kernelIllDF16_DF16_ffEEvbT_PKS1_PjPKT0_NS_24const_host_device_scalarIT4_EES3_S7_PKT1_PKT2_SA_PT3_21rocsparse_index_base_b,"axG",@progbits,_ZN9rocsparseL22csrmvn_adaptive_kernelIllDF16_DF16_ffEEvbT_PKS1_PjPKT0_NS_24const_host_device_scalarIT4_EES3_S7_PKT1_PKT2_SA_PT3_21rocsparse_index_base_b,comdat
	.globl	_ZN9rocsparseL22csrmvn_adaptive_kernelIllDF16_DF16_ffEEvbT_PKS1_PjPKT0_NS_24const_host_device_scalarIT4_EES3_S7_PKT1_PKT2_SA_PT3_21rocsparse_index_base_b ; -- Begin function _ZN9rocsparseL22csrmvn_adaptive_kernelIllDF16_DF16_ffEEvbT_PKS1_PjPKT0_NS_24const_host_device_scalarIT4_EES3_S7_PKT1_PKT2_SA_PT3_21rocsparse_index_base_b
	.p2align	8
	.type	_ZN9rocsparseL22csrmvn_adaptive_kernelIllDF16_DF16_ffEEvbT_PKS1_PjPKT0_NS_24const_host_device_scalarIT4_EES3_S7_PKT1_PKT2_SA_PT3_21rocsparse_index_base_b,@function
_ZN9rocsparseL22csrmvn_adaptive_kernelIllDF16_DF16_ffEEvbT_PKS1_PjPKT0_NS_24const_host_device_scalarIT4_EES3_S7_PKT1_PKT2_SA_PT3_21rocsparse_index_base_b: ; @_ZN9rocsparseL22csrmvn_adaptive_kernelIllDF16_DF16_ffEEvbT_PKS1_PjPKT0_NS_24const_host_device_scalarIT4_EES3_S7_PKT1_PKT2_SA_PT3_21rocsparse_index_base_b
; %bb.0:
	s_clause 0x2
	s_load_b64 s[38:39], s[0:1], 0x60
	s_load_b64 s[36:37], s[0:1], 0x28
	;; [unrolled: 1-line block ×3, first 2 shown]
	s_wait_kmcnt 0x0
	s_bitcmp1_b32 s39, 0
	s_cselect_b32 s2, -1, 0
	s_delay_alu instid0(SALU_CYCLE_1)
	s_and_b32 vcc_lo, exec_lo, s2
	s_xor_b32 s2, s2, -1
	s_cbranch_vccnz .LBB70_2
; %bb.1:
	s_load_b32 s36, s[36:37], 0x0
.LBB70_2:
	s_and_not1_b32 vcc_lo, exec_lo, s2
	s_cbranch_vccnz .LBB70_4
; %bb.3:
	s_load_b32 s24, s[24:25], 0x0
.LBB70_4:
	s_wait_kmcnt 0x0
	s_cmp_neq_f32 s36, 0
	s_cselect_b32 s2, -1, 0
	s_cmp_neq_f32 s24, 1.0
	s_cselect_b32 s3, -1, 0
	s_delay_alu instid0(SALU_CYCLE_1) | instskip(NEXT) | instid1(SALU_CYCLE_1)
	s_or_b32 s2, s2, s3
	s_and_not1_b32 vcc_lo, exec_lo, s2
	s_cbranch_vccnz .LBB70_114
; %bb.5:
	s_clause 0x1
	s_load_b64 s[2:3], s[0:1], 0x10
	s_load_b64 s[6:7], s[0:1], 0x20
	s_mov_b32 s40, ttmp9
	s_ashr_i32 s41, ttmp9, 31
	s_delay_alu instid0(SALU_CYCLE_1)
	s_lshl_b64 s[4:5], s[40:41], 3
	s_wait_kmcnt 0x0
	s_add_nc_u64 s[2:3], s[2:3], s[4:5]
	s_add_nc_u64 s[4:5], s[6:7], s[4:5]
	s_load_b128 s[20:23], s[2:3], 0x0
	s_clause 0x1
	s_load_b256 s[12:19], s[0:1], 0x30
	s_load_b64 s[26:27], s[0:1], 0x58
	s_wait_kmcnt 0x0
	s_lshl_b64 s[2:3], s[20:21], 3
	s_delay_alu instid0(SALU_CYCLE_1) | instskip(SKIP_3) | instid1(SALU_CYCLE_1)
	s_add_nc_u64 s[34:35], s[12:13], s[2:3]
	s_load_b64 s[28:29], s[4:5], 0x0
	s_load_b64 s[30:31], s[34:35], 0x0
	s_sub_nc_u64 s[2:3], s[22:23], s[20:21]
	v_cmp_lt_i64_e64 s4, s[2:3], 2
	s_and_b32 vcc_lo, exec_lo, s4
	s_mov_b32 s4, -1
	s_cbranch_vccz .LBB70_70
; %bb.6:
	s_cmp_lg_u64 s[2:3], 1
	v_cmp_gt_u32_e64 s2, 0x80, v0
	s_cselect_b32 s4, -1, 0
	s_wait_kmcnt 0x0
	s_cmp_lg_u64 s[28:29], 0
	v_cmp_gt_u32_e64 s3, 64, v0
	s_cselect_b32 s5, -1, 0
	v_cmp_gt_u32_e64 s6, 8, v0
	s_or_b32 s5, s4, s5
	v_cmp_gt_u32_e64 s4, 32, v0
	s_and_b32 vcc_lo, exec_lo, s5
	v_cmp_gt_u32_e64 s5, 16, v0
	v_cmp_gt_u32_e64 s7, 4, v0
	;; [unrolled: 1-line block ×3, first 2 shown]
	v_cmp_eq_u32_e64 s9, 0, v0
	s_mov_b32 s10, -1
	s_cbranch_vccnz .LBB70_34
; %bb.7:
	v_sub_co_u32 v8, s10, v0, s38
	s_cmp_neq_f32 s24, 0
	v_dual_mov_b32 v7, 0 :: v_dual_lshlrev_b32 v10, 2, v0
	v_sub_co_ci_u32_e64 v9, null, 0, 0, s10
	s_cselect_b32 s11, -1, 0
	s_mov_b32 s39, 0
	s_mov_b64 s[42:43], s[20:21]
	s_branch .LBB70_10
.LBB70_8:                               ;   in Loop: Header=BB70_10 Depth=1
	s_lshl_b64 s[44:45], s[42:43], 2
	s_wait_alu 0xfffe
	s_add_nc_u64 s[44:45], s[26:27], s[44:45]
	s_wait_dscnt 0x0
	global_store_b32 v7, v1, s[44:45]
.LBB70_9:                               ;   in Loop: Header=BB70_10 Depth=1
	s_wait_alu 0xfffe
	s_or_b32 exec_lo, exec_lo, s10
	s_add_nc_u64 s[42:43], s[42:43], 1
	s_wait_alu 0xfffe
	v_cmp_ge_i64_e64 s10, s[42:43], s[22:23]
	s_and_b32 vcc_lo, exec_lo, s10
	s_wait_alu 0xfffe
	s_cbranch_vccnz .LBB70_33
.LBB70_10:                              ; =>This Loop Header: Depth=1
                                        ;     Child Loop BB70_12 Depth 2
	s_lshl_b64 s[44:45], s[42:43], 3
	v_mov_b32_e32 v11, 0
	s_wait_alu 0xfffe
	s_add_nc_u64 s[44:45], s[12:13], s[44:45]
	s_mov_b32 s25, exec_lo
	s_load_b128 s[44:47], s[44:45], 0x0
	s_wait_kmcnt 0x0
	v_add_co_u32 v1, vcc_lo, s44, v8
	s_wait_alu 0xfffd
	v_add_co_ci_u32_e64 v2, null, s45, v9, vcc_lo
	s_sub_nc_u64 s[44:45], s[46:47], s[38:39]
	s_wait_alu 0xfffe
	v_cmpx_gt_i64_e64 s[44:45], v[1:2]
	s_cbranch_execz .LBB70_14
; %bb.11:                               ;   in Loop: Header=BB70_10 Depth=1
	v_lshlrev_b64_e32 v[3:4], 1, v[1:2]
	v_lshlrev_b64_e32 v[5:6], 3, v[1:2]
	v_mov_b32_e32 v11, 0
	s_mov_b32 s33, 0
	s_delay_alu instid0(VALU_DEP_3)
	v_add_co_u32 v3, vcc_lo, s16, v3
	s_wait_alu 0xfffd
	v_add_co_ci_u32_e64 v4, null, s17, v4, vcc_lo
	v_add_co_u32 v5, vcc_lo, s14, v5
	s_wait_alu 0xfffd
	v_add_co_ci_u32_e64 v6, null, s15, v6, vcc_lo
.LBB70_12:                              ;   Parent Loop BB70_10 Depth=1
                                        ; =>  This Inner Loop Header: Depth=2
	global_load_b64 v[12:13], v[5:6], off
	global_load_u16 v14, v[3:4], off
	v_add_co_u32 v5, s10, 0x800, v5
	s_wait_alu 0xf1ff
	v_add_co_ci_u32_e64 v6, null, 0, v6, s10
	s_wait_loadcnt 0x1
	v_sub_co_u32 v12, vcc_lo, v12, s38
	s_wait_alu 0xfffd
	v_subrev_co_ci_u32_e64 v13, null, 0, v13, vcc_lo
	s_delay_alu instid0(VALU_DEP_1) | instskip(NEXT) | instid1(VALU_DEP_1)
	v_lshlrev_b64_e32 v[12:13], 1, v[12:13]
	v_add_co_u32 v12, vcc_lo, s18, v12
	s_wait_alu 0xfffd
	s_delay_alu instid0(VALU_DEP_2)
	v_add_co_ci_u32_e64 v13, null, s19, v13, vcc_lo
	v_add_co_u32 v1, vcc_lo, 0x100, v1
	s_wait_alu 0xfffd
	v_add_co_ci_u32_e64 v2, null, 0, v2, vcc_lo
	global_load_u16 v12, v[12:13], off
	s_wait_loadcnt 0x1
	v_cvt_f32_f16_e32 v13, v14
	v_add_co_u32 v3, vcc_lo, 0x200, v3
	s_wait_alu 0xfffd
	v_add_co_ci_u32_e64 v4, null, 0, v4, vcc_lo
	s_delay_alu instid0(VALU_DEP_3) | instskip(SKIP_3) | instid1(VALU_DEP_2)
	v_mul_f32_e32 v13, s36, v13
	v_cmp_le_i64_e32 vcc_lo, s[44:45], v[1:2]
	s_or_b32 s33, vcc_lo, s33
	s_wait_loadcnt 0x0
	v_fma_mix_f32 v11, v13, v12, v11 op_sel_hi:[0,1,0]
	s_and_not1_b32 exec_lo, exec_lo, s33
	s_cbranch_execnz .LBB70_12
; %bb.13:                               ;   in Loop: Header=BB70_10 Depth=1
	s_or_b32 exec_lo, exec_lo, s33
.LBB70_14:                              ;   in Loop: Header=BB70_10 Depth=1
	s_delay_alu instid0(SALU_CYCLE_1)
	s_or_b32 exec_lo, exec_lo, s25
	ds_store_b32 v10, v11
	s_wait_dscnt 0x0
	s_barrier_signal -1
	s_barrier_wait -1
	global_inv scope:SCOPE_SE
	s_and_saveexec_b32 s10, s2
	s_cbranch_execz .LBB70_16
; %bb.15:                               ;   in Loop: Header=BB70_10 Depth=1
	ds_load_2addr_stride64_b32 v[1:2], v10 offset1:2
	s_wait_dscnt 0x0
	v_add_f32_e32 v1, v1, v2
	ds_store_b32 v10, v1
.LBB70_16:                              ;   in Loop: Header=BB70_10 Depth=1
	s_wait_alu 0xfffe
	s_or_b32 exec_lo, exec_lo, s10
	s_wait_loadcnt_dscnt 0x0
	s_barrier_signal -1
	s_barrier_wait -1
	global_inv scope:SCOPE_SE
	s_and_saveexec_b32 s10, s3
	s_cbranch_execz .LBB70_18
; %bb.17:                               ;   in Loop: Header=BB70_10 Depth=1
	ds_load_2addr_stride64_b32 v[1:2], v10 offset1:1
	s_wait_dscnt 0x0
	v_add_f32_e32 v1, v1, v2
	ds_store_b32 v10, v1
.LBB70_18:                              ;   in Loop: Header=BB70_10 Depth=1
	s_wait_alu 0xfffe
	s_or_b32 exec_lo, exec_lo, s10
	s_wait_loadcnt_dscnt 0x0
	s_barrier_signal -1
	s_barrier_wait -1
	global_inv scope:SCOPE_SE
	s_and_saveexec_b32 s10, s4
	s_cbranch_execz .LBB70_20
; %bb.19:                               ;   in Loop: Header=BB70_10 Depth=1
	ds_load_2addr_b32 v[1:2], v10 offset1:32
	s_wait_dscnt 0x0
	v_add_f32_e32 v1, v1, v2
	ds_store_b32 v10, v1
.LBB70_20:                              ;   in Loop: Header=BB70_10 Depth=1
	s_wait_alu 0xfffe
	s_or_b32 exec_lo, exec_lo, s10
	s_wait_loadcnt_dscnt 0x0
	s_barrier_signal -1
	s_barrier_wait -1
	global_inv scope:SCOPE_SE
	s_and_saveexec_b32 s10, s5
	s_cbranch_execz .LBB70_22
; %bb.21:                               ;   in Loop: Header=BB70_10 Depth=1
	ds_load_2addr_b32 v[1:2], v10 offset1:16
	s_wait_dscnt 0x0
	v_add_f32_e32 v1, v1, v2
	ds_store_b32 v10, v1
.LBB70_22:                              ;   in Loop: Header=BB70_10 Depth=1
	s_wait_alu 0xfffe
	s_or_b32 exec_lo, exec_lo, s10
	s_wait_loadcnt_dscnt 0x0
	s_barrier_signal -1
	s_barrier_wait -1
	global_inv scope:SCOPE_SE
	s_and_saveexec_b32 s10, s6
	s_cbranch_execz .LBB70_24
; %bb.23:                               ;   in Loop: Header=BB70_10 Depth=1
	ds_load_2addr_b32 v[1:2], v10 offset1:8
	s_wait_dscnt 0x0
	v_add_f32_e32 v1, v1, v2
	ds_store_b32 v10, v1
.LBB70_24:                              ;   in Loop: Header=BB70_10 Depth=1
	s_wait_alu 0xfffe
	s_or_b32 exec_lo, exec_lo, s10
	s_wait_loadcnt_dscnt 0x0
	s_barrier_signal -1
	s_barrier_wait -1
	global_inv scope:SCOPE_SE
	s_and_saveexec_b32 s10, s7
	s_cbranch_execz .LBB70_26
; %bb.25:                               ;   in Loop: Header=BB70_10 Depth=1
	ds_load_2addr_b32 v[1:2], v10 offset1:4
	s_wait_dscnt 0x0
	v_add_f32_e32 v1, v1, v2
	ds_store_b32 v10, v1
.LBB70_26:                              ;   in Loop: Header=BB70_10 Depth=1
	s_wait_alu 0xfffe
	s_or_b32 exec_lo, exec_lo, s10
	s_wait_loadcnt_dscnt 0x0
	s_barrier_signal -1
	s_barrier_wait -1
	global_inv scope:SCOPE_SE
	s_and_saveexec_b32 s10, s8
	s_cbranch_execz .LBB70_28
; %bb.27:                               ;   in Loop: Header=BB70_10 Depth=1
	ds_load_2addr_b32 v[1:2], v10 offset1:2
	s_wait_dscnt 0x0
	v_add_f32_e32 v1, v1, v2
	ds_store_b32 v10, v1
.LBB70_28:                              ;   in Loop: Header=BB70_10 Depth=1
	s_wait_alu 0xfffe
	s_or_b32 exec_lo, exec_lo, s10
	s_wait_loadcnt_dscnt 0x0
	s_barrier_signal -1
	s_barrier_wait -1
	global_inv scope:SCOPE_SE
	s_and_saveexec_b32 s10, s9
	s_cbranch_execz .LBB70_30
; %bb.29:                               ;   in Loop: Header=BB70_10 Depth=1
	ds_load_b64 v[1:2], v7
	s_wait_dscnt 0x0
	v_add_f32_e32 v1, v1, v2
	ds_store_b32 v7, v1
.LBB70_30:                              ;   in Loop: Header=BB70_10 Depth=1
	s_wait_alu 0xfffe
	s_or_b32 exec_lo, exec_lo, s10
	s_wait_loadcnt_dscnt 0x0
	s_barrier_signal -1
	s_barrier_wait -1
	global_inv scope:SCOPE_SE
	s_and_saveexec_b32 s10, s9
	s_cbranch_execz .LBB70_9
; %bb.31:                               ;   in Loop: Header=BB70_10 Depth=1
	ds_load_b32 v1, v7
	s_and_not1_b32 vcc_lo, exec_lo, s11
	s_wait_alu 0xfffe
	s_cbranch_vccnz .LBB70_8
; %bb.32:                               ;   in Loop: Header=BB70_10 Depth=1
	s_lshl_b64 s[44:45], s[42:43], 2
	s_wait_alu 0xfffe
	s_add_nc_u64 s[44:45], s[26:27], s[44:45]
	global_load_b32 v2, v7, s[44:45]
	s_wait_loadcnt_dscnt 0x0
	v_fmac_f32_e32 v1, s24, v2
	s_branch .LBB70_8
.LBB70_33:
	s_mov_b32 s10, 0
.LBB70_34:
	s_wait_alu 0xfffe
	s_and_b32 vcc_lo, exec_lo, s10
	s_wait_alu 0xfffe
	s_cbranch_vccz .LBB70_69
; %bb.35:
	s_load_b64 s[6:7], s[0:1], 0x18
	v_mov_b32_e32 v8, 0
	s_lshl_b64 s[2:3], s[40:41], 2
	s_cmp_lg_u64 s[28:29], 0
	v_cmp_eq_u32_e32 vcc_lo, 0, v0
	s_cselect_b32 s25, -1, 0
	s_cmp_eq_u64 s[28:29], 0
	s_sub_nc_u64 s[8:9], s[40:41], s[28:29]
	s_mov_b32 s39, 0
	s_wait_kmcnt 0x0
	s_wait_alu 0xfffe
	s_add_nc_u64 s[4:5], s[6:7], s[2:3]
	s_cselect_b32 s2, -1, 0
	global_load_b32 v7, v8, s[4:5]
	s_wait_alu 0xfffe
	s_and_b32 s2, vcc_lo, s2
	s_wait_alu 0xfffe
	s_and_saveexec_b32 s3, s2
	s_cbranch_execz .LBB70_39
; %bb.36:
	v_mov_b32_e32 v1, 0
	s_lshl_b64 s[40:41], s[20:21], 2
	s_mov_b32 s10, exec_lo
	s_add_nc_u64 s[40:41], s[26:27], s[40:41]
	s_wait_alu 0xfffe
	v_mbcnt_lo_u32_b32 v3, s10, 0
	global_load_b32 v2, v1, s[40:41]
	s_add_f32 s11, s24, -1.0
	s_mov_b32 s33, exec_lo
	s_wait_loadcnt 0x0
	s_wait_storecnt 0x0
	global_inv scope:SCOPE_DEV
	v_cmpx_eq_u32_e32 0, v3
	s_cbranch_execz .LBB70_38
; %bb.37:
	s_bcnt1_i32_b32 s2, s10
	s_lshl_b64 s[40:41], s[8:9], 2
	s_wait_alu 0xfffe
	s_and_b32 s2, s2, 1
	s_add_nc_u64 s[40:41], s[6:7], s[40:41]
	s_wait_alu 0xfffe
	v_mov_b32_e32 v3, s2
	global_atomic_xor_b32 v1, v3, s[40:41] scope:SCOPE_DEV
.LBB70_38:
	s_or_b32 exec_lo, exec_lo, s33
	s_wait_alu 0xfffe
	v_mul_f32_e32 v8, s11, v2
.LBB70_39:
	s_wait_alu 0xfffe
	s_or_b32 exec_lo, exec_lo, s3
	s_load_b64 s[2:3], s[34:35], 0x8
	s_mul_u64 s[10:11], s[28:29], 0xc00
	s_sub_nc_u64 s[40:41], s[30:31], s[38:39]
	s_mov_b32 s33, exec_lo
	s_wait_alu 0xfffe
	s_add_nc_u64 s[40:41], s[40:41], s[10:11]
	s_delay_alu instid0(SALU_CYCLE_1)
	v_add_co_u32 v1, s10, s40, v0
	s_wait_alu 0xf1ff
	v_add_co_ci_u32_e64 v2, null, s41, 0, s10
	s_wait_kmcnt 0x0
	s_sub_nc_u64 s[10:11], s[2:3], s[38:39]
	s_wait_alu 0xfffe
	s_delay_alu instid0(VALU_DEP_1)
	v_cmpx_gt_i64_e64 s[10:11], v[1:2]
	s_cbranch_execz .LBB70_43
; %bb.40:
	v_lshlrev_b64_e32 v[3:4], 1, v[1:2]
	s_add_nc_u64 s[40:41], s[40:41], 0xc00
	v_lshlrev_b64_e32 v[5:6], 3, v[1:2]
	s_wait_alu 0xfffe
	v_cmp_lt_i64_e64 s3, s[40:41], s[10:11]
	s_mov_b32 s37, 0
	v_add_co_u32 v3, s2, s16, v3
	s_wait_alu 0xf1ff
	v_add_co_ci_u32_e64 v4, null, s17, v4, s2
	s_and_b32 s2, s3, exec_lo
	v_add_co_u32 v5, s2, s14, v5
	s_wait_alu 0xf1fe
	v_add_co_ci_u32_e64 v6, null, s15, v6, s2
	s_cselect_b32 s11, s41, s11
	s_cselect_b32 s10, s40, s10
.LBB70_41:                              ; =>This Inner Loop Header: Depth=1
	global_load_b64 v[9:10], v[5:6], off
	global_load_u16 v11, v[3:4], off
	v_add_co_u32 v5, s3, 0x800, v5
	s_wait_alu 0xf1ff
	v_add_co_ci_u32_e64 v6, null, 0, v6, s3
	s_wait_loadcnt 0x1
	v_sub_co_u32 v9, s2, v9, s38
	s_wait_alu 0xf1ff
	v_subrev_co_ci_u32_e64 v10, null, 0, v10, s2
	s_delay_alu instid0(VALU_DEP_1) | instskip(NEXT) | instid1(VALU_DEP_1)
	v_lshlrev_b64_e32 v[9:10], 1, v[9:10]
	v_add_co_u32 v9, s2, s18, v9
	s_wait_alu 0xf1ff
	s_delay_alu instid0(VALU_DEP_2)
	v_add_co_ci_u32_e64 v10, null, s19, v10, s2
	v_add_co_u32 v1, s2, 0x100, v1
	s_wait_alu 0xf1ff
	v_add_co_ci_u32_e64 v2, null, 0, v2, s2
	global_load_u16 v9, v[9:10], off
	s_wait_loadcnt 0x1
	v_cvt_f32_f16_e32 v10, v11
	v_add_co_u32 v3, s2, 0x200, v3
	s_wait_alu 0xf1ff
	v_add_co_ci_u32_e64 v4, null, 0, v4, s2
	s_delay_alu instid0(VALU_DEP_3)
	v_mul_f32_e32 v10, s36, v10
	s_wait_alu 0xfffe
	v_cmp_le_i64_e64 s2, s[10:11], v[1:2]
	s_or_b32 s37, s2, s37
	s_wait_loadcnt 0x0
	v_fma_mix_f32 v8, v10, v9, v8 op_sel_hi:[0,1,0]
	s_wait_alu 0xfffe
	s_and_not1_b32 exec_lo, exec_lo, s37
	s_cbranch_execnz .LBB70_41
; %bb.42:
	s_or_b32 exec_lo, exec_lo, s37
.LBB70_43:
	s_delay_alu instid0(SALU_CYCLE_1)
	s_or_b32 exec_lo, exec_lo, s33
	v_lshlrev_b32_e32 v1, 2, v0
	s_mov_b32 s3, exec_lo
	ds_store_b32 v1, v8
	s_wait_storecnt 0x0
	s_wait_loadcnt_dscnt 0x0
	s_barrier_signal -1
	s_barrier_wait -1
	global_inv scope:SCOPE_SE
	v_cmpx_gt_u32_e32 0x80, v0
	s_cbranch_execz .LBB70_45
; %bb.44:
	ds_load_2addr_stride64_b32 v[2:3], v1 offset1:2
	s_wait_dscnt 0x0
	v_add_f32_e32 v2, v2, v3
	ds_store_b32 v1, v2
.LBB70_45:
	s_wait_alu 0xfffe
	s_or_b32 exec_lo, exec_lo, s3
	s_delay_alu instid0(SALU_CYCLE_1)
	s_mov_b32 s3, exec_lo
	s_wait_loadcnt_dscnt 0x0
	s_barrier_signal -1
	s_barrier_wait -1
	global_inv scope:SCOPE_SE
	v_cmpx_gt_u32_e32 64, v0
	s_cbranch_execz .LBB70_47
; %bb.46:
	ds_load_2addr_stride64_b32 v[2:3], v1 offset1:1
	s_wait_dscnt 0x0
	v_add_f32_e32 v2, v2, v3
	ds_store_b32 v1, v2
.LBB70_47:
	s_wait_alu 0xfffe
	s_or_b32 exec_lo, exec_lo, s3
	s_delay_alu instid0(SALU_CYCLE_1)
	s_mov_b32 s3, exec_lo
	s_wait_loadcnt_dscnt 0x0
	s_barrier_signal -1
	s_barrier_wait -1
	global_inv scope:SCOPE_SE
	v_cmpx_gt_u32_e32 32, v0
	s_cbranch_execz .LBB70_49
; %bb.48:
	ds_load_2addr_b32 v[2:3], v1 offset1:32
	s_wait_dscnt 0x0
	v_add_f32_e32 v2, v2, v3
	ds_store_b32 v1, v2
.LBB70_49:
	s_wait_alu 0xfffe
	s_or_b32 exec_lo, exec_lo, s3
	s_delay_alu instid0(SALU_CYCLE_1)
	s_mov_b32 s3, exec_lo
	s_wait_loadcnt_dscnt 0x0
	s_barrier_signal -1
	s_barrier_wait -1
	global_inv scope:SCOPE_SE
	v_cmpx_gt_u32_e32 16, v0
	s_cbranch_execz .LBB70_51
; %bb.50:
	ds_load_2addr_b32 v[2:3], v1 offset1:16
	s_wait_dscnt 0x0
	v_add_f32_e32 v2, v2, v3
	ds_store_b32 v1, v2
.LBB70_51:
	;; [unrolled: 16-line block ×5, first 2 shown]
	s_wait_alu 0xfffe
	s_or_b32 exec_lo, exec_lo, s3
	s_wait_loadcnt_dscnt 0x0
	s_barrier_signal -1
	s_barrier_wait -1
	global_inv scope:SCOPE_SE
	s_and_saveexec_b32 s2, vcc_lo
	s_cbranch_execz .LBB70_59
; %bb.58:
	v_mov_b32_e32 v3, 0
	ds_load_b64 v[1:2], v3
	s_wait_dscnt 0x0
	v_add_f32_e32 v1, v1, v2
	ds_store_b32 v3, v1
.LBB70_59:
	s_wait_alu 0xfffe
	s_or_b32 exec_lo, exec_lo, s2
	s_wait_loadcnt_dscnt 0x0
	s_barrier_signal -1
	s_barrier_wait -1
	global_inv scope:SCOPE_SE
	s_and_saveexec_b32 s10, vcc_lo
	s_cbranch_execz .LBB70_68
; %bb.60:
	s_and_not1_b32 vcc_lo, exec_lo, s25
	s_wait_alu 0xfffe
	s_cbranch_vccnz .LBB70_66
; %bb.61:
	v_mov_b32_e32 v1, 0
	s_lshl_b64 s[2:3], s[8:9], 2
	s_wait_alu 0xfffe
	s_add_nc_u64 s[2:3], s[6:7], s[2:3]
	s_branch .LBB70_63
.LBB70_62:                              ;   in Loop: Header=BB70_63 Depth=1
	s_wait_alu 0xfffe
	s_or_b32 exec_lo, exec_lo, s6
	s_wait_loadcnt 0x0
	v_readfirstlane_b32 s6, v2
	s_wait_alu 0xf1ff
	s_delay_alu instid0(VALU_DEP_1)
	v_cmp_eq_u32_e32 vcc_lo, s6, v7
	s_cbranch_vccz .LBB70_65
.LBB70_63:                              ; =>This Inner Loop Header: Depth=1
	v_mbcnt_lo_u32_b32 v2, exec_lo, 0
	s_delay_alu instid0(VALU_DEP_1)
	v_cmp_eq_u32_e32 vcc_lo, 0, v2
                                        ; implicit-def: $vgpr2
	s_and_saveexec_b32 s6, vcc_lo
	s_cbranch_execz .LBB70_62
; %bb.64:                               ;   in Loop: Header=BB70_63 Depth=1
	global_load_b32 v2, v1, s[2:3] scope:SCOPE_DEV
	s_branch .LBB70_62
.LBB70_65:
	v_mov_b32_e32 v1, 0
	global_load_u16 v2, v1, s[4:5]
	s_wait_loadcnt 0x0
	v_xor_b32_e32 v2, 1, v2
	global_store_b16 v1, v2, s[4:5]
.LBB70_66:
	s_mov_b32 s2, exec_lo
	s_wait_alu 0xfffe
	v_mbcnt_lo_u32_b32 v1, s2, 0
	s_delay_alu instid0(VALU_DEP_1)
	v_cmp_eq_u32_e32 vcc_lo, 0, v1
	s_and_b32 s3, exec_lo, vcc_lo
	s_wait_alu 0xfffe
	s_mov_b32 exec_lo, s3
	s_cbranch_execz .LBB70_68
; %bb.67:
	s_bcnt1_i32_b32 s2, s2
	s_wait_alu 0xfffe
	v_cvt_f32_ubyte0_e32 v3, s2
	v_mov_b32_e32 v1, 0
	s_lshl_b64 s[2:3], s[20:21], 2
	s_wait_alu 0xfffe
	s_add_nc_u64 s[2:3], s[26:27], s[2:3]
	ds_load_b32 v2, v1
	s_wait_dscnt 0x0
	v_mul_f32_e32 v2, v2, v3
	global_atomic_add_f32 v1, v2, s[2:3] scope:SCOPE_DEV
.LBB70_68:
	s_wait_alu 0xfffe
	s_or_b32 exec_lo, exec_lo, s10
.LBB70_69:
	s_mov_b32 s4, 0
.LBB70_70:
	s_delay_alu instid0(SALU_CYCLE_1)
	s_and_not1_b32 vcc_lo, exec_lo, s4
	s_wait_alu 0xfffe
	s_cbranch_vccnz .LBB70_114
; %bb.71:
	s_load_b64 s[0:1], s[0:1], 0x8
	v_sub_co_u32 v1, s2, v0, s38
	s_wait_alu 0xf1ff
	v_sub_co_ci_u32_e64 v2, null, 0, 0, s2
	s_mov_b32 s39, 0
	s_wait_kmcnt 0x0
	v_add_co_u32 v1, vcc_lo, s30, v1
	s_wait_alu 0xfffd
	v_add_co_ci_u32_e64 v2, null, s31, v2, vcc_lo
	s_delay_alu instid0(VALU_DEP_2) | instskip(SKIP_1) | instid1(VALU_DEP_2)
	v_add_co_u32 v3, vcc_lo, 0x300, v1
	s_wait_alu 0xfffd
	v_add_co_ci_u32_e64 v4, null, 0, v2, vcc_lo
	s_delay_alu instid0(VALU_DEP_1)
	v_cmp_le_i64_e32 vcc_lo, s[0:1], v[3:4]
	s_and_saveexec_b32 s0, vcc_lo
	s_wait_alu 0xfffe
	s_xor_b32 s1, exec_lo, s0
	s_cbranch_execz .LBB70_76
; %bb.72:
	s_lshl_b64 s[2:3], s[22:23], 3
	s_mov_b32 s4, exec_lo
	s_wait_alu 0xfffe
	s_add_nc_u64 s[2:3], s[12:13], s[2:3]
	s_load_b64 s[2:3], s[2:3], 0x0
	s_wait_kmcnt 0x0
	s_sub_nc_u64 s[2:3], s[2:3], s[38:39]
	s_wait_alu 0xfffe
	v_cmpx_gt_i64_e64 s[2:3], v[1:2]
	s_cbranch_execz .LBB70_75
; %bb.73:
	v_lshlrev_b64_e32 v[3:4], 1, v[1:2]
	v_lshlrev_b64_e32 v[5:6], 3, v[1:2]
	v_lshlrev_b32_e32 v7, 2, v0
	s_mov_b32 s5, 0
	s_delay_alu instid0(VALU_DEP_3)
	v_add_co_u32 v3, vcc_lo, s16, v3
	s_wait_alu 0xfffd
	v_add_co_ci_u32_e64 v4, null, s17, v4, vcc_lo
	v_add_co_u32 v5, vcc_lo, s14, v5
	s_wait_alu 0xfffd
	v_add_co_ci_u32_e64 v6, null, s15, v6, vcc_lo
.LBB70_74:                              ; =>This Inner Loop Header: Depth=1
	global_load_b64 v[8:9], v[5:6], off
	global_load_u16 v10, v[3:4], off
	s_wait_loadcnt 0x1
	v_sub_co_u32 v8, vcc_lo, v8, s38
	s_wait_alu 0xfffd
	v_subrev_co_ci_u32_e64 v9, null, 0, v9, vcc_lo
	s_delay_alu instid0(VALU_DEP_1) | instskip(NEXT) | instid1(VALU_DEP_1)
	v_lshlrev_b64_e32 v[8:9], 1, v[8:9]
	v_add_co_u32 v8, vcc_lo, s18, v8
	s_wait_alu 0xfffd
	s_delay_alu instid0(VALU_DEP_2)
	v_add_co_ci_u32_e64 v9, null, s19, v9, vcc_lo
	v_add_co_u32 v1, vcc_lo, 0x100, v1
	s_wait_alu 0xfffd
	v_add_co_ci_u32_e64 v2, null, 0, v2, vcc_lo
	global_load_u16 v8, v[8:9], off
	s_wait_loadcnt 0x1
	v_cvt_f32_f16_e32 v9, v10
	v_add_co_u32 v3, vcc_lo, 0x200, v3
	v_cmp_le_i64_e64 s0, s[2:3], v[1:2]
	s_wait_alu 0xfffd
	v_add_co_ci_u32_e64 v4, null, 0, v4, vcc_lo
	v_mul_f32_e32 v9, s36, v9
	v_add_co_u32 v5, vcc_lo, 0x800, v5
	s_wait_alu 0xfffd
	v_add_co_ci_u32_e64 v6, null, 0, v6, vcc_lo
	s_or_b32 s5, s0, s5
	s_wait_loadcnt 0x0
	v_cvt_f32_f16_e32 v8, v8
	s_delay_alu instid0(VALU_DEP_1)
	v_mul_f32_e32 v8, v9, v8
	ds_store_b32 v7, v8
	v_add_nc_u32_e32 v7, 0x400, v7
	s_and_not1_b32 exec_lo, exec_lo, s5
	s_cbranch_execnz .LBB70_74
.LBB70_75:
	s_or_b32 exec_lo, exec_lo, s4
                                        ; implicit-def: $vgpr1_vgpr2
.LBB70_76:
	s_wait_alu 0xfffe
	s_or_saveexec_b32 s0, s1
	v_lshlrev_b32_e32 v9, 2, v0
	s_wait_alu 0xfffe
	s_xor_b32 exec_lo, exec_lo, s0
	s_cbranch_execz .LBB70_78
; %bb.77:
	v_lshlrev_b64_e32 v[3:4], 3, v[1:2]
	v_lshlrev_b64_e32 v[1:2], 1, v[1:2]
	s_delay_alu instid0(VALU_DEP_2) | instskip(SKIP_1) | instid1(VALU_DEP_3)
	v_add_co_u32 v3, vcc_lo, s14, v3
	s_wait_alu 0xfffd
	v_add_co_ci_u32_e64 v4, null, s15, v4, vcc_lo
	s_delay_alu instid0(VALU_DEP_3)
	v_add_co_u32 v1, vcc_lo, s16, v1
	s_wait_alu 0xfffd
	v_add_co_ci_u32_e64 v2, null, s17, v2, vcc_lo
	s_clause 0x3
	global_load_b64 v[5:6], v[3:4], off
	global_load_b64 v[7:8], v[3:4], off offset:2048
	global_load_b64 v[10:11], v[3:4], off offset:4096
	;; [unrolled: 1-line block ×3, first 2 shown]
	s_clause 0x3
	global_load_u16 v12, v[1:2], off
	global_load_u16 v13, v[1:2], off offset:512
	global_load_u16 v14, v[1:2], off offset:1024
	;; [unrolled: 1-line block ×3, first 2 shown]
	s_wait_loadcnt 0x7
	v_sub_co_u32 v5, vcc_lo, v5, s38
	s_wait_alu 0xfffd
	v_subrev_co_ci_u32_e64 v6, null, 0, v6, vcc_lo
	s_wait_loadcnt 0x6
	v_sub_co_u32 v7, vcc_lo, v7, s38
	s_wait_alu 0xfffd
	v_subrev_co_ci_u32_e64 v8, null, 0, v8, vcc_lo
	;; [unrolled: 4-line block ×3, first 2 shown]
	s_wait_loadcnt 0x4
	v_sub_co_u32 v3, vcc_lo, v3, s38
	v_lshlrev_b64_e32 v[5:6], 1, v[5:6]
	s_wait_alu 0xfffd
	v_subrev_co_ci_u32_e64 v4, null, 0, v4, vcc_lo
	v_lshlrev_b64_e32 v[1:2], 1, v[7:8]
	v_lshlrev_b64_e32 v[7:8], 1, v[10:11]
	s_delay_alu instid0(VALU_DEP_3)
	v_lshlrev_b64_e32 v[3:4], 1, v[3:4]
	v_add_co_u32 v5, vcc_lo, s18, v5
	s_wait_alu 0xfffd
	v_add_co_ci_u32_e64 v6, null, s19, v6, vcc_lo
	v_add_co_u32 v1, vcc_lo, s18, v1
	s_wait_alu 0xfffd
	v_add_co_ci_u32_e64 v2, null, s19, v2, vcc_lo
	;; [unrolled: 3-line block ×4, first 2 shown]
	s_clause 0x3
	global_load_u16 v5, v[5:6], off
	global_load_u16 v1, v[1:2], off
	;; [unrolled: 1-line block ×4, first 2 shown]
	s_wait_loadcnt 0x7
	v_cvt_f32_f16_e32 v4, v12
	s_wait_loadcnt 0x6
	v_cvt_f32_f16_e32 v6, v13
	;; [unrolled: 2-line block ×3, first 2 shown]
	v_cvt_f32_f16_e32 v7, v14
	s_delay_alu instid0(VALU_DEP_1)
	v_dual_mul_f32 v4, s36, v4 :: v_dual_mul_f32 v7, s36, v7
	s_wait_loadcnt 0x3
	v_cvt_f32_f16_e32 v5, v5
	s_wait_loadcnt 0x2
	v_cvt_f32_f16_e32 v1, v1
	v_mul_f32_e32 v8, s36, v8
	s_wait_loadcnt 0x0
	v_cvt_f32_f16_e32 v3, v3
	v_mul_f32_e32 v6, s36, v6
	v_cvt_f32_f16_e32 v2, v2
	v_mul_f32_e32 v4, v4, v5
	s_delay_alu instid0(VALU_DEP_4) | instskip(NEXT) | instid1(VALU_DEP_3)
	v_mul_f32_e32 v3, v8, v3
	v_dual_mul_f32 v1, v6, v1 :: v_dual_mul_f32 v2, v7, v2
	ds_store_2addr_stride64_b32 v9, v4, v1 offset1:4
	ds_store_2addr_stride64_b32 v9, v2, v3 offset0:8 offset1:12
.LBB70_78:
	s_or_b32 exec_lo, exec_lo, s0
	v_cmp_lt_i64_e64 s0, s[28:29], 2
	s_wait_storecnt 0x0
	s_wait_loadcnt_dscnt 0x0
	s_barrier_signal -1
	s_barrier_wait -1
	global_inv scope:SCOPE_SE
	s_and_b32 vcc_lo, exec_lo, s0
	s_mov_b32 s0, -1
	s_wait_alu 0xfffe
	s_cbranch_vccz .LBB70_89
; %bb.79:
	v_add_co_u32 v5, s0, s20, v0
	s_wait_alu 0xf1ff
	v_add_co_ci_u32_e64 v6, null, s21, 0, s0
	s_mov_b32 s1, exec_lo
	v_cmpx_gt_i64_e64 s[22:23], v[5:6]
	s_cbranch_execz .LBB70_88
; %bb.80:
	s_cmp_neq_f32 s24, 0
	s_mov_b32 s3, 0
	s_cselect_b32 s2, -1, 0
	s_lshl_b32 s0, s30, 2
	s_wait_alu 0xfffe
	s_sub_co_i32 s4, 0, s0
	s_branch .LBB70_82
.LBB70_81:                              ;   in Loop: Header=BB70_82 Depth=1
	v_add_co_u32 v5, vcc_lo, 0x100, v5
	s_wait_alu 0xfffd
	v_add_co_ci_u32_e64 v6, null, 0, v6, vcc_lo
	v_add_co_u32 v1, s0, s26, v1
	s_wait_alu 0xf1ff
	v_add_co_ci_u32_e64 v2, null, s27, v2, s0
	s_delay_alu instid0(VALU_DEP_3)
	v_cmp_le_i64_e32 vcc_lo, s[22:23], v[5:6]
	global_store_b32 v[1:2], v10, off
	s_or_b32 s3, vcc_lo, s3
	s_wait_alu 0xfffe
	s_and_not1_b32 exec_lo, exec_lo, s3
	s_cbranch_execz .LBB70_88
.LBB70_82:                              ; =>This Loop Header: Depth=1
                                        ;     Child Loop BB70_84 Depth 2
	v_lshlrev_b64_e32 v[1:2], 3, v[5:6]
	v_mov_b32_e32 v10, 0
	s_mov_b32 s0, exec_lo
	s_delay_alu instid0(VALU_DEP_2) | instskip(SKIP_1) | instid1(VALU_DEP_3)
	v_add_co_u32 v1, vcc_lo, s12, v1
	s_wait_alu 0xfffd
	v_add_co_ci_u32_e64 v2, null, s13, v2, vcc_lo
	global_load_b128 v[1:4], v[1:2], off
	s_wait_loadcnt 0x0
	v_cmpx_lt_i64_e64 v[1:2], v[3:4]
	s_cbranch_execz .LBB70_86
; %bb.83:                               ;   in Loop: Header=BB70_82 Depth=1
	v_sub_co_u32 v3, vcc_lo, v3, s30
	s_wait_alu 0xfffd
	v_subrev_co_ci_u32_e64 v4, null, s31, v4, vcc_lo
	v_sub_co_u32 v7, vcc_lo, v1, s30
	s_wait_alu 0xfffd
	v_subrev_co_ci_u32_e64 v8, null, s31, v2, vcc_lo
	v_lshl_add_u32 v1, v1, 2, s4
	v_mov_b32_e32 v10, 0
	s_mov_b32 s5, 0
.LBB70_84:                              ;   Parent Loop BB70_82 Depth=1
                                        ; =>  This Inner Loop Header: Depth=2
	ds_load_b32 v2, v1
	v_add_co_u32 v7, vcc_lo, v7, 1
	s_wait_alu 0xfffd
	v_add_co_ci_u32_e64 v8, null, 0, v8, vcc_lo
	v_add_nc_u32_e32 v1, 4, v1
	s_delay_alu instid0(VALU_DEP_2)
	v_cmp_ge_i64_e32 vcc_lo, v[7:8], v[3:4]
	s_wait_alu 0xfffe
	s_or_b32 s5, vcc_lo, s5
	s_wait_dscnt 0x0
	v_add_f32_e32 v10, v10, v2
	s_wait_alu 0xfffe
	s_and_not1_b32 exec_lo, exec_lo, s5
	s_cbranch_execnz .LBB70_84
; %bb.85:                               ;   in Loop: Header=BB70_82 Depth=1
	s_or_b32 exec_lo, exec_lo, s5
.LBB70_86:                              ;   in Loop: Header=BB70_82 Depth=1
	s_wait_alu 0xfffe
	s_or_b32 exec_lo, exec_lo, s0
	v_lshlrev_b64_e32 v[1:2], 2, v[5:6]
	s_and_b32 vcc_lo, exec_lo, s2
	s_wait_alu 0xfffe
	s_cbranch_vccz .LBB70_81
; %bb.87:                               ;   in Loop: Header=BB70_82 Depth=1
	s_delay_alu instid0(VALU_DEP_1)
	v_add_co_u32 v3, vcc_lo, s26, v1
	s_wait_alu 0xfffd
	v_add_co_ci_u32_e64 v4, null, s27, v2, vcc_lo
	global_load_b32 v3, v[3:4], off
	s_wait_loadcnt 0x0
	v_fmac_f32_e32 v10, s24, v3
	s_branch .LBB70_81
.LBB70_88:
	s_wait_alu 0xfffe
	s_or_b32 exec_lo, exec_lo, s1
	s_mov_b32 s0, 0
.LBB70_89:
	s_wait_alu 0xfffe
	s_and_not1_b32 vcc_lo, exec_lo, s0
	s_wait_alu 0xfffe
	s_cbranch_vccnz .LBB70_114
; %bb.90:
	s_clz_i32_u32 s0, s28
	s_mov_b32 s1, exec_lo
	s_wait_alu 0xfffe
	s_min_u32 s0, s0, 32
	s_wait_alu 0xfffe
	s_sub_co_i32 s0, 31, s0
	s_wait_alu 0xfffe
	v_lshrrev_b32_e32 v5, s0, v0
	s_delay_alu instid0(VALU_DEP_1)
	v_add_co_u32 v1, s0, s20, v5
	s_wait_alu 0xf1ff
	v_add_co_ci_u32_e64 v2, null, s21, 0, s0
	s_add_co_i32 s0, s28, -1
	s_wait_alu 0xfffe
	v_dual_mov_b32 v4, 0 :: v_dual_and_b32 v3, s0, v0
	v_cmp_le_i64_e64 s0, s[22:23], v[1:2]
	s_delay_alu instid0(VALU_DEP_2)
	v_mov_b32_e32 v0, v4
	v_cmpx_gt_i64_e64 s[22:23], v[1:2]
	s_cbranch_execz .LBB70_96
; %bb.91:
	v_lshlrev_b32_e32 v0, 3, v5
	global_load_b128 v[10:13], v0, s[34:35]
	v_sub_co_u32 v0, s2, v3, s30
	s_wait_alu 0xf1ff
	v_sub_co_ci_u32_e64 v8, null, 0, s31, s2
	s_mov_b32 s2, exec_lo
	s_wait_loadcnt 0x0
	v_sub_co_u32 v5, vcc_lo, v12, s30
	s_wait_alu 0xfffd
	v_subrev_co_ci_u32_e64 v6, null, s31, v13, vcc_lo
	v_add_co_u32 v7, vcc_lo, v10, v0
	s_wait_alu 0xfffd
	v_add_co_ci_u32_e64 v8, null, v11, v8, vcc_lo
	v_mov_b32_e32 v0, 0
	s_delay_alu instid0(VALU_DEP_2)
	v_cmpx_lt_i64_e64 v[7:8], v[5:6]
	s_cbranch_execz .LBB70_95
; %bb.92:
	v_lshlrev_b32_e32 v10, 2, v7
	v_mov_b32_e32 v0, 0
	s_lshl_b32 s4, s28, 2
	s_mov_b32 s3, 0
.LBB70_93:                              ; =>This Inner Loop Header: Depth=1
	ds_load_b32 v11, v10
	v_add_co_u32 v7, vcc_lo, v7, s28
	s_wait_alu 0xfffd
	v_add_co_ci_u32_e64 v8, null, s29, v8, vcc_lo
	s_wait_alu 0xfffe
	v_add_nc_u32_e32 v10, s4, v10
	s_delay_alu instid0(VALU_DEP_2)
	v_cmp_ge_i64_e32 vcc_lo, v[7:8], v[5:6]
	s_or_b32 s3, vcc_lo, s3
	s_wait_dscnt 0x0
	v_add_f32_e32 v0, v0, v11
	s_wait_alu 0xfffe
	s_and_not1_b32 exec_lo, exec_lo, s3
	s_cbranch_execnz .LBB70_93
; %bb.94:
	s_or_b32 exec_lo, exec_lo, s3
.LBB70_95:
	s_wait_alu 0xfffe
	s_or_b32 exec_lo, exec_lo, s2
.LBB70_96:
	s_delay_alu instid0(SALU_CYCLE_1)
	s_or_b32 exec_lo, exec_lo, s1
	v_cmp_gt_u64_e64 s1, 0x81, s[28:29]
	s_wait_loadcnt 0x0
	s_wait_storecnt 0x0
	s_barrier_signal -1
	s_barrier_wait -1
	global_inv scope:SCOPE_SE
	ds_store_b32 v9, v0
	s_and_b32 vcc_lo, exec_lo, s1
	s_wait_loadcnt_dscnt 0x0
	s_barrier_signal -1
	s_barrier_wait -1
	global_inv scope:SCOPE_SE
	s_wait_alu 0xfffe
	s_cbranch_vccnz .LBB70_98
; %bb.97:
	ds_load_b32 v5, v9 offset:512
	s_wait_loadcnt_dscnt 0x0
	s_barrier_signal -1
	s_barrier_wait -1
	global_inv scope:SCOPE_SE
	v_add_f32_e32 v0, v0, v5
	ds_store_b32 v9, v0
.LBB70_98:
	v_cmp_gt_u64_e64 s1, 0x41, s[28:29]
	s_wait_loadcnt_dscnt 0x0
	s_barrier_signal -1
	s_barrier_wait -1
	global_inv scope:SCOPE_SE
	s_and_b32 vcc_lo, exec_lo, s1
	s_wait_alu 0xfffe
	s_cbranch_vccnz .LBB70_100
; %bb.99:
	ds_load_b32 v5, v9 offset:256
	s_wait_loadcnt_dscnt 0x0
	s_barrier_signal -1
	s_barrier_wait -1
	global_inv scope:SCOPE_SE
	v_add_f32_e32 v0, v0, v5
	ds_store_b32 v9, v0
.LBB70_100:
	v_cmp_lt_u64_e64 s1, s[28:29], 33
	s_wait_loadcnt_dscnt 0x0
	s_barrier_signal -1
	s_barrier_wait -1
	global_inv scope:SCOPE_SE
	s_and_b32 vcc_lo, exec_lo, s1
	s_wait_alu 0xfffe
	s_cbranch_vccnz .LBB70_102
; %bb.101:
	ds_load_b32 v5, v9 offset:128
	s_wait_loadcnt_dscnt 0x0
	s_barrier_signal -1
	s_barrier_wait -1
	global_inv scope:SCOPE_SE
	v_add_f32_e32 v0, v0, v5
	ds_store_b32 v9, v0
.LBB70_102:
	v_cmp_lt_u64_e64 s1, s[28:29], 17
	;; [unrolled: 17-line block ×4, first 2 shown]
	s_wait_loadcnt_dscnt 0x0
	s_barrier_signal -1
	s_barrier_wait -1
	global_inv scope:SCOPE_SE
	s_and_b32 vcc_lo, exec_lo, s1
	s_wait_alu 0xfffe
	s_cbranch_vccnz .LBB70_108
; %bb.107:
	ds_load_b32 v5, v9 offset:16
	s_wait_loadcnt_dscnt 0x0
	s_barrier_signal -1
	s_barrier_wait -1
	global_inv scope:SCOPE_SE
	v_add_f32_e32 v0, v0, v5
	ds_store_b32 v9, v0
.LBB70_108:
	s_cmp_eq_u64 s[28:29], 2
	s_wait_loadcnt_dscnt 0x0
	s_barrier_signal -1
	s_barrier_wait -1
	global_inv scope:SCOPE_SE
	s_cbranch_scc1 .LBB70_110
; %bb.109:
	ds_load_b32 v5, v9 offset:8
	s_wait_loadcnt_dscnt 0x0
	s_barrier_signal -1
	s_barrier_wait -1
	global_inv scope:SCOPE_SE
	v_add_f32_e32 v0, v0, v5
	ds_store_b32 v9, v0
.LBB70_110:
	s_wait_loadcnt_dscnt 0x0
	s_barrier_signal -1
	s_barrier_wait -1
	global_inv scope:SCOPE_SE
	ds_load_b32 v5, v9 offset:4
	v_cmp_eq_u64_e32 vcc_lo, 0, v[3:4]
	s_xor_b32 s0, s0, -1
	s_wait_loadcnt_dscnt 0x0
	s_barrier_signal -1
	s_barrier_wait -1
	global_inv scope:SCOPE_SE
	s_wait_alu 0xfffe
	s_and_b32 s0, vcc_lo, s0
	v_add_f32_e32 v3, v0, v5
	ds_store_b32 v9, v3
	s_wait_alu 0xfffe
	s_and_saveexec_b32 s1, s0
	s_cbranch_execz .LBB70_114
; %bb.111:
	v_lshlrev_b64_e32 v[0:1], 2, v[1:2]
	s_cmp_eq_f32 s24, 0
	s_cbranch_scc1 .LBB70_113
; %bb.112:
	s_delay_alu instid0(VALU_DEP_1) | instskip(SKIP_1) | instid1(VALU_DEP_2)
	v_add_co_u32 v4, vcc_lo, s26, v0
	s_wait_alu 0xfffd
	v_add_co_ci_u32_e64 v5, null, s27, v1, vcc_lo
	global_load_b32 v2, v[4:5], off
	s_wait_loadcnt 0x0
	v_fmac_f32_e32 v3, s24, v2
.LBB70_113:
	s_delay_alu instid0(VALU_DEP_1) | instskip(SKIP_1) | instid1(VALU_DEP_2)
	v_add_co_u32 v0, vcc_lo, s26, v0
	s_wait_alu 0xfffd
	v_add_co_ci_u32_e64 v1, null, s27, v1, vcc_lo
	global_store_b32 v[0:1], v3, off
.LBB70_114:
	s_endpgm
	.section	.rodata,"a",@progbits
	.p2align	6, 0x0
	.amdhsa_kernel _ZN9rocsparseL22csrmvn_adaptive_kernelIllDF16_DF16_ffEEvbT_PKS1_PjPKT0_NS_24const_host_device_scalarIT4_EES3_S7_PKT1_PKT2_SA_PT3_21rocsparse_index_base_b
		.amdhsa_group_segment_fixed_size 4096
		.amdhsa_private_segment_fixed_size 0
		.amdhsa_kernarg_size 104
		.amdhsa_user_sgpr_count 2
		.amdhsa_user_sgpr_dispatch_ptr 0
		.amdhsa_user_sgpr_queue_ptr 0
		.amdhsa_user_sgpr_kernarg_segment_ptr 1
		.amdhsa_user_sgpr_dispatch_id 0
		.amdhsa_user_sgpr_private_segment_size 0
		.amdhsa_wavefront_size32 1
		.amdhsa_uses_dynamic_stack 0
		.amdhsa_enable_private_segment 0
		.amdhsa_system_sgpr_workgroup_id_x 1
		.amdhsa_system_sgpr_workgroup_id_y 0
		.amdhsa_system_sgpr_workgroup_id_z 0
		.amdhsa_system_sgpr_workgroup_info 0
		.amdhsa_system_vgpr_workitem_id 0
		.amdhsa_next_free_vgpr 16
		.amdhsa_next_free_sgpr 48
		.amdhsa_reserve_vcc 1
		.amdhsa_float_round_mode_32 0
		.amdhsa_float_round_mode_16_64 0
		.amdhsa_float_denorm_mode_32 3
		.amdhsa_float_denorm_mode_16_64 3
		.amdhsa_fp16_overflow 0
		.amdhsa_workgroup_processor_mode 1
		.amdhsa_memory_ordered 1
		.amdhsa_forward_progress 1
		.amdhsa_inst_pref_size 44
		.amdhsa_round_robin_scheduling 0
		.amdhsa_exception_fp_ieee_invalid_op 0
		.amdhsa_exception_fp_denorm_src 0
		.amdhsa_exception_fp_ieee_div_zero 0
		.amdhsa_exception_fp_ieee_overflow 0
		.amdhsa_exception_fp_ieee_underflow 0
		.amdhsa_exception_fp_ieee_inexact 0
		.amdhsa_exception_int_div_zero 0
	.end_amdhsa_kernel
	.section	.text._ZN9rocsparseL22csrmvn_adaptive_kernelIllDF16_DF16_ffEEvbT_PKS1_PjPKT0_NS_24const_host_device_scalarIT4_EES3_S7_PKT1_PKT2_SA_PT3_21rocsparse_index_base_b,"axG",@progbits,_ZN9rocsparseL22csrmvn_adaptive_kernelIllDF16_DF16_ffEEvbT_PKS1_PjPKT0_NS_24const_host_device_scalarIT4_EES3_S7_PKT1_PKT2_SA_PT3_21rocsparse_index_base_b,comdat
.Lfunc_end70:
	.size	_ZN9rocsparseL22csrmvn_adaptive_kernelIllDF16_DF16_ffEEvbT_PKS1_PjPKT0_NS_24const_host_device_scalarIT4_EES3_S7_PKT1_PKT2_SA_PT3_21rocsparse_index_base_b, .Lfunc_end70-_ZN9rocsparseL22csrmvn_adaptive_kernelIllDF16_DF16_ffEEvbT_PKS1_PjPKT0_NS_24const_host_device_scalarIT4_EES3_S7_PKT1_PKT2_SA_PT3_21rocsparse_index_base_b
                                        ; -- End function
	.set _ZN9rocsparseL22csrmvn_adaptive_kernelIllDF16_DF16_ffEEvbT_PKS1_PjPKT0_NS_24const_host_device_scalarIT4_EES3_S7_PKT1_PKT2_SA_PT3_21rocsparse_index_base_b.num_vgpr, 16
	.set _ZN9rocsparseL22csrmvn_adaptive_kernelIllDF16_DF16_ffEEvbT_PKS1_PjPKT0_NS_24const_host_device_scalarIT4_EES3_S7_PKT1_PKT2_SA_PT3_21rocsparse_index_base_b.num_agpr, 0
	.set _ZN9rocsparseL22csrmvn_adaptive_kernelIllDF16_DF16_ffEEvbT_PKS1_PjPKT0_NS_24const_host_device_scalarIT4_EES3_S7_PKT1_PKT2_SA_PT3_21rocsparse_index_base_b.numbered_sgpr, 48
	.set _ZN9rocsparseL22csrmvn_adaptive_kernelIllDF16_DF16_ffEEvbT_PKS1_PjPKT0_NS_24const_host_device_scalarIT4_EES3_S7_PKT1_PKT2_SA_PT3_21rocsparse_index_base_b.num_named_barrier, 0
	.set _ZN9rocsparseL22csrmvn_adaptive_kernelIllDF16_DF16_ffEEvbT_PKS1_PjPKT0_NS_24const_host_device_scalarIT4_EES3_S7_PKT1_PKT2_SA_PT3_21rocsparse_index_base_b.private_seg_size, 0
	.set _ZN9rocsparseL22csrmvn_adaptive_kernelIllDF16_DF16_ffEEvbT_PKS1_PjPKT0_NS_24const_host_device_scalarIT4_EES3_S7_PKT1_PKT2_SA_PT3_21rocsparse_index_base_b.uses_vcc, 1
	.set _ZN9rocsparseL22csrmvn_adaptive_kernelIllDF16_DF16_ffEEvbT_PKS1_PjPKT0_NS_24const_host_device_scalarIT4_EES3_S7_PKT1_PKT2_SA_PT3_21rocsparse_index_base_b.uses_flat_scratch, 0
	.set _ZN9rocsparseL22csrmvn_adaptive_kernelIllDF16_DF16_ffEEvbT_PKS1_PjPKT0_NS_24const_host_device_scalarIT4_EES3_S7_PKT1_PKT2_SA_PT3_21rocsparse_index_base_b.has_dyn_sized_stack, 0
	.set _ZN9rocsparseL22csrmvn_adaptive_kernelIllDF16_DF16_ffEEvbT_PKS1_PjPKT0_NS_24const_host_device_scalarIT4_EES3_S7_PKT1_PKT2_SA_PT3_21rocsparse_index_base_b.has_recursion, 0
	.set _ZN9rocsparseL22csrmvn_adaptive_kernelIllDF16_DF16_ffEEvbT_PKS1_PjPKT0_NS_24const_host_device_scalarIT4_EES3_S7_PKT1_PKT2_SA_PT3_21rocsparse_index_base_b.has_indirect_call, 0
	.section	.AMDGPU.csdata,"",@progbits
; Kernel info:
; codeLenInByte = 5580
; TotalNumSgprs: 50
; NumVgprs: 16
; ScratchSize: 0
; MemoryBound: 0
; FloatMode: 240
; IeeeMode: 1
; LDSByteSize: 4096 bytes/workgroup (compile time only)
; SGPRBlocks: 0
; VGPRBlocks: 1
; NumSGPRsForWavesPerEU: 50
; NumVGPRsForWavesPerEU: 16
; Occupancy: 16
; WaveLimiterHint : 1
; COMPUTE_PGM_RSRC2:SCRATCH_EN: 0
; COMPUTE_PGM_RSRC2:USER_SGPR: 2
; COMPUTE_PGM_RSRC2:TRAP_HANDLER: 0
; COMPUTE_PGM_RSRC2:TGID_X_EN: 1
; COMPUTE_PGM_RSRC2:TGID_Y_EN: 0
; COMPUTE_PGM_RSRC2:TGID_Z_EN: 0
; COMPUTE_PGM_RSRC2:TIDIG_COMP_CNT: 0
	.section	.text._ZN9rocsparseL27csrmvn_symm_adaptive_kernelIllDF16_DF16_ffEEvbT_S1_PKS1_NS_24const_host_device_scalarIT4_EES3_PKT0_PKT1_PKT2_S6_PT3_21rocsparse_index_base_b,"axG",@progbits,_ZN9rocsparseL27csrmvn_symm_adaptive_kernelIllDF16_DF16_ffEEvbT_S1_PKS1_NS_24const_host_device_scalarIT4_EES3_PKT0_PKT1_PKT2_S6_PT3_21rocsparse_index_base_b,comdat
	.globl	_ZN9rocsparseL27csrmvn_symm_adaptive_kernelIllDF16_DF16_ffEEvbT_S1_PKS1_NS_24const_host_device_scalarIT4_EES3_PKT0_PKT1_PKT2_S6_PT3_21rocsparse_index_base_b ; -- Begin function _ZN9rocsparseL27csrmvn_symm_adaptive_kernelIllDF16_DF16_ffEEvbT_S1_PKS1_NS_24const_host_device_scalarIT4_EES3_PKT0_PKT1_PKT2_S6_PT3_21rocsparse_index_base_b
	.p2align	8
	.type	_ZN9rocsparseL27csrmvn_symm_adaptive_kernelIllDF16_DF16_ffEEvbT_S1_PKS1_NS_24const_host_device_scalarIT4_EES3_PKT0_PKT1_PKT2_S6_PT3_21rocsparse_index_base_b,@function
_ZN9rocsparseL27csrmvn_symm_adaptive_kernelIllDF16_DF16_ffEEvbT_S1_PKS1_NS_24const_host_device_scalarIT4_EES3_PKT0_PKT1_PKT2_S6_PT3_21rocsparse_index_base_b: ; @_ZN9rocsparseL27csrmvn_symm_adaptive_kernelIllDF16_DF16_ffEEvbT_S1_PKS1_NS_24const_host_device_scalarIT4_EES3_PKT0_PKT1_PKT2_S6_PT3_21rocsparse_index_base_b
; %bb.0:
	s_clause 0x2
	s_load_b64 s[24:25], s[0:1], 0x58
	s_load_b64 s[30:31], s[0:1], 0x20
	;; [unrolled: 1-line block ×3, first 2 shown]
	s_wait_kmcnt 0x0
	s_bitcmp1_b32 s25, 0
	s_cselect_b32 s4, -1, 0
	s_delay_alu instid0(SALU_CYCLE_1)
	s_and_b32 vcc_lo, exec_lo, s4
	s_xor_b32 s4, s4, -1
	s_cbranch_vccnz .LBB71_2
; %bb.1:
	s_load_b32 s30, s[30:31], 0x0
.LBB71_2:
	s_and_not1_b32 vcc_lo, exec_lo, s4
	s_cbranch_vccnz .LBB71_4
; %bb.3:
	s_load_b32 s2, s[2:3], 0x0
.LBB71_4:
	s_wait_kmcnt 0x0
	s_cmp_neq_f32 s30, 0
	s_cselect_b32 s3, -1, 0
	s_cmp_neq_f32 s2, 1.0
	s_cselect_b32 s2, -1, 0
	s_delay_alu instid0(SALU_CYCLE_1) | instskip(NEXT) | instid1(SALU_CYCLE_1)
	s_or_b32 s2, s3, s2
	s_and_not1_b32 vcc_lo, exec_lo, s2
	s_cbranch_vccnz .LBB71_137
; %bb.5:
	s_load_b64 s[4:5], s[0:1], 0x18
	s_mov_b32 s2, ttmp9
	s_ashr_i32 s3, ttmp9, 31
	v_dual_mov_b32 v1, 0 :: v_dual_lshlrev_b32 v14, 2, v0
	s_lshl_b64 s[2:3], s[2:3], 3
	ds_store_2addr_stride64_b32 v14, v1, v1 offset1:4
	ds_store_2addr_stride64_b32 v14, v1, v1 offset0:8 offset1:12
	s_wait_dscnt 0x0
	s_barrier_signal -1
	s_barrier_wait -1
	global_inv scope:SCOPE_SE
	s_wait_kmcnt 0x0
	s_add_nc_u64 s[2:3], s[4:5], s[2:3]
	s_load_b128 s[16:19], s[2:3], 0x0
	s_clause 0x1
	s_load_b256 s[8:15], s[0:1], 0x28
	s_load_b64 s[20:21], s[0:1], 0x50
	s_wait_kmcnt 0x0
	s_sub_nc_u64 s[22:23], s[18:19], s[16:17]
	s_delay_alu instid0(SALU_CYCLE_1)
	v_cmp_gt_i64_e64 s2, s[22:23], 2
	s_and_b32 vcc_lo, exec_lo, s2
	s_mov_b32 s2, -1
	s_cbranch_vccnz .LBB71_36
; %bb.6:
	v_cmp_le_i64_e64 s2, s[18:19], s[16:17]
	v_sub_co_u32 v7, s3, v0, s24
	s_delay_alu instid0(VALU_DEP_1)
	v_sub_co_ci_u32_e64 v8, null, 0, 0, s3
	s_mov_b32 s25, 0
	s_and_b32 vcc_lo, exec_lo, s2
	s_cbranch_vccnz .LBB71_26
; %bb.7:
	v_cmp_gt_u32_e64 s2, 0x100, v0
	v_cmp_gt_u32_e64 s3, 64, v0
	;; [unrolled: 1-line block ×4, first 2 shown]
	v_cmp_eq_u32_e64 s6, 0, v0
	v_mov_b32_e32 v9, 0
	s_mov_b64 s[26:27], s[16:17]
	s_branch .LBB71_9
.LBB71_8:                               ;   in Loop: Header=BB71_9 Depth=1
	s_wait_alu 0xfffe
	s_or_b32 exec_lo, exec_lo, s7
	s_add_nc_u64 s[26:27], s[26:27], 1
	s_wait_alu 0xfffe
	v_cmp_ge_i64_e64 s7, s[26:27], s[18:19]
	s_and_b32 vcc_lo, exec_lo, s7
	s_wait_alu 0xfffe
	s_cbranch_vccnz .LBB71_26
.LBB71_9:                               ; =>This Loop Header: Depth=1
                                        ;     Child Loop BB71_11 Depth 2
	s_lshl_b64 s[28:29], s[26:27], 3
	v_mov_b32_e32 v10, 0
	s_wait_alu 0xfffe
	s_add_nc_u64 s[28:29], s[8:9], s[28:29]
	s_mov_b32 s31, exec_lo
	s_load_b128 s[36:39], s[28:29], 0x0
	s_wait_kmcnt 0x0
	v_add_co_u32 v1, vcc_lo, s36, v7
	s_wait_alu 0xfffd
	v_add_co_ci_u32_e64 v2, null, s37, v8, vcc_lo
	s_sub_nc_u64 s[28:29], s[38:39], s[24:25]
	s_wait_alu 0xfffe
	v_cmpx_gt_i64_e64 s[28:29], v[1:2]
	s_cbranch_execz .LBB71_13
; %bb.10:                               ;   in Loop: Header=BB71_9 Depth=1
	v_lshlrev_b64_e32 v[3:4], 3, v[1:2]
	v_lshlrev_b64_e32 v[5:6], 1, v[1:2]
	v_mov_b32_e32 v10, 0
	s_mov_b32 s33, 0
	s_delay_alu instid0(VALU_DEP_3)
	v_add_co_u32 v3, vcc_lo, s10, v3
	s_wait_alu 0xfffd
	v_add_co_ci_u32_e64 v4, null, s11, v4, vcc_lo
	v_add_co_u32 v5, vcc_lo, s12, v5
	s_wait_alu 0xfffd
	v_add_co_ci_u32_e64 v6, null, s13, v6, vcc_lo
.LBB71_11:                              ;   Parent Loop BB71_9 Depth=1
                                        ; =>  This Inner Loop Header: Depth=2
	global_load_b64 v[11:12], v[3:4], off
	s_wait_loadcnt 0x0
	v_sub_co_u32 v11, vcc_lo, v11, s24
	s_wait_alu 0xfffd
	v_subrev_co_ci_u32_e64 v12, null, 0, v12, vcc_lo
	s_delay_alu instid0(VALU_DEP_1) | instskip(NEXT) | instid1(VALU_DEP_1)
	v_lshlrev_b64_e32 v[11:12], 1, v[11:12]
	v_add_co_u32 v11, vcc_lo, s14, v11
	s_wait_alu 0xfffd
	s_delay_alu instid0(VALU_DEP_2)
	v_add_co_ci_u32_e64 v12, null, s15, v12, vcc_lo
	v_add_co_u32 v1, vcc_lo, 0x100, v1
	global_load_u16 v13, v[5:6], off
	global_load_u16 v11, v[11:12], off
	s_wait_alu 0xfffd
	v_add_co_ci_u32_e64 v2, null, 0, v2, vcc_lo
	v_add_co_u32 v3, vcc_lo, 0x800, v3
	s_wait_alu 0xfffd
	v_add_co_ci_u32_e64 v4, null, 0, v4, vcc_lo
	s_delay_alu instid0(VALU_DEP_3)
	v_cmp_le_i64_e32 vcc_lo, s[28:29], v[1:2]
	v_add_co_u32 v5, s7, 0x200, v5
	s_wait_alu 0xf1ff
	v_add_co_ci_u32_e64 v6, null, 0, v6, s7
	s_or_b32 s33, vcc_lo, s33
	s_wait_loadcnt 0x0
	v_fma_mix_f32 v10, v13, v11, v10 op_sel_hi:[1,1,0]
	s_and_not1_b32 exec_lo, exec_lo, s33
	s_cbranch_execnz .LBB71_11
; %bb.12:                               ;   in Loop: Header=BB71_9 Depth=1
	s_or_b32 exec_lo, exec_lo, s33
.LBB71_13:                              ;   in Loop: Header=BB71_9 Depth=1
	s_delay_alu instid0(SALU_CYCLE_1)
	s_or_b32 exec_lo, exec_lo, s31
	ds_store_b32 v14, v10
	s_wait_loadcnt_dscnt 0x0
	s_barrier_signal -1
	s_barrier_wait -1
	global_inv scope:SCOPE_SE
	s_and_saveexec_b32 s7, s2
	s_cbranch_execz .LBB71_15
; %bb.14:                               ;   in Loop: Header=BB71_9 Depth=1
	ds_load_2addr_stride64_b32 v[1:2], v14 offset1:4
	ds_load_2addr_stride64_b32 v[3:4], v14 offset0:8 offset1:12
	s_wait_dscnt 0x0
	v_add_f32_e32 v2, v2, v3
	s_delay_alu instid0(VALU_DEP_1) | instskip(NEXT) | instid1(VALU_DEP_1)
	v_add_f32_e32 v2, v2, v4
	v_add_f32_e32 v1, v1, v2
	ds_store_b32 v14, v1
.LBB71_15:                              ;   in Loop: Header=BB71_9 Depth=1
	s_wait_alu 0xfffe
	s_or_b32 exec_lo, exec_lo, s7
	s_wait_loadcnt_dscnt 0x0
	s_barrier_signal -1
	s_barrier_wait -1
	global_inv scope:SCOPE_SE
	s_and_saveexec_b32 s7, s3
	s_cbranch_execz .LBB71_17
; %bb.16:                               ;   in Loop: Header=BB71_9 Depth=1
	ds_load_2addr_stride64_b32 v[1:2], v14 offset1:1
	ds_load_2addr_stride64_b32 v[3:4], v14 offset0:2 offset1:3
	s_wait_dscnt 0x0
	v_add_f32_e32 v2, v2, v3
	s_delay_alu instid0(VALU_DEP_1) | instskip(NEXT) | instid1(VALU_DEP_1)
	v_add_f32_e32 v2, v2, v4
	v_add_f32_e32 v1, v1, v2
	ds_store_b32 v14, v1
.LBB71_17:                              ;   in Loop: Header=BB71_9 Depth=1
	s_wait_alu 0xfffe
	s_or_b32 exec_lo, exec_lo, s7
	s_wait_loadcnt_dscnt 0x0
	s_barrier_signal -1
	s_barrier_wait -1
	global_inv scope:SCOPE_SE
	s_and_saveexec_b32 s7, s4
	s_cbranch_execz .LBB71_19
; %bb.18:                               ;   in Loop: Header=BB71_9 Depth=1
	ds_load_2addr_b32 v[1:2], v14 offset1:16
	ds_load_2addr_b32 v[3:4], v14 offset0:32 offset1:48
	s_wait_dscnt 0x0
	v_add_f32_e32 v2, v2, v3
	s_delay_alu instid0(VALU_DEP_1) | instskip(NEXT) | instid1(VALU_DEP_1)
	v_add_f32_e32 v2, v2, v4
	v_add_f32_e32 v1, v1, v2
	ds_store_b32 v14, v1
.LBB71_19:                              ;   in Loop: Header=BB71_9 Depth=1
	s_wait_alu 0xfffe
	s_or_b32 exec_lo, exec_lo, s7
	s_wait_loadcnt_dscnt 0x0
	s_barrier_signal -1
	s_barrier_wait -1
	global_inv scope:SCOPE_SE
	s_and_saveexec_b32 s7, s5
	s_cbranch_execz .LBB71_21
; %bb.20:                               ;   in Loop: Header=BB71_9 Depth=1
	ds_load_2addr_b32 v[1:2], v14 offset1:4
	ds_load_2addr_b32 v[3:4], v14 offset0:8 offset1:12
	s_wait_dscnt 0x0
	v_add_f32_e32 v2, v2, v3
	s_delay_alu instid0(VALU_DEP_1) | instskip(NEXT) | instid1(VALU_DEP_1)
	v_add_f32_e32 v2, v2, v4
	v_add_f32_e32 v1, v1, v2
	ds_store_b32 v14, v1
.LBB71_21:                              ;   in Loop: Header=BB71_9 Depth=1
	s_wait_alu 0xfffe
	s_or_b32 exec_lo, exec_lo, s7
	s_wait_loadcnt_dscnt 0x0
	s_barrier_signal -1
	s_barrier_wait -1
	global_inv scope:SCOPE_SE
	s_and_saveexec_b32 s7, s6
	s_cbranch_execz .LBB71_23
; %bb.22:                               ;   in Loop: Header=BB71_9 Depth=1
	ds_load_2addr_b32 v[1:2], v9 offset0:1 offset1:2
	ds_load_b32 v3, v9 offset:12
	ds_load_b32 v4, v14
	s_wait_dscnt 0x2
	v_add_f32_e32 v1, v1, v2
	s_wait_dscnt 0x1
	s_delay_alu instid0(VALU_DEP_1) | instskip(SKIP_1) | instid1(VALU_DEP_1)
	v_add_f32_e32 v1, v1, v3
	s_wait_dscnt 0x0
	v_add_f32_e32 v1, v4, v1
	ds_store_b32 v14, v1
.LBB71_23:                              ;   in Loop: Header=BB71_9 Depth=1
	s_wait_alu 0xfffe
	s_or_b32 exec_lo, exec_lo, s7
	s_wait_loadcnt_dscnt 0x0
	s_barrier_signal -1
	s_barrier_wait -1
	global_inv scope:SCOPE_SE
	s_and_saveexec_b32 s7, s6
	s_cbranch_execz .LBB71_8
; %bb.24:                               ;   in Loop: Header=BB71_9 Depth=1
	s_mov_b32 s28, exec_lo
	s_wait_alu 0xfffe
	v_mbcnt_lo_u32_b32 v1, s28, 0
	s_delay_alu instid0(VALU_DEP_1)
	v_cmp_eq_u32_e32 vcc_lo, 0, v1
	s_and_b32 s29, exec_lo, vcc_lo
	s_wait_alu 0xfffe
	s_mov_b32 exec_lo, s29
	s_cbranch_execz .LBB71_8
; %bb.25:                               ;   in Loop: Header=BB71_9 Depth=1
	ds_load_b32 v1, v9
	s_bcnt1_i32_b32 s28, s28
	s_wait_alu 0xfffe
	v_cvt_f32_ubyte0_e32 v2, s28
	s_lshl_b64 s[28:29], s[26:27], 2
	s_wait_alu 0xfffe
	s_add_nc_u64 s[28:29], s[20:21], s[28:29]
	s_wait_dscnt 0x0
	v_mul_f32_e32 v1, s30, v1
	s_delay_alu instid0(VALU_DEP_1)
	v_mul_f32_e32 v1, v1, v2
	global_atomic_add_f32 v9, v1, s[28:29] scope:SCOPE_DEV
	s_branch .LBB71_8
.LBB71_26:
	s_lshl_b64 s[2:3], s[16:17], 3
	s_lshl_b64 s[4:5], s[18:19], 3
	s_wait_alu 0xfffe
	s_add_nc_u64 s[2:3], s[8:9], s[2:3]
	s_add_nc_u64 s[4:5], s[8:9], s[4:5]
	s_clause 0x1
	s_load_b64 s[2:3], s[2:3], 0x0
	s_load_b64 s[4:5], s[4:5], 0x0
	s_wait_kmcnt 0x0
	v_add_co_u32 v1, vcc_lo, s2, v7
	s_wait_alu 0xfffd
	v_add_co_ci_u32_e64 v2, null, s3, v8, vcc_lo
	s_sub_nc_u64 s[4:5], s[4:5], s[24:25]
	s_mov_b32 s3, exec_lo
	v_cmpx_gt_i64_e64 s[4:5], v[1:2]
	s_cbranch_execz .LBB71_35
; %bb.27:
	s_add_nc_u64 s[6:7], s[18:19], -1
	s_add_nc_u64 s[26:27], s[18:19], -2
	s_wait_alu 0xfffe
	v_cmp_lt_i64_e64 s2, s[16:17], s[6:7]
	s_cmp_lg_u64 s[16:17], s[26:27]
	s_mov_b32 s26, 0
	s_cselect_b32 s25, -1, 0
	s_wait_alu 0xfffe
	s_and_b32 s25, s2, s25
	s_branch .LBB71_29
.LBB71_28:                              ;   in Loop: Header=BB71_29 Depth=1
	s_wait_alu 0xfffe
	s_or_b32 exec_lo, exec_lo, s2
	v_add_co_u32 v1, vcc_lo, 0x100, v1
	s_wait_alu 0xfffd
	v_add_co_ci_u32_e64 v2, null, 0, v2, vcc_lo
	s_delay_alu instid0(VALU_DEP_1)
	v_cmp_le_i64_e32 vcc_lo, s[4:5], v[1:2]
	s_or_b32 s26, vcc_lo, s26
	s_wait_alu 0xfffe
	s_and_not1_b32 exec_lo, exec_lo, s26
	s_cbranch_execz .LBB71_35
.LBB71_29:                              ; =>This Loop Header: Depth=1
                                        ;     Child Loop BB71_31 Depth 2
	v_dual_mov_b32 v3, s16 :: v_dual_mov_b32 v4, s17
	v_dual_mov_b32 v5, s6 :: v_dual_mov_b32 v6, s7
	s_wait_alu 0xfffe
	s_and_not1_b32 vcc_lo, exec_lo, s25
	s_wait_alu 0xfffe
	s_cbranch_vccnz .LBB71_33
; %bb.30:                               ;   in Loop: Header=BB71_29 Depth=1
	v_dual_mov_b32 v3, s16 :: v_dual_mov_b32 v4, s17
	v_dual_mov_b32 v5, s6 :: v_dual_mov_b32 v6, s7
	s_mov_b32 s27, 0
.LBB71_31:                              ;   Parent Loop BB71_29 Depth=1
                                        ; =>  This Inner Loop Header: Depth=2
	s_delay_alu instid0(VALU_DEP_1) | instskip(SKIP_1) | instid1(VALU_DEP_2)
	v_add_co_u32 v7, vcc_lo, v5, v3
	s_wait_alu 0xfffd
	v_add_co_ci_u32_e64 v8, null, v6, v4, vcc_lo
	s_delay_alu instid0(VALU_DEP_1) | instskip(NEXT) | instid1(VALU_DEP_1)
	v_lshrrev_b32_e32 v9, 31, v8
	v_add_co_u32 v7, vcc_lo, v7, v9
	s_wait_alu 0xfffd
	v_add_co_ci_u32_e64 v8, null, 0, v8, vcc_lo
	s_delay_alu instid0(VALU_DEP_1) | instskip(NEXT) | instid1(VALU_DEP_1)
	v_ashrrev_i64 v[7:8], 1, v[7:8]
	v_lshlrev_b64_e32 v[9:10], 3, v[7:8]
	s_delay_alu instid0(VALU_DEP_1) | instskip(SKIP_1) | instid1(VALU_DEP_2)
	v_add_co_u32 v9, vcc_lo, s8, v9
	s_wait_alu 0xfffd
	v_add_co_ci_u32_e64 v10, null, s9, v10, vcc_lo
	global_load_b64 v[9:10], v[9:10], off
	s_wait_loadcnt 0x0
	v_sub_co_u32 v9, vcc_lo, v9, s24
	s_wait_alu 0xfffd
	v_subrev_co_ci_u32_e64 v10, null, 0, v10, vcc_lo
	s_delay_alu instid0(VALU_DEP_1) | instskip(SKIP_3) | instid1(VALU_DEP_2)
	v_cmp_lt_i64_e32 vcc_lo, v[1:2], v[9:10]
	s_wait_alu 0xfffd
	v_dual_cndmask_b32 v6, v6, v8 :: v_dual_cndmask_b32 v5, v5, v7
	v_dual_cndmask_b32 v4, v8, v4 :: v_dual_cndmask_b32 v3, v7, v3
	v_add_co_u32 v7, vcc_lo, v5, -1
	s_wait_alu 0xfffd
	s_delay_alu instid0(VALU_DEP_3) | instskip(NEXT) | instid1(VALU_DEP_3)
	v_add_co_ci_u32_e64 v8, null, -1, v6, vcc_lo
	v_cmp_ge_i64_e32 vcc_lo, v[3:4], v[5:6]
	s_delay_alu instid0(VALU_DEP_2)
	v_cmp_eq_u64_e64 s2, v[3:4], v[7:8]
	s_or_b32 s2, vcc_lo, s2
	s_wait_alu 0xfffe
	s_and_b32 s2, exec_lo, s2
	s_wait_alu 0xfffe
	s_or_b32 s27, s2, s27
	s_wait_alu 0xfffe
	s_and_not1_b32 exec_lo, exec_lo, s27
	s_cbranch_execnz .LBB71_31
; %bb.32:                               ;   in Loop: Header=BB71_29 Depth=1
	s_or_b32 exec_lo, exec_lo, s27
.LBB71_33:                              ;   in Loop: Header=BB71_29 Depth=1
	v_lshlrev_b64_e32 v[7:8], 3, v[5:6]
	v_lshlrev_b64_e32 v[9:10], 3, v[1:2]
	s_mov_b32 s2, exec_lo
	s_delay_alu instid0(VALU_DEP_2) | instskip(SKIP_1) | instid1(VALU_DEP_3)
	v_add_co_u32 v7, vcc_lo, s8, v7
	s_wait_alu 0xfffd
	v_add_co_ci_u32_e64 v8, null, s9, v8, vcc_lo
	s_delay_alu instid0(VALU_DEP_3)
	v_add_co_u32 v9, vcc_lo, s10, v9
	s_wait_alu 0xfffd
	v_add_co_ci_u32_e64 v10, null, s11, v10, vcc_lo
	global_load_b64 v[7:8], v[7:8], off
	global_load_b64 v[9:10], v[9:10], off
	s_wait_loadcnt 0x1
	v_sub_co_u32 v7, vcc_lo, v7, s24
	s_wait_alu 0xfffd
	v_subrev_co_ci_u32_e64 v8, null, 0, v8, vcc_lo
	s_delay_alu instid0(VALU_DEP_1)
	v_cmp_lt_i64_e32 vcc_lo, v[1:2], v[7:8]
	s_wait_alu 0xfffd
	v_dual_cndmask_b32 v6, v6, v4 :: v_dual_cndmask_b32 v5, v5, v3
	s_wait_loadcnt 0x0
	v_sub_co_u32 v3, vcc_lo, v9, s24
	s_wait_alu 0xfffd
	v_subrev_co_ci_u32_e64 v4, null, 0, v10, vcc_lo
	s_delay_alu instid0(VALU_DEP_1)
	v_cmpx_ne_u64_e64 v[3:4], v[5:6]
	s_cbranch_execz .LBB71_28
; %bb.34:                               ;   in Loop: Header=BB71_29 Depth=1
	v_lshlrev_b64_e32 v[7:8], 1, v[1:2]
	v_lshlrev_b64_e32 v[5:6], 1, v[5:6]
	;; [unrolled: 1-line block ×3, first 2 shown]
	s_delay_alu instid0(VALU_DEP_3) | instskip(SKIP_1) | instid1(VALU_DEP_4)
	v_add_co_u32 v7, vcc_lo, s12, v7
	s_wait_alu 0xfffd
	v_add_co_ci_u32_e64 v8, null, s13, v8, vcc_lo
	s_delay_alu instid0(VALU_DEP_4)
	v_add_co_u32 v5, vcc_lo, s14, v5
	s_wait_alu 0xfffd
	v_add_co_ci_u32_e64 v6, null, s15, v6, vcc_lo
	global_load_u16 v7, v[7:8], off
	v_add_co_u32 v3, vcc_lo, s20, v3
	global_load_u16 v5, v[5:6], off
	s_wait_alu 0xfffd
	v_add_co_ci_u32_e64 v4, null, s21, v4, vcc_lo
	s_wait_loadcnt 0x1
	v_cvt_f32_f16_e32 v6, v7
	s_wait_loadcnt 0x0
	v_cvt_f32_f16_e32 v5, v5
	s_delay_alu instid0(VALU_DEP_2) | instskip(NEXT) | instid1(VALU_DEP_1)
	v_mul_f32_e32 v6, s30, v6
	v_mul_f32_e32 v5, v6, v5
	global_atomic_add_f32 v[3:4], v5, off scope:SCOPE_DEV
	s_branch .LBB71_28
.LBB71_35:
	s_wait_alu 0xfffe
	s_or_b32 exec_lo, exec_lo, s3
	s_mov_b32 s2, 0
.LBB71_36:
	s_wait_alu 0xfffe
	s_and_b32 vcc_lo, exec_lo, s2
	s_wait_alu 0xfffe
	s_cbranch_vccz .LBB71_137
; %bb.37:
	s_load_b32 s2, s[0:1], 0x6c
	s_mov_b32 s25, 0
	s_mov_b64 s[28:29], 0
	s_wait_alu 0xfffe
	s_mov_b32 s7, s25
	s_wait_kmcnt 0x0
	s_and_b32 s6, s2, 0xffff
	s_wait_alu 0xfffe
	v_cmp_lt_u64_e64 s2, s[6:7], s[22:23]
	s_and_b32 vcc_lo, exec_lo, s2
	s_wait_alu 0xfffe
	s_cbranch_vccnz .LBB71_39
; %bb.38:
	v_cvt_f32_u32_e32 v1, s22
	s_sub_co_i32 s3, 0, s22
	s_delay_alu instid0(VALU_DEP_1) | instskip(NEXT) | instid1(TRANS32_DEP_1)
	v_rcp_iflag_f32_e32 v1, v1
	v_mul_f32_e32 v1, 0x4f7ffffe, v1
	s_delay_alu instid0(VALU_DEP_1) | instskip(NEXT) | instid1(VALU_DEP_1)
	v_cvt_u32_f32_e32 v1, v1
	v_readfirstlane_b32 s2, v1
	s_wait_alu 0xfffe
	s_mul_i32 s3, s3, s2
	s_wait_alu 0xfffe
	s_mul_hi_u32 s3, s2, s3
	s_wait_alu 0xfffe
	s_add_co_i32 s2, s2, s3
	s_wait_alu 0xfffe
	s_mul_hi_u32 s2, s6, s2
	s_wait_alu 0xfffe
	s_mul_i32 s3, s2, s22
	s_add_co_i32 s4, s2, 1
	s_wait_alu 0xfffe
	s_sub_co_i32 s3, s6, s3
	s_wait_alu 0xfffe
	s_sub_co_i32 s5, s3, s22
	s_cmp_ge_u32 s3, s22
	s_cselect_b32 s2, s4, s2
	s_wait_alu 0xfffe
	s_cselect_b32 s3, s5, s3
	s_add_co_i32 s4, s2, 1
	s_wait_alu 0xfffe
	s_cmp_ge_u32 s3, s22
	s_cselect_b32 s28, s4, s2
.LBB71_39:
	s_lshl_b64 s[2:3], s[16:17], 3
	v_sub_co_u32 v1, s7, v0, s24
	s_wait_alu 0xfffe
	s_add_nc_u64 s[26:27], s[8:9], s[2:3]
	s_load_b64 s[4:5], s[26:27], 0x0
	s_load_b128 s[0:3], s[0:1], 0x8
	v_sub_co_ci_u32_e64 v2, null, 0, 0, s7
	s_wait_kmcnt 0x0
	v_add_co_u32 v4, vcc_lo, s4, v1
	s_wait_alu 0xfffd
	s_delay_alu instid0(VALU_DEP_2) | instskip(SKIP_1) | instid1(VALU_DEP_3)
	v_add_co_ci_u32_e64 v5, null, s5, v2, vcc_lo
	v_mov_b32_e32 v1, 0
	v_add_co_u32 v2, vcc_lo, 0x300, v4
	s_wait_alu 0xfffd
	s_delay_alu instid0(VALU_DEP_3) | instskip(NEXT) | instid1(VALU_DEP_1)
	v_add_co_ci_u32_e64 v3, null, 0, v5, vcc_lo
	v_cmp_le_i64_e32 vcc_lo, s[0:1], v[2:3]
	s_and_saveexec_b32 s0, vcc_lo
	s_wait_alu 0xfffe
	s_xor_b32 s7, exec_lo, s0
	s_cbranch_execz .LBB71_44
; %bb.40:
	s_lshl_b64 s[0:1], s[18:19], 3
	s_mov_b32 s29, exec_lo
	s_wait_alu 0xfffe
	s_add_nc_u64 s[0:1], s[8:9], s[0:1]
	s_load_b64 s[0:1], s[0:1], 0x0
	s_wait_kmcnt 0x0
	s_sub_nc_u64 s[34:35], s[0:1], s[4:5]
	s_delay_alu instid0(SALU_CYCLE_1)
	v_cmpx_gt_i64_e64 s[34:35], v[0:1]
	s_cbranch_execz .LBB71_43
; %bb.41:
	v_lshlrev_b64_e32 v[6:7], 1, v[4:5]
	v_dual_mov_b32 v10, v14 :: v_dual_mov_b32 v9, v1
	v_mov_b32_e32 v8, v0
	s_mov_b32 s31, 0
	s_delay_alu instid0(VALU_DEP_3)
	v_add_co_u32 v6, s0, s12, v6
	s_wait_alu 0xf1ff
	v_add_co_ci_u32_e64 v7, null, s13, v7, s0
.LBB71_42:                              ; =>This Inner Loop Header: Depth=1
	global_load_u16 v11, v[6:7], off
	v_add_co_u32 v8, s0, 0x100, v8
	s_wait_alu 0xf1ff
	v_add_co_ci_u32_e64 v9, null, 0, v9, s0
	v_add_co_u32 v6, s0, 0x200, v6
	s_wait_alu 0xf1ff
	v_add_co_ci_u32_e64 v7, null, 0, v7, s0
	s_delay_alu instid0(VALU_DEP_3) | instskip(SKIP_4) | instid1(VALU_DEP_1)
	v_cmp_le_i64_e64 s1, s[34:35], v[8:9]
	s_wait_alu 0xfffe
	s_or_b32 s31, s1, s31
	s_wait_loadcnt 0x0
	v_cvt_f32_f16_e32 v11, v11
	v_mul_f32_e32 v11, s30, v11
	ds_store_b32 v10, v11
	v_add_nc_u32_e32 v10, 0x400, v10
	s_wait_alu 0xfffe
	s_and_not1_b32 exec_lo, exec_lo, s31
	s_cbranch_execnz .LBB71_42
.LBB71_43:
	s_or_b32 exec_lo, exec_lo, s29
.LBB71_44:
	s_wait_alu 0xfffe
	s_and_not1_saveexec_b32 s1, s7
	s_cbranch_execz .LBB71_46
; %bb.45:
	v_lshlrev_b64_e32 v[6:7], 1, v[4:5]
	s_delay_alu instid0(VALU_DEP_1) | instskip(SKIP_1) | instid1(VALU_DEP_2)
	v_add_co_u32 v6, s0, s12, v6
	s_wait_alu 0xf1ff
	v_add_co_ci_u32_e64 v7, null, s13, v7, s0
	s_clause 0x3
	global_load_u16 v8, v[6:7], off
	global_load_u16 v9, v[6:7], off offset:512
	global_load_u16 v10, v[6:7], off offset:1024
	;; [unrolled: 1-line block ×3, first 2 shown]
	s_wait_loadcnt 0x3
	v_cvt_f32_f16_e32 v7, v8
	s_wait_loadcnt 0x2
	v_cvt_f32_f16_e32 v8, v9
	s_wait_loadcnt 0x1
	v_cvt_f32_f16_e32 v9, v10
	s_wait_loadcnt 0x0
	v_cvt_f32_f16_e32 v6, v6
	v_dual_mul_f32 v7, s30, v7 :: v_dual_mul_f32 v8, s30, v8
	s_delay_alu instid0(VALU_DEP_2)
	v_dual_mul_f32 v9, s30, v9 :: v_dual_mul_f32 v6, s30, v6
	ds_store_2addr_stride64_b32 v14, v7, v8 offset1:4
	ds_store_2addr_stride64_b32 v14, v9, v6 offset0:8 offset1:12
.LBB71_46:
	s_wait_alu 0xfffe
	s_or_b32 exec_lo, exec_lo, s1
	v_lshl_add_u32 v15, v0, 2, 0x1000
	s_mov_b32 s1, exec_lo
	v_cmpx_gt_i64_e64 s[2:3], v[0:1]
	s_cbranch_execz .LBB71_49
; %bb.47:
	v_mov_b32_e32 v7, v1
	v_lshl_add_u32 v8, v0, 2, 0x1000
	v_dual_mov_b32 v9, 0 :: v_dual_mov_b32 v6, v0
	s_mov_b32 s7, 0
.LBB71_48:                              ; =>This Inner Loop Header: Depth=1
	s_delay_alu instid0(VALU_DEP_1)
	v_add_co_u32 v6, s0, 0x100, v6
	s_wait_alu 0xf1ff
	v_add_co_ci_u32_e64 v7, null, 0, v7, s0
	ds_store_b32 v8, v9
	v_add_nc_u32_e32 v8, 0x400, v8
	v_cmp_le_i64_e64 s0, s[2:3], v[6:7]
	s_wait_alu 0xfffe
	s_or_b32 s7, s0, s7
	s_wait_alu 0xfffe
	s_and_not1_b32 exec_lo, exec_lo, s7
	s_cbranch_execnz .LBB71_48
.LBB71_49:
	s_wait_alu 0xfffe
	s_or_b32 exec_lo, exec_lo, s1
	v_cmp_ge_i64_e64 s7, s[18:19], s[2:3]
	s_sub_nc_u64 s[0:1], s[18:19], s[2:3]
	s_wait_storecnt 0x0
	s_wait_loadcnt_dscnt 0x0
	s_barrier_signal -1
	s_barrier_wait -1
	global_inv scope:SCOPE_SE
	s_and_b32 s7, s7, exec_lo
	s_wait_alu 0xfffe
	s_cselect_b32 s13, s1, 0
	s_cselect_b32 s12, s0, 0
	s_and_saveexec_b32 s0, vcc_lo
	s_wait_alu 0xfffe
	s_xor_b32 s7, exec_lo, s0
	s_cbranch_execz .LBB71_66
; %bb.50:
	s_lshl_b64 s[0:1], s[18:19], 3
	s_mov_b32 s29, exec_lo
	s_wait_alu 0xfffe
	s_add_nc_u64 s[0:1], s[8:9], s[0:1]
	s_load_b64 s[0:1], s[0:1], 0x0
	s_wait_kmcnt 0x0
	s_sub_nc_u64 s[30:31], s[0:1], s[4:5]
	s_wait_alu 0xfffe
	v_cmpx_gt_i64_e64 s[30:31], v[0:1]
	s_cbranch_execz .LBB71_65
; %bb.51:
	s_add_nc_u64 s[34:35], s[18:19], -2
	s_sub_nc_u64 s[36:37], s[0:1], s[24:25]
	s_wait_alu 0xfffe
	s_cmp_lg_u64 s[16:17], s[34:35]
	s_add_nc_u64 s[34:35], s[18:19], -1
	s_cselect_b32 s33, -1, 0
	s_mov_b64 s[38:39], 0
	s_mov_b32 s1, 0
	s_branch .LBB71_54
.LBB71_52:                              ;   in Loop: Header=BB71_54 Depth=1
	s_wait_alu 0xfffe
	s_or_b32 exec_lo, exec_lo, s0
.LBB71_53:                              ;   in Loop: Header=BB71_54 Depth=1
	s_delay_alu instid0(SALU_CYCLE_1) | instskip(SKIP_2) | instid1(VALU_DEP_1)
	s_or_b32 exec_lo, exec_lo, s40
	v_lshlrev_b64_e32 v[2:3], 1, v[2:3]
	s_add_nc_u64 s[38:39], s[38:39], 0x100
	v_add_co_u32 v2, vcc_lo, s14, v2
	s_wait_alu 0xfffd
	s_delay_alu instid0(VALU_DEP_2)
	v_add_co_ci_u32_e64 v3, null, s15, v3, vcc_lo
	global_load_u16 v6, v[2:3], off
	s_wait_alu 0xfffe
	v_add_co_u32 v2, s0, s38, v0
	s_wait_alu 0xf1ff
	v_add_co_ci_u32_e64 v3, null, s39, 0, s0
	s_delay_alu instid0(VALU_DEP_1)
	v_cmp_le_i64_e32 vcc_lo, s[30:31], v[2:3]
	v_lshlrev_b32_e32 v2, 2, v10
	s_or_b32 s1, vcc_lo, s1
	s_wait_loadcnt 0x0
	v_cvt_f32_f16_e32 v6, v6
	s_wait_dscnt 0x0
	s_delay_alu instid0(VALU_DEP_1)
	v_mul_f32_e32 v3, v11, v6
	ds_store_b32 v2, v3
	s_wait_alu 0xfffe
	s_and_not1_b32 exec_lo, exec_lo, s1
	s_cbranch_execz .LBB71_65
.LBB71_54:                              ; =>This Loop Header: Depth=1
                                        ;     Child Loop BB71_56 Depth 2
	v_add_co_u32 v6, vcc_lo, s38, v4
	s_wait_alu 0xfffd
	v_add_co_ci_u32_e64 v7, null, s39, v5, vcc_lo
	v_dual_mov_b32 v8, s16 :: v_dual_mov_b32 v9, s17
	s_wait_alu 0xfffe
	v_dual_mov_b32 v10, s34 :: v_dual_mov_b32 v11, s35
	s_and_not1_b32 vcc_lo, exec_lo, s33
	s_wait_alu 0xfffe
	s_cbranch_vccnz .LBB71_58
; %bb.55:                               ;   in Loop: Header=BB71_54 Depth=1
	v_dual_mov_b32 v8, s16 :: v_dual_mov_b32 v9, s17
	v_dual_mov_b32 v10, s34 :: v_dual_mov_b32 v11, s35
	s_mov_b32 s40, 0
.LBB71_56:                              ;   Parent Loop BB71_54 Depth=1
                                        ; =>  This Inner Loop Header: Depth=2
	s_delay_alu instid0(VALU_DEP_1) | instskip(SKIP_1) | instid1(VALU_DEP_2)
	v_add_co_u32 v2, vcc_lo, v10, v8
	s_wait_alu 0xfffd
	v_add_co_ci_u32_e64 v3, null, v11, v9, vcc_lo
	s_delay_alu instid0(VALU_DEP_1) | instskip(NEXT) | instid1(VALU_DEP_1)
	v_lshrrev_b32_e32 v12, 31, v3
	v_add_co_u32 v2, vcc_lo, v2, v12
	s_wait_alu 0xfffd
	v_add_co_ci_u32_e64 v3, null, 0, v3, vcc_lo
	s_delay_alu instid0(VALU_DEP_1) | instskip(NEXT) | instid1(VALU_DEP_1)
	v_ashrrev_i64 v[2:3], 1, v[2:3]
	v_lshlrev_b64_e32 v[12:13], 3, v[2:3]
	s_delay_alu instid0(VALU_DEP_1) | instskip(SKIP_1) | instid1(VALU_DEP_2)
	v_add_co_u32 v12, vcc_lo, s8, v12
	s_wait_alu 0xfffd
	v_add_co_ci_u32_e64 v13, null, s9, v13, vcc_lo
	global_load_b64 v[12:13], v[12:13], off
	s_wait_loadcnt 0x0
	v_sub_co_u32 v12, vcc_lo, v12, s24
	s_wait_alu 0xfffd
	v_subrev_co_ci_u32_e64 v13, null, 0, v13, vcc_lo
	s_delay_alu instid0(VALU_DEP_1) | instskip(SKIP_3) | instid1(VALU_DEP_2)
	v_cmp_lt_i64_e32 vcc_lo, v[6:7], v[12:13]
	s_wait_alu 0xfffd
	v_dual_cndmask_b32 v11, v11, v3 :: v_dual_cndmask_b32 v10, v10, v2
	v_dual_cndmask_b32 v9, v3, v9 :: v_dual_cndmask_b32 v8, v2, v8
	v_add_co_u32 v2, vcc_lo, v10, -1
	s_wait_alu 0xfffd
	s_delay_alu instid0(VALU_DEP_3) | instskip(NEXT) | instid1(VALU_DEP_3)
	v_add_co_ci_u32_e64 v3, null, -1, v11, vcc_lo
	v_cmp_ge_i64_e32 vcc_lo, v[8:9], v[10:11]
	s_delay_alu instid0(VALU_DEP_2)
	v_cmp_eq_u64_e64 s0, v[8:9], v[2:3]
	s_or_b32 s0, vcc_lo, s0
	s_wait_alu 0xfffe
	s_and_b32 s0, exec_lo, s0
	s_wait_alu 0xfffe
	s_or_b32 s40, s0, s40
	s_delay_alu instid0(SALU_CYCLE_1)
	s_and_not1_b32 exec_lo, exec_lo, s40
	s_cbranch_execnz .LBB71_56
; %bb.57:                               ;   in Loop: Header=BB71_54 Depth=1
	s_or_b32 exec_lo, exec_lo, s40
.LBB71_58:                              ;   in Loop: Header=BB71_54 Depth=1
	s_delay_alu instid0(VALU_DEP_1) | instskip(SKIP_1) | instid1(VALU_DEP_2)
	v_lshlrev_b64_e32 v[2:3], 3, v[10:11]
	v_lshlrev_b64_e32 v[12:13], 3, v[6:7]
	v_add_co_u32 v2, vcc_lo, s8, v2
	s_wait_alu 0xfffd
	s_delay_alu instid0(VALU_DEP_3) | instskip(NEXT) | instid1(VALU_DEP_3)
	v_add_co_ci_u32_e64 v3, null, s9, v3, vcc_lo
	v_add_co_u32 v12, vcc_lo, s10, v12
	s_wait_alu 0xfffd
	v_add_co_ci_u32_e64 v13, null, s11, v13, vcc_lo
	global_load_b64 v[2:3], v[2:3], off
	global_load_b64 v[12:13], v[12:13], off
	s_wait_loadcnt 0x1
	v_sub_co_u32 v2, vcc_lo, v2, s24
	s_wait_alu 0xfffd
	v_subrev_co_ci_u32_e64 v3, null, 0, v3, vcc_lo
	s_delay_alu instid0(VALU_DEP_1)
	v_cmp_lt_i64_e32 vcc_lo, v[6:7], v[2:3]
	s_wait_loadcnt 0x0
	v_sub_co_u32 v2, s0, v12, s24
	s_wait_alu 0xf1ff
	v_subrev_co_ci_u32_e64 v3, null, 0, v13, s0
	v_cmp_le_i64_e64 s0, s[36:37], v[6:7]
	s_wait_alu 0xfffd
	v_dual_cndmask_b32 v9, v11, v9 :: v_dual_cndmask_b32 v8, v10, v8
	v_add_co_u32 v10, null, s38, v0
                                        ; implicit-def: $vgpr11
	s_delay_alu instid0(VALU_DEP_2) | instskip(NEXT) | instid1(VALU_DEP_2)
	v_cmp_eq_u64_e32 vcc_lo, v[2:3], v[8:9]
	v_lshlrev_b32_e32 v12, 2, v10
	s_or_b32 s0, vcc_lo, s0
	s_wait_alu 0xfffe
	s_and_saveexec_b32 s40, s0
	s_delay_alu instid0(SALU_CYCLE_1)
	s_xor_b32 s0, exec_lo, s40
; %bb.59:                               ;   in Loop: Header=BB71_54 Depth=1
	ds_load_b32 v11, v12
                                        ; implicit-def: $vgpr12
                                        ; implicit-def: $vgpr8_vgpr9
; %bb.60:                               ;   in Loop: Header=BB71_54 Depth=1
	s_wait_alu 0xfffe
	s_and_not1_saveexec_b32 s40, s0
	s_cbranch_execz .LBB71_53
; %bb.61:                               ;   in Loop: Header=BB71_54 Depth=1
	v_cmp_gt_i64_e32 vcc_lo, s[12:13], v[2:3]
	v_cmp_le_i64_e64 s0, s[18:19], v[2:3]
	v_lshlrev_b64_e32 v[6:7], 1, v[8:9]
                                        ; implicit-def: $vgpr11
	s_or_b32 s0, vcc_lo, s0
	s_wait_alu 0xfffe
	s_and_saveexec_b32 s41, s0
	s_delay_alu instid0(SALU_CYCLE_1)
	s_xor_b32 s0, exec_lo, s41
	s_cbranch_execz .LBB71_63
; %bb.62:                               ;   in Loop: Header=BB71_54 Depth=1
	v_add_co_u32 v6, vcc_lo, s14, v6
	s_wait_alu 0xfffd
	v_add_co_ci_u32_e64 v7, null, s15, v7, vcc_lo
	s_wait_dscnt 0x0
	ds_load_b32 v11, v12
                                        ; implicit-def: $vgpr12
	global_load_u16 v8, v[6:7], off
	v_lshlrev_b64_e32 v[6:7], 2, v[2:3]
	s_delay_alu instid0(VALU_DEP_1) | instskip(SKIP_1) | instid1(VALU_DEP_2)
	v_add_co_u32 v6, vcc_lo, s20, v6
	s_wait_alu 0xfffd
	v_add_co_ci_u32_e64 v7, null, s21, v7, vcc_lo
	s_wait_loadcnt 0x0
	v_cvt_f32_f16_e32 v8, v8
	s_wait_dscnt 0x0
	s_delay_alu instid0(VALU_DEP_1)
	v_mul_f32_e32 v8, v11, v8
	global_atomic_add_f32 v[6:7], v8, off scope:SCOPE_DEV
                                        ; implicit-def: $vgpr6_vgpr7
.LBB71_63:                              ;   in Loop: Header=BB71_54 Depth=1
	s_wait_alu 0xfffe
	s_and_not1_saveexec_b32 s0, s0
	s_cbranch_execz .LBB71_52
; %bb.64:                               ;   in Loop: Header=BB71_54 Depth=1
	v_add_co_u32 v6, vcc_lo, s14, v6
	s_wait_alu 0xfffd
	v_add_co_ci_u32_e64 v7, null, s15, v7, vcc_lo
	s_wait_dscnt 0x0
	ds_load_b32 v11, v12
	global_load_u16 v6, v[6:7], off
	v_subrev_nc_u32_e32 v7, s12, v2
	s_delay_alu instid0(VALU_DEP_1) | instskip(SKIP_3) | instid1(VALU_DEP_1)
	v_lshl_add_u32 v7, v7, 2, 0x1000
	s_wait_loadcnt 0x0
	v_cvt_f32_f16_e32 v6, v6
	s_wait_dscnt 0x0
	v_mul_f32_e32 v6, v11, v6
	ds_add_f32 v7, v6
	s_branch .LBB71_52
.LBB71_65:
	s_or_b32 exec_lo, exec_lo, s29
                                        ; implicit-def: $vgpr2_vgpr3
                                        ; implicit-def: $vgpr4
.LBB71_66:
	s_wait_alu 0xfffe
	s_and_not1_saveexec_b32 s1, s7
	s_cbranch_execz .LBB71_108
; %bb.67:
	s_add_nc_u64 s[30:31], s[18:19], -1
	s_add_nc_u64 s[34:35], s[18:19], -2
	v_dual_mov_b32 v8, s16 :: v_dual_mov_b32 v9, s17
	s_wait_alu 0xfffe
	v_dual_mov_b32 v10, s30 :: v_dual_mov_b32 v11, s31
	s_cmp_lg_u64 s[16:17], s[34:35]
	s_cselect_b32 s7, -1, 0
	s_cmp_eq_u64 s[16:17], s[34:35]
	s_cbranch_scc1 .LBB71_71
; %bb.68:
	v_dual_mov_b32 v8, s16 :: v_dual_mov_b32 v9, s17
	v_dual_mov_b32 v10, s30 :: v_dual_mov_b32 v11, s31
	s_mov_b32 s29, 0
.LBB71_69:                              ; =>This Inner Loop Header: Depth=1
	s_delay_alu instid0(VALU_DEP_1) | instskip(SKIP_1) | instid1(VALU_DEP_2)
	v_add_co_u32 v6, vcc_lo, v10, v8
	s_wait_alu 0xfffd
	v_add_co_ci_u32_e64 v7, null, v11, v9, vcc_lo
	s_delay_alu instid0(VALU_DEP_1) | instskip(NEXT) | instid1(VALU_DEP_1)
	v_lshrrev_b32_e32 v12, 31, v7
	v_add_co_u32 v6, vcc_lo, v6, v12
	s_wait_alu 0xfffd
	v_add_co_ci_u32_e64 v7, null, 0, v7, vcc_lo
	s_delay_alu instid0(VALU_DEP_1) | instskip(NEXT) | instid1(VALU_DEP_1)
	v_ashrrev_i64 v[6:7], 1, v[6:7]
	v_lshlrev_b64_e32 v[12:13], 3, v[6:7]
	s_delay_alu instid0(VALU_DEP_1) | instskip(SKIP_1) | instid1(VALU_DEP_2)
	v_add_co_u32 v12, vcc_lo, s8, v12
	s_wait_alu 0xfffd
	v_add_co_ci_u32_e64 v13, null, s9, v13, vcc_lo
	global_load_b64 v[12:13], v[12:13], off
	s_wait_loadcnt 0x0
	v_sub_co_u32 v12, vcc_lo, v12, s24
	s_wait_alu 0xfffd
	v_subrev_co_ci_u32_e64 v13, null, 0, v13, vcc_lo
	s_delay_alu instid0(VALU_DEP_1) | instskip(SKIP_3) | instid1(VALU_DEP_2)
	v_cmp_lt_i64_e32 vcc_lo, v[4:5], v[12:13]
	s_wait_alu 0xfffd
	v_dual_cndmask_b32 v11, v11, v7 :: v_dual_cndmask_b32 v10, v10, v6
	v_dual_cndmask_b32 v9, v7, v9 :: v_dual_cndmask_b32 v8, v6, v8
	v_add_co_u32 v6, vcc_lo, v10, -1
	s_wait_alu 0xfffd
	s_delay_alu instid0(VALU_DEP_3) | instskip(NEXT) | instid1(VALU_DEP_3)
	v_add_co_ci_u32_e64 v7, null, -1, v11, vcc_lo
	v_cmp_ge_i64_e32 vcc_lo, v[8:9], v[10:11]
	s_delay_alu instid0(VALU_DEP_2)
	v_cmp_eq_u64_e64 s0, v[8:9], v[6:7]
	s_or_b32 s0, vcc_lo, s0
	s_wait_alu 0xfffe
	s_and_b32 s0, exec_lo, s0
	s_wait_alu 0xfffe
	s_or_b32 s29, s0, s29
	s_wait_alu 0xfffe
	s_and_not1_b32 exec_lo, exec_lo, s29
	s_cbranch_execnz .LBB71_69
; %bb.70:
	s_or_b32 exec_lo, exec_lo, s29
.LBB71_71:
	v_lshlrev_b64_e32 v[6:7], 3, v[10:11]
	s_mov_b32 s29, exec_lo
	s_delay_alu instid0(VALU_DEP_1) | instskip(SKIP_1) | instid1(VALU_DEP_2)
	v_add_co_u32 v6, vcc_lo, s8, v6
	s_wait_alu 0xfffd
	v_add_co_ci_u32_e64 v7, null, s9, v7, vcc_lo
	global_load_b64 v[12:13], v[6:7], off
	v_lshlrev_b64_e32 v[6:7], 3, v[4:5]
	s_delay_alu instid0(VALU_DEP_1) | instskip(SKIP_1) | instid1(VALU_DEP_2)
	v_add_co_u32 v6, vcc_lo, s10, v6
	s_wait_alu 0xfffd
	v_add_co_ci_u32_e64 v7, null, s11, v7, vcc_lo
	s_lshl_b64 s[10:11], s[18:19], 3
	s_wait_alu 0xfffe
	s_add_nc_u64 s[10:11], s[8:9], s[10:11]
	global_load_b64 v[16:17], v[6:7], off
	s_wait_loadcnt 0x1
	v_sub_co_u32 v12, vcc_lo, v12, s24
	s_wait_alu 0xfffd
	v_subrev_co_ci_u32_e64 v13, null, 0, v13, vcc_lo
	s_delay_alu instid0(VALU_DEP_1)
	v_cmp_lt_i64_e32 vcc_lo, v[4:5], v[12:13]
	s_wait_alu 0xfffd
	v_dual_cndmask_b32 v11, v11, v9 :: v_dual_cndmask_b32 v10, v10, v8
	s_wait_loadcnt 0x0
	v_sub_co_u32 v8, vcc_lo, v16, s24
	s_wait_alu 0xfffd
	v_subrev_co_ci_u32_e64 v9, null, 0, v17, vcc_lo
	s_delay_alu instid0(VALU_DEP_1)
	v_cmpx_ne_u64_e64 v[8:9], v[10:11]
	s_cbranch_execz .LBB71_77
; %bb.72:
	s_load_b64 s[34:35], s[10:11], 0x0
	s_wait_kmcnt 0x0
	s_sub_nc_u64 s[34:35], s[34:35], s[24:25]
	s_wait_alu 0xfffe
	v_cmp_gt_i64_e32 vcc_lo, s[34:35], v[4:5]
	s_and_b32 exec_lo, exec_lo, vcc_lo
	s_cbranch_execz .LBB71_77
; %bb.73:
	v_cmp_gt_i64_e32 vcc_lo, s[12:13], v[8:9]
	v_cmp_le_i64_e64 s0, s[18:19], v[8:9]
	v_lshlrev_b64_e32 v[10:11], 1, v[10:11]
	s_or_b32 s0, vcc_lo, s0
	s_wait_alu 0xfffe
	s_and_saveexec_b32 s33, s0
	s_delay_alu instid0(SALU_CYCLE_1)
	s_xor_b32 s0, exec_lo, s33
	s_cbranch_execz .LBB71_75
; %bb.74:
	v_add_co_u32 v10, vcc_lo, s14, v10
	s_wait_alu 0xfffd
	v_add_co_ci_u32_e64 v11, null, s15, v11, vcc_lo
	ds_load_b32 v13, v14
	global_load_u16 v12, v[10:11], off
	v_lshlrev_b64_e32 v[10:11], 2, v[8:9]
	s_delay_alu instid0(VALU_DEP_1) | instskip(SKIP_1) | instid1(VALU_DEP_2)
	v_add_co_u32 v10, vcc_lo, s20, v10
	s_wait_alu 0xfffd
	v_add_co_ci_u32_e64 v11, null, s21, v11, vcc_lo
	s_wait_loadcnt 0x0
	v_cvt_f32_f16_e32 v12, v12
	s_wait_dscnt 0x0
	s_delay_alu instid0(VALU_DEP_1)
	v_mul_f32_e32 v12, v13, v12
	global_atomic_add_f32 v[10:11], v12, off scope:SCOPE_DEV
                                        ; implicit-def: $vgpr10_vgpr11
.LBB71_75:
	s_wait_alu 0xfffe
	s_and_not1_saveexec_b32 s0, s0
	s_cbranch_execz .LBB71_77
; %bb.76:
	v_add_co_u32 v10, vcc_lo, s14, v10
	s_wait_alu 0xfffd
	v_add_co_ci_u32_e64 v11, null, s15, v11, vcc_lo
	v_subrev_nc_u32_e32 v12, s12, v8
	global_load_u16 v10, v[10:11], off
	ds_load_b32 v11, v14
	v_lshl_add_u32 v12, v12, 2, 0x1000
	s_wait_loadcnt 0x0
	v_cvt_f32_f16_e32 v10, v10
	s_wait_dscnt 0x0
	s_delay_alu instid0(VALU_DEP_1)
	v_mul_f32_e32 v10, v11, v10
	ds_add_f32 v12, v10
.LBB71_77:
	s_or_b32 exec_lo, exec_lo, s29
	v_lshlrev_b64_e32 v[8:9], 1, v[8:9]
	ds_load_b32 v10, v14
	v_cndmask_b32_e64 v16, 0, 1, s7
	v_dual_mov_b32 v12, s30 :: v_dual_mov_b32 v13, s31
	v_add_co_u32 v8, vcc_lo, s14, v8
	s_wait_alu 0xfffd
	v_add_co_ci_u32_e64 v9, null, s15, v9, vcc_lo
	global_load_u16 v8, v[8:9], off
	s_wait_loadcnt 0x0
	v_cvt_f32_f16_e32 v11, v8
	v_add_co_u32 v8, vcc_lo, 0x100, v4
	s_wait_alu 0xfffd
	v_add_co_ci_u32_e64 v9, null, 0, v5, vcc_lo
	s_wait_dscnt 0x0
	v_dual_mul_f32 v17, v10, v11 :: v_dual_mov_b32 v10, s16
	v_mov_b32_e32 v11, s17
	s_and_not1_b32 vcc_lo, exec_lo, s7
	ds_store_b32 v14, v17
	s_wait_alu 0xfffe
	s_cbranch_vccnz .LBB71_81
; %bb.78:
	v_dual_mov_b32 v10, s16 :: v_dual_mov_b32 v11, s17
	v_dual_mov_b32 v12, s30 :: v_dual_mov_b32 v13, s31
	s_mov_b32 s7, 0
.LBB71_79:                              ; =>This Inner Loop Header: Depth=1
	s_delay_alu instid0(VALU_DEP_1) | instskip(SKIP_1) | instid1(VALU_DEP_2)
	v_add_co_u32 v17, vcc_lo, v12, v10
	s_wait_alu 0xfffd
	v_add_co_ci_u32_e64 v18, null, v13, v11, vcc_lo
	s_delay_alu instid0(VALU_DEP_1) | instskip(NEXT) | instid1(VALU_DEP_1)
	v_lshrrev_b32_e32 v19, 31, v18
	v_add_co_u32 v17, vcc_lo, v17, v19
	s_wait_alu 0xfffd
	v_add_co_ci_u32_e64 v18, null, 0, v18, vcc_lo
	s_delay_alu instid0(VALU_DEP_1) | instskip(NEXT) | instid1(VALU_DEP_1)
	v_ashrrev_i64 v[17:18], 1, v[17:18]
	v_lshlrev_b64_e32 v[19:20], 3, v[17:18]
	s_delay_alu instid0(VALU_DEP_1) | instskip(SKIP_1) | instid1(VALU_DEP_2)
	v_add_co_u32 v19, vcc_lo, s8, v19
	s_wait_alu 0xfffd
	v_add_co_ci_u32_e64 v20, null, s9, v20, vcc_lo
	global_load_b64 v[19:20], v[19:20], off
	s_wait_loadcnt 0x0
	v_sub_co_u32 v19, vcc_lo, v19, s24
	s_wait_alu 0xfffd
	v_subrev_co_ci_u32_e64 v20, null, 0, v20, vcc_lo
	s_delay_alu instid0(VALU_DEP_1) | instskip(SKIP_3) | instid1(VALU_DEP_2)
	v_cmp_lt_i64_e32 vcc_lo, v[8:9], v[19:20]
	s_wait_alu 0xfffd
	v_dual_cndmask_b32 v13, v13, v18 :: v_dual_cndmask_b32 v12, v12, v17
	v_dual_cndmask_b32 v11, v18, v11 :: v_dual_cndmask_b32 v10, v17, v10
	v_add_co_u32 v17, vcc_lo, v12, -1
	s_wait_alu 0xfffd
	s_delay_alu instid0(VALU_DEP_3) | instskip(NEXT) | instid1(VALU_DEP_3)
	v_add_co_ci_u32_e64 v18, null, -1, v13, vcc_lo
	v_cmp_ge_i64_e32 vcc_lo, v[10:11], v[12:13]
	s_delay_alu instid0(VALU_DEP_2)
	v_cmp_eq_u64_e64 s0, v[10:11], v[17:18]
	s_or_b32 s0, vcc_lo, s0
	s_wait_alu 0xfffe
	s_and_b32 s0, exec_lo, s0
	s_wait_alu 0xfffe
	s_or_b32 s7, s0, s7
	s_wait_alu 0xfffe
	s_and_not1_b32 exec_lo, exec_lo, s7
	s_cbranch_execnz .LBB71_79
; %bb.80:
	s_or_b32 exec_lo, exec_lo, s7
.LBB71_81:
	v_lshlrev_b64_e32 v[17:18], 3, v[12:13]
	s_mov_b32 s7, exec_lo
	s_delay_alu instid0(VALU_DEP_1) | instskip(SKIP_1) | instid1(VALU_DEP_2)
	v_add_co_u32 v17, vcc_lo, s8, v17
	s_wait_alu 0xfffd
	v_add_co_ci_u32_e64 v18, null, s9, v18, vcc_lo
	global_load_b64 v[17:18], v[17:18], off
	global_load_b64 v[19:20], v[6:7], off offset:2048
	s_wait_loadcnt 0x1
	v_sub_co_u32 v17, vcc_lo, v17, s24
	s_wait_alu 0xfffd
	v_subrev_co_ci_u32_e64 v18, null, 0, v18, vcc_lo
	s_delay_alu instid0(VALU_DEP_1)
	v_cmp_lt_i64_e32 vcc_lo, v[8:9], v[17:18]
	s_wait_alu 0xfffd
	v_dual_cndmask_b32 v13, v13, v11 :: v_dual_cndmask_b32 v12, v12, v10
	s_wait_loadcnt 0x0
	v_sub_co_u32 v10, vcc_lo, v19, s24
	s_wait_alu 0xfffd
	v_subrev_co_ci_u32_e64 v11, null, 0, v20, vcc_lo
	s_delay_alu instid0(VALU_DEP_1)
	v_cmpx_ne_u64_e64 v[10:11], v[12:13]
	s_cbranch_execz .LBB71_87
; %bb.82:
	s_load_b64 s[34:35], s[10:11], 0x0
	s_wait_kmcnt 0x0
	s_sub_nc_u64 s[34:35], s[34:35], s[24:25]
	s_wait_alu 0xfffe
	v_cmp_gt_i64_e32 vcc_lo, s[34:35], v[8:9]
	s_and_b32 exec_lo, exec_lo, vcc_lo
	s_cbranch_execz .LBB71_87
; %bb.83:
	v_cmp_gt_i64_e32 vcc_lo, s[12:13], v[10:11]
	v_cmp_le_i64_e64 s0, s[18:19], v[10:11]
	v_lshlrev_b64_e32 v[8:9], 1, v[12:13]
	s_or_b32 s0, vcc_lo, s0
	s_wait_alu 0xfffe
	s_and_saveexec_b32 s29, s0
	s_wait_alu 0xfffe
	s_xor_b32 s0, exec_lo, s29
	s_cbranch_execz .LBB71_85
; %bb.84:
	v_add_co_u32 v8, vcc_lo, s14, v8
	s_wait_alu 0xfffd
	v_add_co_ci_u32_e64 v9, null, s15, v9, vcc_lo
	ds_load_b32 v13, v14 offset:1024
	global_load_u16 v12, v[8:9], off
	v_lshlrev_b64_e32 v[8:9], 2, v[10:11]
	s_delay_alu instid0(VALU_DEP_1) | instskip(SKIP_1) | instid1(VALU_DEP_2)
	v_add_co_u32 v8, vcc_lo, s20, v8
	s_wait_alu 0xfffd
	v_add_co_ci_u32_e64 v9, null, s21, v9, vcc_lo
	s_wait_loadcnt 0x0
	v_cvt_f32_f16_e32 v12, v12
	s_wait_dscnt 0x0
	s_delay_alu instid0(VALU_DEP_1)
	v_mul_f32_e32 v12, v13, v12
	global_atomic_add_f32 v[8:9], v12, off scope:SCOPE_DEV
                                        ; implicit-def: $vgpr8_vgpr9
.LBB71_85:
	s_wait_alu 0xfffe
	s_and_not1_saveexec_b32 s0, s0
	s_cbranch_execz .LBB71_87
; %bb.86:
	v_add_co_u32 v8, vcc_lo, s14, v8
	s_wait_alu 0xfffd
	v_add_co_ci_u32_e64 v9, null, s15, v9, vcc_lo
	v_subrev_nc_u32_e32 v12, s12, v10
	global_load_u16 v8, v[8:9], off
	ds_load_b32 v9, v14 offset:1024
	v_lshl_add_u32 v12, v12, 2, 0x1000
	s_wait_loadcnt 0x0
	v_cvt_f32_f16_e32 v8, v8
	s_wait_dscnt 0x0
	s_delay_alu instid0(VALU_DEP_1)
	v_mul_f32_e32 v8, v9, v8
	ds_add_f32 v12, v8
.LBB71_87:
	s_wait_alu 0xfffe
	s_or_b32 exec_lo, exec_lo, s7
	v_lshlrev_b64_e32 v[8:9], 1, v[10:11]
	v_dual_mov_b32 v10, s30 :: v_dual_mov_b32 v11, s31
	s_delay_alu instid0(VALU_DEP_2) | instskip(SKIP_1) | instid1(VALU_DEP_3)
	v_add_co_u32 v8, vcc_lo, s14, v8
	s_wait_alu 0xfffd
	v_add_co_ci_u32_e64 v9, null, s15, v9, vcc_lo
	v_add_co_u32 v4, vcc_lo, 0x200, v4
	s_wait_alu 0xfffd
	v_add_co_ci_u32_e64 v5, null, 0, v5, vcc_lo
	global_load_u16 v8, v[8:9], off
	ds_load_b32 v9, v14 offset:1024
	v_cmp_ne_u32_e32 vcc_lo, 1, v16
	s_and_b32 vcc_lo, exec_lo, vcc_lo
	s_wait_loadcnt 0x0
	v_cvt_f32_f16_e32 v8, v8
	s_wait_dscnt 0x0
	s_delay_alu instid0(VALU_DEP_1)
	v_mul_f32_e32 v12, v9, v8
	v_dual_mov_b32 v8, s16 :: v_dual_mov_b32 v9, s17
	ds_store_b32 v14, v12 offset:1024
	s_wait_alu 0xfffe
	s_cbranch_vccnz .LBB71_91
; %bb.88:
	v_dual_mov_b32 v8, s16 :: v_dual_mov_b32 v9, s17
	v_dual_mov_b32 v10, s30 :: v_dual_mov_b32 v11, s31
	s_mov_b32 s7, 0
.LBB71_89:                              ; =>This Inner Loop Header: Depth=1
	s_delay_alu instid0(VALU_DEP_1) | instskip(SKIP_1) | instid1(VALU_DEP_2)
	v_add_co_u32 v12, vcc_lo, v10, v8
	s_wait_alu 0xfffd
	v_add_co_ci_u32_e64 v13, null, v11, v9, vcc_lo
	s_delay_alu instid0(VALU_DEP_1) | instskip(NEXT) | instid1(VALU_DEP_1)
	v_lshrrev_b32_e32 v17, 31, v13
	v_add_co_u32 v12, vcc_lo, v12, v17
	s_wait_alu 0xfffd
	v_add_co_ci_u32_e64 v13, null, 0, v13, vcc_lo
	s_delay_alu instid0(VALU_DEP_1) | instskip(NEXT) | instid1(VALU_DEP_1)
	v_ashrrev_i64 v[12:13], 1, v[12:13]
	v_lshlrev_b64_e32 v[17:18], 3, v[12:13]
	s_delay_alu instid0(VALU_DEP_1) | instskip(SKIP_1) | instid1(VALU_DEP_2)
	v_add_co_u32 v17, vcc_lo, s8, v17
	s_wait_alu 0xfffd
	v_add_co_ci_u32_e64 v18, null, s9, v18, vcc_lo
	global_load_b64 v[17:18], v[17:18], off
	s_wait_loadcnt 0x0
	v_sub_co_u32 v17, vcc_lo, v17, s24
	s_wait_alu 0xfffd
	v_subrev_co_ci_u32_e64 v18, null, 0, v18, vcc_lo
	s_delay_alu instid0(VALU_DEP_1) | instskip(SKIP_3) | instid1(VALU_DEP_2)
	v_cmp_lt_i64_e32 vcc_lo, v[4:5], v[17:18]
	s_wait_alu 0xfffd
	v_dual_cndmask_b32 v11, v11, v13 :: v_dual_cndmask_b32 v10, v10, v12
	v_dual_cndmask_b32 v9, v13, v9 :: v_dual_cndmask_b32 v8, v12, v8
	v_add_co_u32 v12, vcc_lo, v10, -1
	s_wait_alu 0xfffd
	s_delay_alu instid0(VALU_DEP_3) | instskip(NEXT) | instid1(VALU_DEP_3)
	v_add_co_ci_u32_e64 v13, null, -1, v11, vcc_lo
	v_cmp_ge_i64_e32 vcc_lo, v[8:9], v[10:11]
	s_delay_alu instid0(VALU_DEP_2)
	v_cmp_eq_u64_e64 s0, v[8:9], v[12:13]
	s_or_b32 s0, vcc_lo, s0
	s_wait_alu 0xfffe
	s_and_b32 s0, exec_lo, s0
	s_wait_alu 0xfffe
	s_or_b32 s7, s0, s7
	s_wait_alu 0xfffe
	s_and_not1_b32 exec_lo, exec_lo, s7
	s_cbranch_execnz .LBB71_89
; %bb.90:
	s_or_b32 exec_lo, exec_lo, s7
.LBB71_91:
	v_lshlrev_b64_e32 v[12:13], 3, v[10:11]
	s_mov_b32 s7, exec_lo
	s_delay_alu instid0(VALU_DEP_1) | instskip(SKIP_1) | instid1(VALU_DEP_2)
	v_add_co_u32 v12, vcc_lo, s8, v12
	s_wait_alu 0xfffd
	v_add_co_ci_u32_e64 v13, null, s9, v13, vcc_lo
	global_load_b64 v[12:13], v[12:13], off
	global_load_b64 v[17:18], v[6:7], off offset:4096
	s_wait_loadcnt 0x1
	v_sub_co_u32 v12, vcc_lo, v12, s24
	s_wait_alu 0xfffd
	v_subrev_co_ci_u32_e64 v13, null, 0, v13, vcc_lo
	s_delay_alu instid0(VALU_DEP_1)
	v_cmp_lt_i64_e32 vcc_lo, v[4:5], v[12:13]
	s_wait_alu 0xfffd
	v_dual_cndmask_b32 v11, v11, v9 :: v_dual_cndmask_b32 v10, v10, v8
	s_wait_loadcnt 0x0
	v_sub_co_u32 v8, vcc_lo, v17, s24
	s_wait_alu 0xfffd
	v_subrev_co_ci_u32_e64 v9, null, 0, v18, vcc_lo
	s_delay_alu instid0(VALU_DEP_1)
	v_cmpx_ne_u64_e64 v[8:9], v[10:11]
	s_cbranch_execz .LBB71_97
; %bb.92:
	s_load_b64 s[34:35], s[10:11], 0x0
	s_wait_kmcnt 0x0
	s_sub_nc_u64 s[34:35], s[34:35], s[24:25]
	s_wait_alu 0xfffe
	v_cmp_gt_i64_e32 vcc_lo, s[34:35], v[4:5]
	s_and_b32 exec_lo, exec_lo, vcc_lo
	s_cbranch_execz .LBB71_97
; %bb.93:
	v_cmp_gt_i64_e32 vcc_lo, s[12:13], v[8:9]
	v_cmp_le_i64_e64 s0, s[18:19], v[8:9]
	v_lshlrev_b64_e32 v[4:5], 1, v[10:11]
	s_or_b32 s0, vcc_lo, s0
	s_wait_alu 0xfffe
	s_and_saveexec_b32 s29, s0
	s_wait_alu 0xfffe
	s_xor_b32 s0, exec_lo, s29
	s_cbranch_execz .LBB71_95
; %bb.94:
	v_add_co_u32 v4, vcc_lo, s14, v4
	s_wait_alu 0xfffd
	v_add_co_ci_u32_e64 v5, null, s15, v5, vcc_lo
	ds_load_b32 v11, v14 offset:2048
	global_load_u16 v10, v[4:5], off
	v_lshlrev_b64_e32 v[4:5], 2, v[8:9]
	s_delay_alu instid0(VALU_DEP_1) | instskip(SKIP_1) | instid1(VALU_DEP_2)
	v_add_co_u32 v4, vcc_lo, s20, v4
	s_wait_alu 0xfffd
	v_add_co_ci_u32_e64 v5, null, s21, v5, vcc_lo
	s_wait_loadcnt 0x0
	v_cvt_f32_f16_e32 v10, v10
	s_wait_dscnt 0x0
	s_delay_alu instid0(VALU_DEP_1)
	v_mul_f32_e32 v10, v11, v10
	global_atomic_add_f32 v[4:5], v10, off scope:SCOPE_DEV
                                        ; implicit-def: $vgpr4_vgpr5
.LBB71_95:
	s_wait_alu 0xfffe
	s_and_not1_saveexec_b32 s0, s0
	s_cbranch_execz .LBB71_97
; %bb.96:
	v_add_co_u32 v4, vcc_lo, s14, v4
	s_wait_alu 0xfffd
	v_add_co_ci_u32_e64 v5, null, s15, v5, vcc_lo
	v_subrev_nc_u32_e32 v10, s12, v8
	global_load_u16 v4, v[4:5], off
	ds_load_b32 v5, v14 offset:2048
	v_lshl_add_u32 v10, v10, 2, 0x1000
	s_wait_loadcnt 0x0
	v_cvt_f32_f16_e32 v4, v4
	s_wait_dscnt 0x0
	s_delay_alu instid0(VALU_DEP_1)
	v_mul_f32_e32 v4, v5, v4
	ds_add_f32 v10, v4
.LBB71_97:
	s_wait_alu 0xfffe
	s_or_b32 exec_lo, exec_lo, s7
	v_lshlrev_b64_e32 v[4:5], 1, v[8:9]
	v_dual_mov_b32 v8, s30 :: v_dual_mov_b32 v9, s31
	s_delay_alu instid0(VALU_DEP_2) | instskip(SKIP_1) | instid1(VALU_DEP_3)
	v_add_co_u32 v4, vcc_lo, s14, v4
	s_wait_alu 0xfffd
	v_add_co_ci_u32_e64 v5, null, s15, v5, vcc_lo
	v_cmp_ne_u32_e32 vcc_lo, 1, v16
	global_load_u16 v4, v[4:5], off
	ds_load_b32 v5, v14 offset:2048
	s_and_b32 vcc_lo, exec_lo, vcc_lo
	s_wait_loadcnt 0x0
	v_cvt_f32_f16_e32 v4, v4
	s_wait_dscnt 0x0
	s_delay_alu instid0(VALU_DEP_1)
	v_mul_f32_e32 v10, v5, v4
	v_dual_mov_b32 v4, s16 :: v_dual_mov_b32 v5, s17
	ds_store_b32 v14, v10 offset:2048
	s_wait_alu 0xfffe
	s_cbranch_vccnz .LBB71_101
; %bb.98:
	v_dual_mov_b32 v4, s16 :: v_dual_mov_b32 v5, s17
	v_dual_mov_b32 v8, s30 :: v_dual_mov_b32 v9, s31
	s_mov_b32 s7, 0
.LBB71_99:                              ; =>This Inner Loop Header: Depth=1
	s_delay_alu instid0(VALU_DEP_1) | instskip(SKIP_1) | instid1(VALU_DEP_2)
	v_add_co_u32 v10, vcc_lo, v8, v4
	s_wait_alu 0xfffd
	v_add_co_ci_u32_e64 v11, null, v9, v5, vcc_lo
	s_delay_alu instid0(VALU_DEP_1) | instskip(NEXT) | instid1(VALU_DEP_1)
	v_lshrrev_b32_e32 v12, 31, v11
	v_add_co_u32 v10, vcc_lo, v10, v12
	s_wait_alu 0xfffd
	v_add_co_ci_u32_e64 v11, null, 0, v11, vcc_lo
	s_delay_alu instid0(VALU_DEP_1) | instskip(NEXT) | instid1(VALU_DEP_1)
	v_ashrrev_i64 v[10:11], 1, v[10:11]
	v_lshlrev_b64_e32 v[12:13], 3, v[10:11]
	s_delay_alu instid0(VALU_DEP_1) | instskip(SKIP_1) | instid1(VALU_DEP_2)
	v_add_co_u32 v12, vcc_lo, s8, v12
	s_wait_alu 0xfffd
	v_add_co_ci_u32_e64 v13, null, s9, v13, vcc_lo
	global_load_b64 v[12:13], v[12:13], off
	s_wait_loadcnt 0x0
	v_sub_co_u32 v12, vcc_lo, v12, s24
	s_wait_alu 0xfffd
	v_subrev_co_ci_u32_e64 v13, null, 0, v13, vcc_lo
	s_delay_alu instid0(VALU_DEP_1) | instskip(SKIP_3) | instid1(VALU_DEP_2)
	v_cmp_lt_i64_e32 vcc_lo, v[2:3], v[12:13]
	s_wait_alu 0xfffd
	v_dual_cndmask_b32 v9, v9, v11 :: v_dual_cndmask_b32 v8, v8, v10
	v_dual_cndmask_b32 v5, v11, v5 :: v_dual_cndmask_b32 v4, v10, v4
	v_add_co_u32 v10, vcc_lo, v8, -1
	s_wait_alu 0xfffd
	s_delay_alu instid0(VALU_DEP_3) | instskip(NEXT) | instid1(VALU_DEP_3)
	v_add_co_ci_u32_e64 v11, null, -1, v9, vcc_lo
	v_cmp_ge_i64_e32 vcc_lo, v[4:5], v[8:9]
	s_delay_alu instid0(VALU_DEP_2)
	v_cmp_eq_u64_e64 s0, v[4:5], v[10:11]
	s_or_b32 s0, vcc_lo, s0
	s_wait_alu 0xfffe
	s_and_b32 s0, exec_lo, s0
	s_wait_alu 0xfffe
	s_or_b32 s7, s0, s7
	s_wait_alu 0xfffe
	s_and_not1_b32 exec_lo, exec_lo, s7
	s_cbranch_execnz .LBB71_99
; %bb.100:
	s_or_b32 exec_lo, exec_lo, s7
.LBB71_101:
	v_lshlrev_b64_e32 v[10:11], 3, v[8:9]
	s_mov_b32 s7, exec_lo
	s_delay_alu instid0(VALU_DEP_1) | instskip(SKIP_1) | instid1(VALU_DEP_2)
	v_add_co_u32 v10, vcc_lo, s8, v10
	s_wait_alu 0xfffd
	v_add_co_ci_u32_e64 v11, null, s9, v11, vcc_lo
	global_load_b64 v[10:11], v[10:11], off
	global_load_b64 v[12:13], v[6:7], off offset:6144
	s_wait_loadcnt 0x1
	v_sub_co_u32 v6, vcc_lo, v10, s24
	s_wait_alu 0xfffd
	v_subrev_co_ci_u32_e64 v7, null, 0, v11, vcc_lo
	s_delay_alu instid0(VALU_DEP_1)
	v_cmp_lt_i64_e32 vcc_lo, v[2:3], v[6:7]
	s_wait_alu 0xfffd
	v_dual_cndmask_b32 v7, v9, v5 :: v_dual_cndmask_b32 v6, v8, v4
	s_wait_loadcnt 0x0
	v_sub_co_u32 v4, vcc_lo, v12, s24
	s_wait_alu 0xfffd
	v_subrev_co_ci_u32_e64 v5, null, 0, v13, vcc_lo
	s_delay_alu instid0(VALU_DEP_1)
	v_cmpx_ne_u64_e64 v[4:5], v[6:7]
	s_cbranch_execz .LBB71_107
; %bb.102:
	s_load_b64 s[10:11], s[10:11], 0x0
	s_wait_kmcnt 0x0
	s_sub_nc_u64 s[10:11], s[10:11], s[24:25]
	s_wait_alu 0xfffe
	v_cmp_gt_i64_e32 vcc_lo, s[10:11], v[2:3]
	s_and_b32 exec_lo, exec_lo, vcc_lo
	s_cbranch_execz .LBB71_107
; %bb.103:
	v_cmp_gt_i64_e32 vcc_lo, s[12:13], v[4:5]
	v_cmp_le_i64_e64 s0, s[18:19], v[4:5]
	v_lshlrev_b64_e32 v[2:3], 1, v[6:7]
	s_or_b32 s0, vcc_lo, s0
	s_wait_alu 0xfffe
	s_and_saveexec_b32 s10, s0
	s_wait_alu 0xfffe
	s_xor_b32 s0, exec_lo, s10
	s_cbranch_execz .LBB71_105
; %bb.104:
	v_add_co_u32 v2, vcc_lo, s14, v2
	s_wait_alu 0xfffd
	v_add_co_ci_u32_e64 v3, null, s15, v3, vcc_lo
	ds_load_b32 v7, v14 offset:3072
	global_load_u16 v6, v[2:3], off
	v_lshlrev_b64_e32 v[2:3], 2, v[4:5]
	s_delay_alu instid0(VALU_DEP_1) | instskip(SKIP_1) | instid1(VALU_DEP_2)
	v_add_co_u32 v2, vcc_lo, s20, v2
	s_wait_alu 0xfffd
	v_add_co_ci_u32_e64 v3, null, s21, v3, vcc_lo
	s_wait_loadcnt 0x0
	v_cvt_f32_f16_e32 v6, v6
	s_wait_dscnt 0x0
	s_delay_alu instid0(VALU_DEP_1)
	v_mul_f32_e32 v6, v7, v6
	global_atomic_add_f32 v[2:3], v6, off scope:SCOPE_DEV
                                        ; implicit-def: $vgpr2_vgpr3
.LBB71_105:
	s_wait_alu 0xfffe
	s_and_not1_saveexec_b32 s0, s0
	s_cbranch_execz .LBB71_107
; %bb.106:
	v_add_co_u32 v2, vcc_lo, s14, v2
	s_wait_alu 0xfffd
	v_add_co_ci_u32_e64 v3, null, s15, v3, vcc_lo
	v_subrev_nc_u32_e32 v6, s12, v4
	global_load_u16 v2, v[2:3], off
	ds_load_b32 v3, v14 offset:3072
	v_lshl_add_u32 v6, v6, 2, 0x1000
	s_wait_loadcnt 0x0
	v_cvt_f32_f16_e32 v2, v2
	s_wait_dscnt 0x0
	s_delay_alu instid0(VALU_DEP_1)
	v_mul_f32_e32 v2, v3, v2
	ds_add_f32 v6, v2
.LBB71_107:
	s_wait_alu 0xfffe
	s_or_b32 exec_lo, exec_lo, s7
	v_lshlrev_b64_e32 v[2:3], 1, v[4:5]
	s_delay_alu instid0(VALU_DEP_1) | instskip(SKIP_1) | instid1(VALU_DEP_2)
	v_add_co_u32 v2, vcc_lo, s14, v2
	s_wait_alu 0xfffd
	v_add_co_ci_u32_e64 v3, null, s15, v3, vcc_lo
	global_load_u16 v2, v[2:3], off
	ds_load_b32 v3, v14 offset:3072
	s_wait_loadcnt 0x0
	v_cvt_f32_f16_e32 v2, v2
	s_wait_dscnt 0x0
	s_delay_alu instid0(VALU_DEP_1)
	v_mul_f32_e32 v2, v3, v2
	ds_store_b32 v14, v2 offset:3072
.LBB71_108:
	s_wait_alu 0xfffe
	s_or_b32 exec_lo, exec_lo, s1
	v_cmp_lt_i64_e64 s0, s[18:19], s[2:3]
	s_mov_b32 s1, exec_lo
	s_wait_storecnt 0x0
	s_wait_loadcnt_dscnt 0x0
	s_barrier_signal -1
	s_barrier_wait -1
	global_inv scope:SCOPE_SE
	s_and_b32 s0, s0, exec_lo
	s_cselect_b32 s13, s19, s3
	s_cselect_b32 s12, s18, s2
	s_wait_alu 0xfffe
	s_sub_nc_u64 s[10:11], s[12:13], s[22:23]
	s_wait_alu 0xfffe
	v_cmpx_gt_i64_e64 s[10:11], v[0:1]
	s_cbranch_execz .LBB71_111
; %bb.109:
	v_cmp_gt_i64_e64 s0, s[18:19], s[2:3]
	v_dual_mov_b32 v5, v1 :: v_dual_lshlrev_b32 v2, 2, v0
	v_mov_b32_e32 v4, v0
	s_and_b32 s0, s0, exec_lo
	s_cselect_b32 s15, s19, s3
	s_cselect_b32 s14, s18, s2
	s_lshl_b64 s[2:3], s[2:3], 2
	s_wait_alu 0xfffe
	s_lshl_b64 s[14:15], s[14:15], 2
	s_wait_alu 0xfffe
	v_add_co_u32 v2, s0, s14, v2
	s_wait_alu 0xf1ff
	v_add_co_ci_u32_e64 v3, null, s15, 0, s0
	s_delay_alu instid0(VALU_DEP_2) | instskip(SKIP_1) | instid1(VALU_DEP_2)
	v_sub_co_u32 v2, vcc_lo, v2, s2
	s_wait_alu 0xfffd
	v_subrev_co_ci_u32_e64 v3, null, s3, v3, vcc_lo
	s_mov_b32 s2, 0
	v_add_co_u32 v2, vcc_lo, s20, v2
	s_wait_alu 0xfffd
	v_add_co_ci_u32_e64 v3, null, s21, v3, vcc_lo
.LBB71_110:                             ; =>This Inner Loop Header: Depth=1
	ds_load_b32 v6, v15
	v_add_co_u32 v4, vcc_lo, 0x100, v4
	s_wait_alu 0xfffd
	v_add_co_ci_u32_e64 v5, null, 0, v5, vcc_lo
	v_add_nc_u32_e32 v15, 0x400, v15
	s_delay_alu instid0(VALU_DEP_2)
	v_cmp_le_i64_e32 vcc_lo, s[10:11], v[4:5]
	s_wait_alu 0xfffe
	s_or_b32 s2, vcc_lo, s2
	s_wait_dscnt 0x0
	global_atomic_add_f32 v[2:3], v6, off scope:SCOPE_DEV
	v_add_co_u32 v2, s0, 0x400, v2
	s_wait_alu 0xf1ff
	v_add_co_ci_u32_e64 v3, null, 0, v3, s0
	s_wait_alu 0xfffe
	s_and_not1_b32 exec_lo, exec_lo, s2
	s_cbranch_execnz .LBB71_110
.LBB71_111:
	s_or_b32 exec_lo, exec_lo, s1
	s_add_co_i32 s0, s28, -1
	v_add_co_u32 v6, s2, s16, v0
	s_wait_alu 0xfffe
	s_ashr_i32 s1, s0, 1
	v_add_co_ci_u32_e64 v7, null, s17, 0, s2
	s_wait_alu 0xfffe
	s_or_b32 s0, s1, s0
	s_wait_loadcnt 0x0
	s_wait_storecnt 0x0
	s_wait_alu 0xfffe
	s_ashr_i32 s1, s0, 2
	s_barrier_signal -1
	s_wait_alu 0xfffe
	s_or_b32 s0, s1, s0
	s_barrier_wait -1
	s_wait_alu 0xfffe
	s_ashr_i32 s1, s0, 4
	global_inv scope:SCOPE_SE
	s_wait_alu 0xfffe
	s_or_b32 s0, s1, s0
	s_wait_alu 0xfffe
	s_ashr_i32 s1, s0, 8
	s_wait_alu 0xfffe
	s_or_b32 s0, s1, s0
	s_wait_alu 0xfffe
	s_ashr_i32 s1, s0, 16
	s_wait_alu 0xfffe
	s_or_b32 s1, s1, s0
	s_mov_b32 s0, -1
	s_wait_alu 0xfffe
	s_add_co_i32 s1, s1, 1
	s_wait_alu 0xfffe
	s_ashr_i32 s2, s1, 1
	s_wait_alu 0xfffe
	s_cmp_gt_i32 s2, 1
	s_cbranch_scc1 .LBB71_120
; %bb.112:
	s_mov_b32 s0, exec_lo
	v_cmpx_gt_i64_e64 s[18:19], v[6:7]
	s_cbranch_execz .LBB71_119
; %bb.113:
	s_sub_co_i32 s1, s12, s18
	v_dual_mov_b32 v9, v7 :: v_dual_mov_b32 v8, v6
	s_lshl_b32 s7, s4, 2
	s_wait_alu 0xfffe
	s_lshl_b32 s1, s1, 2
	s_mov_b32 s3, 0
	s_wait_alu 0xfffe
	s_addk_co_i32 s1, 0x1000
	s_sub_co_i32 s7, 0, s7
	s_branch .LBB71_115
.LBB71_114:                             ;   in Loop: Header=BB71_115 Depth=1
	s_wait_alu 0xfffe
	s_or_b32 exec_lo, exec_lo, s11
	v_lshl_add_u32 v2, v8, 2, s1
	ds_load_b32 v4, v2
	v_lshlrev_b64_e32 v[2:3], 2, v[8:9]
	s_delay_alu instid0(VALU_DEP_1) | instskip(SKIP_1) | instid1(VALU_DEP_2)
	v_add_co_u32 v2, vcc_lo, s20, v2
	s_wait_alu 0xfffd
	v_add_co_ci_u32_e64 v3, null, s21, v3, vcc_lo
	v_add_co_u32 v8, vcc_lo, v8, s6
	s_wait_alu 0xfffd
	v_add_co_ci_u32_e64 v9, null, 0, v9, vcc_lo
	s_delay_alu instid0(VALU_DEP_1)
	v_cmp_le_i64_e32 vcc_lo, s[18:19], v[8:9]
	s_wait_dscnt 0x0
	v_add_f32_e32 v4, v12, v4
	s_or_b32 s3, vcc_lo, s3
	global_atomic_add_f32 v[2:3], v4, off scope:SCOPE_DEV
	s_wait_alu 0xfffe
	s_and_not1_b32 exec_lo, exec_lo, s3
	s_cbranch_execz .LBB71_119
.LBB71_115:                             ; =>This Loop Header: Depth=1
                                        ;     Child Loop BB71_117 Depth 2
	v_lshlrev_b64_e32 v[2:3], 3, v[8:9]
	v_mov_b32_e32 v12, 0
	s_mov_b32 s11, exec_lo
	s_delay_alu instid0(VALU_DEP_2) | instskip(SKIP_1) | instid1(VALU_DEP_3)
	v_add_co_u32 v2, vcc_lo, s8, v2
	s_wait_alu 0xfffd
	v_add_co_ci_u32_e64 v3, null, s9, v3, vcc_lo
	global_load_b128 v[2:5], v[2:3], off
	s_wait_loadcnt 0x0
	v_cmpx_lt_i64_e64 v[2:3], v[4:5]
	s_cbranch_execz .LBB71_114
; %bb.116:                              ;   in Loop: Header=BB71_115 Depth=1
	v_sub_co_u32 v4, vcc_lo, v4, s4
	s_wait_alu 0xfffd
	v_subrev_co_ci_u32_e64 v5, null, s5, v5, vcc_lo
	v_sub_co_u32 v10, vcc_lo, v2, s4
	s_wait_alu 0xfffd
	v_subrev_co_ci_u32_e64 v11, null, s5, v3, vcc_lo
	s_wait_alu 0xfffe
	v_lshl_add_u32 v2, v2, 2, s7
	v_mov_b32_e32 v12, 0
	s_mov_b32 s12, 0
.LBB71_117:                             ;   Parent Loop BB71_115 Depth=1
                                        ; =>  This Inner Loop Header: Depth=2
	ds_load_b32 v3, v2
	v_add_co_u32 v10, vcc_lo, v10, 1
	s_wait_alu 0xfffd
	v_add_co_ci_u32_e64 v11, null, 0, v11, vcc_lo
	v_add_nc_u32_e32 v2, 4, v2
	s_delay_alu instid0(VALU_DEP_2)
	v_cmp_ge_i64_e32 vcc_lo, v[10:11], v[4:5]
	s_wait_alu 0xfffe
	s_or_b32 s12, vcc_lo, s12
	s_wait_dscnt 0x0
	v_add_f32_e32 v12, v12, v3
	s_wait_alu 0xfffe
	s_and_not1_b32 exec_lo, exec_lo, s12
	s_cbranch_execnz .LBB71_117
; %bb.118:                              ;   in Loop: Header=BB71_115 Depth=1
	s_or_b32 exec_lo, exec_lo, s12
	s_branch .LBB71_114
.LBB71_119:
	s_wait_alu 0xfffe
	s_or_b32 exec_lo, exec_lo, s0
	s_mov_b32 s0, 0
.LBB71_120:
	s_wait_alu 0xfffe
	s_and_not1_b32 vcc_lo, exec_lo, s0
	s_wait_alu 0xfffe
	s_cbranch_vccnz .LBB71_137
; %bb.121:
	s_cvt_f32_u32 s0, s2
	s_sub_co_i32 s1, 0, s2
	s_wait_alu 0xfffe
	s_delay_alu instid0(SALU_CYCLE_1) | instskip(NEXT) | instid1(TRANS32_DEP_1)
	v_rcp_iflag_f32_e32 v2, s0
	v_readfirstlane_b32 s0, v2
	s_mul_f32 s0, s0, 0x4f7ffffe
	s_wait_alu 0xfffe
	s_delay_alu instid0(SALU_CYCLE_2) | instskip(SKIP_1) | instid1(SALU_CYCLE_2)
	s_cvt_u32_f32 s0, s0
	s_wait_alu 0xfffe
	s_mul_i32 s3, s1, s0
	s_wait_alu 0xfffe
	s_mul_hi_u32 s3, s0, s3
	s_wait_alu 0xfffe
	s_add_co_i32 s0, s0, s3
	s_mov_b32 s3, 0
	s_wait_alu 0xfffe
	v_mul_hi_u32 v2, v0, s0
	s_mov_b32 s0, exec_lo
	s_delay_alu instid0(VALU_DEP_1) | instskip(NEXT) | instid1(VALU_DEP_1)
	v_mul_lo_u32 v3, v2, s2
	v_sub_nc_u32_e32 v3, v0, v3
	s_delay_alu instid0(VALU_DEP_1) | instskip(SKIP_2) | instid1(VALU_DEP_2)
	v_subrev_nc_u32_e32 v5, s2, v3
	v_cmp_le_u32_e32 vcc_lo, s2, v3
	s_wait_alu 0xfffd
	v_dual_cndmask_b32 v3, v3, v5 :: v_dual_add_nc_u32 v4, 1, v2
	s_delay_alu instid0(VALU_DEP_1) | instskip(NEXT) | instid1(VALU_DEP_2)
	v_dual_cndmask_b32 v2, v2, v4 :: v_dual_mov_b32 v5, 0
	v_cmp_le_u32_e32 vcc_lo, s2, v3
	s_delay_alu instid0(VALU_DEP_2) | instskip(SKIP_1) | instid1(VALU_DEP_1)
	v_add_nc_u32_e32 v4, 1, v2
	s_wait_alu 0xfffd
	v_cndmask_b32_e32 v4, v2, v4, vcc_lo
	s_delay_alu instid0(VALU_DEP_1) | instskip(NEXT) | instid1(VALU_DEP_1)
	v_lshlrev_b64_e32 v[2:3], 3, v[4:5]
	v_add_co_u32 v2, vcc_lo, s26, v2
	s_wait_alu 0xfffd
	s_delay_alu instid0(VALU_DEP_2)
	v_add_co_ci_u32_e64 v3, null, s27, v3, vcc_lo
	global_load_b128 v[8:11], v[2:3], off
	s_wait_loadcnt 0x0
	v_sub_co_u32 v2, vcc_lo, v8, s4
	s_wait_alu 0xfffd
	v_subrev_co_ci_u32_e64 v3, null, s5, v9, vcc_lo
	v_sub_co_u32 v12, vcc_lo, v10, s4
	s_wait_alu 0xfffd
	v_subrev_co_ci_u32_e64 v13, null, s5, v11, vcc_lo
	v_mov_b32_e32 v8, v5
	s_delay_alu instid0(VALU_DEP_3) | instskip(SKIP_1) | instid1(VALU_DEP_3)
	v_sub_co_u32 v15, vcc_lo, v12, v2
	s_wait_alu 0xfffd
	v_sub_co_ci_u32_e64 v9, null, v13, v3, vcc_lo
                                        ; implicit-def: $vgpr10_vgpr11
	s_delay_alu instid0(VALU_DEP_1)
	v_cmpx_ne_u64_e32 0, v[8:9]
	s_wait_alu 0xfffe
	s_xor_b32 s6, exec_lo, s0
	s_cbranch_execz .LBB71_123
; %bb.122:
	s_add_nc_u64 s[4:5], s[2:3], 0
	s_mov_b32 s15, s3
	s_wait_alu 0xfffe
	s_xor_b64 s[4:5], s[4:5], 0
	s_mov_b32 s19, s3
	s_wait_alu 0xfffe
	s_cvt_f32_u32 s0, s4
	s_cvt_f32_u32 s7, s5
	s_sub_nc_u64 s[12:13], 0, s[4:5]
	v_ashrrev_i32_e32 v17, 31, v9
	s_wait_alu 0xfffe
	s_fmamk_f32 s0, s7, 0x4f800000, s0
	s_delay_alu instid0(VALU_DEP_1) | instskip(SKIP_1) | instid1(SALU_CYCLE_1)
	v_add_co_u32 v8, vcc_lo, v15, v17
	s_wait_alu 0xfffe
	v_s_rcp_f32 s0, s0
	s_wait_alu 0xfffd
	v_add_co_ci_u32_e64 v9, null, v9, v17, vcc_lo
	v_xor_b32_e32 v18, v8, v17
	s_delay_alu instid0(VALU_DEP_2) | instskip(NEXT) | instid1(TRANS32_DEP_1)
	v_xor_b32_e32 v19, v9, v17
	s_mul_f32 s0, s0, 0x5f7ffffc
	s_wait_alu 0xfffe
	s_delay_alu instid0(SALU_CYCLE_2) | instskip(SKIP_1) | instid1(SALU_CYCLE_2)
	s_mul_f32 s7, s0, 0x2f800000
	s_wait_alu 0xfffe
	s_trunc_f32 s7, s7
	s_wait_alu 0xfffe
	s_delay_alu instid0(SALU_CYCLE_2) | instskip(SKIP_2) | instid1(SALU_CYCLE_1)
	s_fmamk_f32 s0, s7, 0xcf800000, s0
	s_cvt_u32_f32 s9, s7
	s_wait_alu 0xfffe
	s_cvt_u32_f32 s8, s0
	s_wait_alu 0xfffe
	s_delay_alu instid0(SALU_CYCLE_2)
	s_mul_u64 s[16:17], s[12:13], s[8:9]
	s_wait_alu 0xfffe
	s_mul_hi_u32 s25, s8, s17
	s_mul_i32 s24, s8, s17
	s_mul_hi_u32 s14, s8, s16
	s_mul_i32 s7, s9, s16
	s_wait_alu 0xfffe
	s_add_nc_u64 s[14:15], s[14:15], s[24:25]
	s_mul_hi_u32 s0, s9, s16
	s_mul_hi_u32 s11, s9, s17
	s_wait_alu 0xfffe
	s_add_co_u32 s7, s14, s7
	s_add_co_ci_u32 s18, s15, s0
	s_mul_i32 s16, s9, s17
	s_add_co_ci_u32 s17, s11, 0
	s_wait_alu 0xfffe
	s_add_nc_u64 s[14:15], s[18:19], s[16:17]
	s_mov_b32 s17, s3
	s_wait_alu 0xfffe
	s_add_co_u32 s8, s8, s14
	s_cselect_b32 s0, -1, 0
	s_wait_alu 0xfffe
	s_cmp_lg_u32 s0, 0
	s_add_co_ci_u32 s9, s9, s15
	s_mov_b32 s15, s3
	s_wait_alu 0xfffe
	s_mul_u64 s[12:13], s[12:13], s[8:9]
	s_wait_alu 0xfffe
	s_mul_hi_u32 s19, s8, s13
	s_mul_i32 s18, s8, s13
	s_mul_hi_u32 s16, s8, s12
	s_mul_i32 s3, s9, s12
	s_wait_alu 0xfffe
	s_add_nc_u64 s[16:17], s[16:17], s[18:19]
	s_mul_hi_u32 s0, s9, s12
	s_mul_hi_u32 s7, s9, s13
	s_wait_alu 0xfffe
	s_add_co_u32 s3, s16, s3
	s_add_co_ci_u32 s14, s17, s0
	s_mul_i32 s12, s9, s13
	s_add_co_ci_u32 s13, s7, 0
	s_wait_alu 0xfffe
	s_add_nc_u64 s[12:13], s[14:15], s[12:13]
	s_wait_alu 0xfffe
	s_add_co_u32 s0, s8, s12
	s_cselect_b32 s3, -1, 0
	s_wait_alu 0xfffe
	v_mul_hi_u32 v20, v18, s0
	s_cmp_lg_u32 s3, 0
	v_mad_co_u64_u32 v[10:11], null, v19, s0, 0
	s_add_co_ci_u32 s3, s9, s13
	s_wait_alu 0xfffe
	v_mad_co_u64_u32 v[8:9], null, v18, s3, 0
	v_mad_co_u64_u32 v[15:16], null, v19, s3, 0
	s_delay_alu instid0(VALU_DEP_2) | instskip(SKIP_1) | instid1(VALU_DEP_3)
	v_add_co_u32 v8, vcc_lo, v20, v8
	s_wait_alu 0xfffd
	v_add_co_ci_u32_e64 v9, null, 0, v9, vcc_lo
	s_delay_alu instid0(VALU_DEP_2) | instskip(SKIP_1) | instid1(VALU_DEP_2)
	v_add_co_u32 v8, vcc_lo, v8, v10
	s_wait_alu 0xfffd
	v_add_co_ci_u32_e32 v8, vcc_lo, v9, v11, vcc_lo
	s_wait_alu 0xfffd
	v_add_co_ci_u32_e32 v9, vcc_lo, 0, v16, vcc_lo
	s_delay_alu instid0(VALU_DEP_2) | instskip(SKIP_1) | instid1(VALU_DEP_2)
	v_add_co_u32 v10, vcc_lo, v8, v15
	s_wait_alu 0xfffd
	v_add_co_ci_u32_e64 v11, null, 0, v9, vcc_lo
	s_delay_alu instid0(VALU_DEP_2) | instskip(SKIP_1) | instid1(VALU_DEP_3)
	v_mul_lo_u32 v15, s5, v10
	v_mad_co_u64_u32 v[8:9], null, s4, v10, 0
	v_mul_lo_u32 v16, s4, v11
	s_delay_alu instid0(VALU_DEP_2) | instskip(NEXT) | instid1(VALU_DEP_2)
	v_sub_co_u32 v8, vcc_lo, v18, v8
	v_add3_u32 v9, v9, v16, v15
	v_add_co_u32 v16, s0, v10, 2
	s_wait_alu 0xf1ff
	v_add_co_ci_u32_e64 v18, null, 0, v11, s0
	s_delay_alu instid0(VALU_DEP_3) | instskip(SKIP_3) | instid1(VALU_DEP_3)
	v_sub_nc_u32_e32 v15, v19, v9
	v_sub_co_u32 v20, s0, v8, s4
	s_wait_alu 0xfffd
	v_sub_co_ci_u32_e64 v9, null, v19, v9, vcc_lo
	v_subrev_co_ci_u32_e64 v15, null, s5, v15, vcc_lo
	s_delay_alu instid0(VALU_DEP_3) | instskip(SKIP_1) | instid1(VALU_DEP_2)
	v_cmp_le_u32_e32 vcc_lo, s4, v20
	s_wait_alu 0xf1ff
	v_subrev_co_ci_u32_e64 v15, null, 0, v15, s0
	s_wait_alu 0xfffd
	v_cndmask_b32_e64 v19, 0, -1, vcc_lo
	v_cmp_eq_u32_e64 s0, s5, v9
	s_delay_alu instid0(VALU_DEP_3)
	v_cmp_le_u32_e32 vcc_lo, s5, v15
	s_wait_alu 0xfffd
	v_cndmask_b32_e64 v20, 0, -1, vcc_lo
	v_cmp_le_u32_e32 vcc_lo, s4, v8
	s_wait_alu 0xfffd
	v_cndmask_b32_e64 v8, 0, -1, vcc_lo
	;; [unrolled: 3-line block ×3, first 2 shown]
	v_cmp_eq_u32_e32 vcc_lo, s5, v15
	s_wait_alu 0xf1ff
	s_delay_alu instid0(VALU_DEP_2)
	v_cndmask_b32_e64 v8, v21, v8, s0
	s_wait_alu 0xfffd
	v_cndmask_b32_e32 v15, v20, v19, vcc_lo
	v_add_co_u32 v19, vcc_lo, v10, 1
	s_wait_alu 0xfffd
	v_add_co_ci_u32_e64 v20, null, 0, v11, vcc_lo
	s_delay_alu instid0(VALU_DEP_3) | instskip(SKIP_1) | instid1(VALU_DEP_2)
	v_cmp_ne_u32_e32 vcc_lo, 0, v15
	s_wait_alu 0xfffd
	v_cndmask_b32_e32 v9, v20, v18, vcc_lo
	v_cndmask_b32_e32 v15, v19, v16, vcc_lo
	v_cmp_ne_u32_e32 vcc_lo, 0, v8
	s_wait_alu 0xfffd
	s_delay_alu instid0(VALU_DEP_2) | instskip(NEXT) | instid1(VALU_DEP_1)
	v_dual_cndmask_b32 v8, v11, v9 :: v_dual_cndmask_b32 v9, v10, v15
                                        ; implicit-def: $vgpr15
	v_xor_b32_e32 v8, v8, v17
	s_delay_alu instid0(VALU_DEP_2) | instskip(NEXT) | instid1(VALU_DEP_1)
	v_xor_b32_e32 v9, v9, v17
	v_sub_co_u32 v10, vcc_lo, v9, v17
	s_wait_alu 0xfffd
	s_delay_alu instid0(VALU_DEP_3)
	v_sub_co_ci_u32_e64 v11, null, v8, v17, vcc_lo
.LBB71_123:
	s_wait_alu 0xfffe
	s_and_not1_saveexec_b32 s0, s6
	s_cbranch_execz .LBB71_125
; %bb.124:
	v_cvt_f32_u32_e32 v8, s2
	s_delay_alu instid0(VALU_DEP_1) | instskip(NEXT) | instid1(TRANS32_DEP_1)
	v_rcp_iflag_f32_e32 v8, v8
	v_mul_f32_e32 v8, 0x4f7ffffe, v8
	s_delay_alu instid0(VALU_DEP_1) | instskip(NEXT) | instid1(VALU_DEP_1)
	v_cvt_u32_f32_e32 v8, v8
	v_mul_lo_u32 v9, s1, v8
	s_delay_alu instid0(VALU_DEP_1) | instskip(NEXT) | instid1(VALU_DEP_1)
	v_mul_hi_u32 v9, v8, v9
	v_add_nc_u32_e32 v8, v8, v9
	s_delay_alu instid0(VALU_DEP_1) | instskip(NEXT) | instid1(VALU_DEP_1)
	v_mul_hi_u32 v8, v15, v8
	v_mul_lo_u32 v9, v8, s2
	v_add_nc_u32_e32 v10, 1, v8
	s_delay_alu instid0(VALU_DEP_2) | instskip(NEXT) | instid1(VALU_DEP_1)
	v_sub_nc_u32_e32 v9, v15, v9
	v_subrev_nc_u32_e32 v11, s2, v9
	v_cmp_le_u32_e32 vcc_lo, s2, v9
	s_wait_alu 0xfffd
	s_delay_alu instid0(VALU_DEP_2) | instskip(SKIP_1) | instid1(VALU_DEP_2)
	v_dual_cndmask_b32 v9, v9, v11 :: v_dual_cndmask_b32 v8, v8, v10
	v_mov_b32_e32 v11, 0
	v_cmp_le_u32_e32 vcc_lo, s2, v9
	s_delay_alu instid0(VALU_DEP_3) | instskip(SKIP_1) | instid1(VALU_DEP_1)
	v_add_nc_u32_e32 v10, 1, v8
	s_wait_alu 0xfffd
	v_cndmask_b32_e32 v10, v8, v10, vcc_lo
.LBB71_125:
	s_wait_alu 0xfffe
	s_or_b32 exec_lo, exec_lo, s0
	v_mov_b32_e32 v15, 0
	s_mov_b32 s0, exec_lo
	v_cmpx_gt_i64_e64 s[22:23], v[4:5]
	s_cbranch_execz .LBB71_133
; %bb.126:
	s_add_co_i32 s1, s2, -1
	s_wait_alu 0xfffe
	v_dual_mov_b32 v15, 0 :: v_dual_and_b32 v4, s1, v0
	s_mov_b32 s1, exec_lo
	s_delay_alu instid0(VALU_DEP_1)
	v_lshlrev_b32_e32 v16, 2, v4
	v_cmpx_lt_i64_e32 0, v[10:11]
	s_cbranch_execz .LBB71_130
; %bb.127:
	v_dual_mov_b32 v15, 0 :: v_dual_mov_b32 v8, v10
	s_delay_alu instid0(VALU_DEP_3)
	v_lshl_add_u32 v5, v2, 2, v16
	v_mov_b32_e32 v9, v11
	s_lshl_b32 s4, s2, 2
	s_mov_b32 s3, 0
.LBB71_128:                             ; =>This Inner Loop Header: Depth=1
	ds_load_b32 v17, v5
	v_add_co_u32 v8, vcc_lo, v8, -1
	s_wait_alu 0xfffd
	v_add_co_ci_u32_e64 v9, null, -1, v9, vcc_lo
	s_wait_alu 0xfffe
	v_add_nc_u32_e32 v5, s4, v5
	s_delay_alu instid0(VALU_DEP_2)
	v_cmp_eq_u64_e32 vcc_lo, 0, v[8:9]
	s_or_b32 s3, vcc_lo, s3
	s_wait_dscnt 0x0
	v_add_f32_e32 v15, v15, v17
	s_wait_alu 0xfffe
	s_and_not1_b32 exec_lo, exec_lo, s3
	s_cbranch_execnz .LBB71_128
; %bb.129:
	s_or_b32 exec_lo, exec_lo, s3
.LBB71_130:
	s_wait_alu 0xfffe
	s_or_b32 exec_lo, exec_lo, s1
	v_mad_co_u64_u32 v[2:3], null, v10, s2, v[2:3]
	v_mov_b32_e32 v5, 0
	s_mov_b32 s1, exec_lo
	s_delay_alu instid0(VALU_DEP_2) | instskip(NEXT) | instid1(VALU_DEP_3)
	v_mad_co_u64_u32 v[8:9], null, v11, s2, v[3:4]
	v_sub_co_u32 v9, vcc_lo, v12, v2
	s_wait_alu 0xfffd
	s_delay_alu instid0(VALU_DEP_2) | instskip(NEXT) | instid1(VALU_DEP_1)
	v_sub_co_ci_u32_e64 v10, null, v13, v8, vcc_lo
	v_cmpx_gt_i64_e64 v[9:10], v[4:5]
	s_cbranch_execz .LBB71_132
; %bb.131:
	v_lshl_add_u32 v2, v2, 2, v16
	ds_load_b32 v2, v2
	s_wait_dscnt 0x0
	v_add_f32_e32 v15, v15, v2
.LBB71_132:
	s_wait_alu 0xfffe
	s_or_b32 exec_lo, exec_lo, s1
.LBB71_133:
	s_wait_alu 0xfffe
	s_or_b32 exec_lo, exec_lo, s0
	s_wait_storecnt 0x0
	s_barrier_signal -1
	s_barrier_wait -1
	global_inv scope:SCOPE_SE
	ds_store_b32 v14, v15
	s_wait_loadcnt_dscnt 0x0
	s_barrier_signal -1
	s_barrier_wait -1
	global_inv scope:SCOPE_SE
	s_mov_b32 s0, exec_lo
	v_cmpx_gt_i64_e64 s[22:23], v[0:1]
	s_cbranch_execz .LBB71_137
; %bb.134:
	v_mul_lo_u32 v1, s2, v0
	s_delay_alu instid0(VALU_DEP_1)
	v_dual_mov_b32 v1, 0 :: v_dual_lshlrev_b32 v2, 2, v1
.LBB71_135:                             ; =>This Inner Loop Header: Depth=1
	ds_load_b32 v3, v2
	v_add_nc_u32_e32 v2, 4, v2
	s_add_co_i32 s2, s2, -1
	s_wait_alu 0xfffe
	s_cmp_eq_u32 s2, 0
	s_wait_dscnt 0x0
	v_add_f32_e32 v1, v1, v3
	s_cbranch_scc0 .LBB71_135
; %bb.136:
	v_lshlrev_b32_e32 v0, 2, v0
	s_lshl_b32 s0, s10, 2
	v_lshlrev_b64_e32 v[2:3], 2, v[6:7]
	s_wait_alu 0xfffe
	s_delay_alu instid0(VALU_DEP_2)
	v_add3_u32 v0, 0x1000, s0, v0
	ds_load_b32 v0, v0
	s_wait_dscnt 0x0
	v_add_f32_e32 v4, v1, v0
	v_add_co_u32 v0, vcc_lo, s20, v2
	s_wait_alu 0xfffd
	v_add_co_ci_u32_e64 v1, null, s21, v3, vcc_lo
	global_atomic_add_f32 v[0:1], v4, off scope:SCOPE_DEV
.LBB71_137:
	s_endpgm
	.section	.rodata,"a",@progbits
	.p2align	6, 0x0
	.amdhsa_kernel _ZN9rocsparseL27csrmvn_symm_adaptive_kernelIllDF16_DF16_ffEEvbT_S1_PKS1_NS_24const_host_device_scalarIT4_EES3_PKT0_PKT1_PKT2_S6_PT3_21rocsparse_index_base_b
		.amdhsa_group_segment_fixed_size 4096
		.amdhsa_private_segment_fixed_size 0
		.amdhsa_kernarg_size 352
		.amdhsa_user_sgpr_count 2
		.amdhsa_user_sgpr_dispatch_ptr 0
		.amdhsa_user_sgpr_queue_ptr 0
		.amdhsa_user_sgpr_kernarg_segment_ptr 1
		.amdhsa_user_sgpr_dispatch_id 0
		.amdhsa_user_sgpr_private_segment_size 0
		.amdhsa_wavefront_size32 1
		.amdhsa_uses_dynamic_stack 0
		.amdhsa_enable_private_segment 0
		.amdhsa_system_sgpr_workgroup_id_x 1
		.amdhsa_system_sgpr_workgroup_id_y 0
		.amdhsa_system_sgpr_workgroup_id_z 0
		.amdhsa_system_sgpr_workgroup_info 0
		.amdhsa_system_vgpr_workitem_id 0
		.amdhsa_next_free_vgpr 22
		.amdhsa_next_free_sgpr 42
		.amdhsa_reserve_vcc 1
		.amdhsa_float_round_mode_32 0
		.amdhsa_float_round_mode_16_64 0
		.amdhsa_float_denorm_mode_32 3
		.amdhsa_float_denorm_mode_16_64 3
		.amdhsa_fp16_overflow 0
		.amdhsa_workgroup_processor_mode 1
		.amdhsa_memory_ordered 1
		.amdhsa_forward_progress 1
		.amdhsa_inst_pref_size 77
		.amdhsa_round_robin_scheduling 0
		.amdhsa_exception_fp_ieee_invalid_op 0
		.amdhsa_exception_fp_denorm_src 0
		.amdhsa_exception_fp_ieee_div_zero 0
		.amdhsa_exception_fp_ieee_overflow 0
		.amdhsa_exception_fp_ieee_underflow 0
		.amdhsa_exception_fp_ieee_inexact 0
		.amdhsa_exception_int_div_zero 0
	.end_amdhsa_kernel
	.section	.text._ZN9rocsparseL27csrmvn_symm_adaptive_kernelIllDF16_DF16_ffEEvbT_S1_PKS1_NS_24const_host_device_scalarIT4_EES3_PKT0_PKT1_PKT2_S6_PT3_21rocsparse_index_base_b,"axG",@progbits,_ZN9rocsparseL27csrmvn_symm_adaptive_kernelIllDF16_DF16_ffEEvbT_S1_PKS1_NS_24const_host_device_scalarIT4_EES3_PKT0_PKT1_PKT2_S6_PT3_21rocsparse_index_base_b,comdat
.Lfunc_end71:
	.size	_ZN9rocsparseL27csrmvn_symm_adaptive_kernelIllDF16_DF16_ffEEvbT_S1_PKS1_NS_24const_host_device_scalarIT4_EES3_PKT0_PKT1_PKT2_S6_PT3_21rocsparse_index_base_b, .Lfunc_end71-_ZN9rocsparseL27csrmvn_symm_adaptive_kernelIllDF16_DF16_ffEEvbT_S1_PKS1_NS_24const_host_device_scalarIT4_EES3_PKT0_PKT1_PKT2_S6_PT3_21rocsparse_index_base_b
                                        ; -- End function
	.set _ZN9rocsparseL27csrmvn_symm_adaptive_kernelIllDF16_DF16_ffEEvbT_S1_PKS1_NS_24const_host_device_scalarIT4_EES3_PKT0_PKT1_PKT2_S6_PT3_21rocsparse_index_base_b.num_vgpr, 22
	.set _ZN9rocsparseL27csrmvn_symm_adaptive_kernelIllDF16_DF16_ffEEvbT_S1_PKS1_NS_24const_host_device_scalarIT4_EES3_PKT0_PKT1_PKT2_S6_PT3_21rocsparse_index_base_b.num_agpr, 0
	.set _ZN9rocsparseL27csrmvn_symm_adaptive_kernelIllDF16_DF16_ffEEvbT_S1_PKS1_NS_24const_host_device_scalarIT4_EES3_PKT0_PKT1_PKT2_S6_PT3_21rocsparse_index_base_b.numbered_sgpr, 42
	.set _ZN9rocsparseL27csrmvn_symm_adaptive_kernelIllDF16_DF16_ffEEvbT_S1_PKS1_NS_24const_host_device_scalarIT4_EES3_PKT0_PKT1_PKT2_S6_PT3_21rocsparse_index_base_b.num_named_barrier, 0
	.set _ZN9rocsparseL27csrmvn_symm_adaptive_kernelIllDF16_DF16_ffEEvbT_S1_PKS1_NS_24const_host_device_scalarIT4_EES3_PKT0_PKT1_PKT2_S6_PT3_21rocsparse_index_base_b.private_seg_size, 0
	.set _ZN9rocsparseL27csrmvn_symm_adaptive_kernelIllDF16_DF16_ffEEvbT_S1_PKS1_NS_24const_host_device_scalarIT4_EES3_PKT0_PKT1_PKT2_S6_PT3_21rocsparse_index_base_b.uses_vcc, 1
	.set _ZN9rocsparseL27csrmvn_symm_adaptive_kernelIllDF16_DF16_ffEEvbT_S1_PKS1_NS_24const_host_device_scalarIT4_EES3_PKT0_PKT1_PKT2_S6_PT3_21rocsparse_index_base_b.uses_flat_scratch, 0
	.set _ZN9rocsparseL27csrmvn_symm_adaptive_kernelIllDF16_DF16_ffEEvbT_S1_PKS1_NS_24const_host_device_scalarIT4_EES3_PKT0_PKT1_PKT2_S6_PT3_21rocsparse_index_base_b.has_dyn_sized_stack, 0
	.set _ZN9rocsparseL27csrmvn_symm_adaptive_kernelIllDF16_DF16_ffEEvbT_S1_PKS1_NS_24const_host_device_scalarIT4_EES3_PKT0_PKT1_PKT2_S6_PT3_21rocsparse_index_base_b.has_recursion, 0
	.set _ZN9rocsparseL27csrmvn_symm_adaptive_kernelIllDF16_DF16_ffEEvbT_S1_PKS1_NS_24const_host_device_scalarIT4_EES3_PKT0_PKT1_PKT2_S6_PT3_21rocsparse_index_base_b.has_indirect_call, 0
	.section	.AMDGPU.csdata,"",@progbits
; Kernel info:
; codeLenInByte = 9832
; TotalNumSgprs: 44
; NumVgprs: 22
; ScratchSize: 0
; MemoryBound: 0
; FloatMode: 240
; IeeeMode: 1
; LDSByteSize: 4096 bytes/workgroup (compile time only)
; SGPRBlocks: 0
; VGPRBlocks: 2
; NumSGPRsForWavesPerEU: 44
; NumVGPRsForWavesPerEU: 22
; Occupancy: 16
; WaveLimiterHint : 1
; COMPUTE_PGM_RSRC2:SCRATCH_EN: 0
; COMPUTE_PGM_RSRC2:USER_SGPR: 2
; COMPUTE_PGM_RSRC2:TRAP_HANDLER: 0
; COMPUTE_PGM_RSRC2:TGID_X_EN: 1
; COMPUTE_PGM_RSRC2:TGID_Y_EN: 0
; COMPUTE_PGM_RSRC2:TGID_Z_EN: 0
; COMPUTE_PGM_RSRC2:TIDIG_COMP_CNT: 0
	.section	.text._ZL33csrmvn_symm_large_adaptive_kernelIllDF16_DF16_ffEvbT_PKS0_N9rocsparse24const_host_device_scalarIT4_EES2_PKT0_PKT1_PKT2_S6_PT3_21rocsparse_index_base_b,"axG",@progbits,_ZL33csrmvn_symm_large_adaptive_kernelIllDF16_DF16_ffEvbT_PKS0_N9rocsparse24const_host_device_scalarIT4_EES2_PKT0_PKT1_PKT2_S6_PT3_21rocsparse_index_base_b,comdat
	.globl	_ZL33csrmvn_symm_large_adaptive_kernelIllDF16_DF16_ffEvbT_PKS0_N9rocsparse24const_host_device_scalarIT4_EES2_PKT0_PKT1_PKT2_S6_PT3_21rocsparse_index_base_b ; -- Begin function _ZL33csrmvn_symm_large_adaptive_kernelIllDF16_DF16_ffEvbT_PKS0_N9rocsparse24const_host_device_scalarIT4_EES2_PKT0_PKT1_PKT2_S6_PT3_21rocsparse_index_base_b
	.p2align	8
	.type	_ZL33csrmvn_symm_large_adaptive_kernelIllDF16_DF16_ffEvbT_PKS0_N9rocsparse24const_host_device_scalarIT4_EES2_PKT0_PKT1_PKT2_S6_PT3_21rocsparse_index_base_b,@function
_ZL33csrmvn_symm_large_adaptive_kernelIllDF16_DF16_ffEvbT_PKS0_N9rocsparse24const_host_device_scalarIT4_EES2_PKT0_PKT1_PKT2_S6_PT3_21rocsparse_index_base_b: ; @_ZL33csrmvn_symm_large_adaptive_kernelIllDF16_DF16_ffEvbT_PKS0_N9rocsparse24const_host_device_scalarIT4_EES2_PKT0_PKT1_PKT2_S6_PT3_21rocsparse_index_base_b
; %bb.0:
	s_clause 0x2
	s_load_b64 s[6:7], s[0:1], 0x50
	s_load_b64 s[20:21], s[0:1], 0x18
	;; [unrolled: 1-line block ×3, first 2 shown]
	s_wait_kmcnt 0x0
	s_bitcmp1_b32 s7, 0
	s_cselect_b32 s4, -1, 0
	s_delay_alu instid0(SALU_CYCLE_1)
	s_and_b32 vcc_lo, exec_lo, s4
	s_xor_b32 s4, s4, -1
	s_cbranch_vccnz .LBB72_2
; %bb.1:
	s_load_b32 s20, s[20:21], 0x0
.LBB72_2:
	s_and_not1_b32 vcc_lo, exec_lo, s4
	s_cbranch_vccnz .LBB72_4
; %bb.3:
	s_load_b32 s2, s[2:3], 0x0
.LBB72_4:
	s_wait_kmcnt 0x0
	s_cmp_neq_f32 s20, 0
	s_mov_b32 s7, 0
	s_cselect_b32 s3, -1, 0
	s_cmp_neq_f32 s2, 1.0
	s_cselect_b32 s2, -1, 0
	s_delay_alu instid0(SALU_CYCLE_1) | instskip(NEXT) | instid1(SALU_CYCLE_1)
	s_or_b32 s2, s3, s2
	s_and_not1_b32 vcc_lo, exec_lo, s2
	s_cbranch_vccnz .LBB72_34
; %bb.5:
	s_load_b64 s[4:5], s[0:1], 0x10
	s_mov_b32 s2, ttmp9
	s_ashr_i32 s3, ttmp9, 31
	v_dual_mov_b32 v7, 0 :: v_dual_lshlrev_b32 v6, 2, v0
	s_lshl_b64 s[2:3], s[2:3], 3
	ds_store_2addr_stride64_b32 v6, v7, v7 offset1:4
	ds_store_2addr_stride64_b32 v6, v7, v7 offset0:8 offset1:12
	s_wait_dscnt 0x0
	s_barrier_signal -1
	s_barrier_wait -1
	global_inv scope:SCOPE_SE
	s_wait_kmcnt 0x0
	s_add_nc_u64 s[2:3], s[4:5], s[2:3]
	s_load_b128 s[16:19], s[2:3], 0x0
	s_clause 0x1
	s_load_b256 s[8:15], s[0:1], 0x20
	s_load_b64 s[22:23], s[0:1], 0x48
	v_sub_co_u32 v8, s1, v0, s6
	s_delay_alu instid0(VALU_DEP_1)
	v_sub_co_ci_u32_e64 v9, null, 0, 0, s1
	s_wait_kmcnt 0x0
	v_cmp_ge_i64_e64 s0, s[16:17], s[18:19]
	s_and_b32 vcc_lo, exec_lo, s0
	s_cbranch_vccnz .LBB72_25
; %bb.6:
	v_cmp_gt_u32_e64 s0, 0x100, v0
	v_cmp_gt_u32_e64 s1, 64, v0
	;; [unrolled: 1-line block ×4, first 2 shown]
	v_cmp_eq_u32_e64 s4, 0, v0
	s_mov_b64 s[24:25], s[16:17]
	s_branch .LBB72_8
.LBB72_7:                               ;   in Loop: Header=BB72_8 Depth=1
	s_wait_alu 0xfffe
	s_or_b32 exec_lo, exec_lo, s5
	s_add_nc_u64 s[24:25], s[24:25], 1
	s_wait_alu 0xfffe
	v_cmp_ge_i64_e64 s5, s[24:25], s[18:19]
	s_and_b32 vcc_lo, exec_lo, s5
	s_wait_alu 0xfffe
	s_cbranch_vccnz .LBB72_25
.LBB72_8:                               ; =>This Loop Header: Depth=1
                                        ;     Child Loop BB72_10 Depth 2
	s_lshl_b64 s[26:27], s[24:25], 3
	v_mov_b32_e32 v10, 0
	s_wait_alu 0xfffe
	s_add_nc_u64 s[26:27], s[8:9], s[26:27]
	s_mov_b32 s21, exec_lo
	s_load_b128 s[28:31], s[26:27], 0x0
	s_wait_kmcnt 0x0
	v_add_co_u32 v0, vcc_lo, s28, v8
	s_wait_alu 0xfffd
	v_add_co_ci_u32_e64 v1, null, s29, v9, vcc_lo
	s_sub_nc_u64 s[26:27], s[30:31], s[6:7]
	s_wait_alu 0xfffe
	v_cmpx_gt_i64_e64 s[26:27], v[0:1]
	s_cbranch_execz .LBB72_12
; %bb.9:                                ;   in Loop: Header=BB72_8 Depth=1
	v_lshlrev_b64_e32 v[2:3], 3, v[0:1]
	v_lshlrev_b64_e32 v[4:5], 1, v[0:1]
	v_mov_b32_e32 v10, 0
	s_mov_b32 s28, 0
	s_delay_alu instid0(VALU_DEP_3)
	v_add_co_u32 v2, vcc_lo, s10, v2
	s_wait_alu 0xfffd
	v_add_co_ci_u32_e64 v3, null, s11, v3, vcc_lo
	v_add_co_u32 v4, vcc_lo, s12, v4
	s_wait_alu 0xfffd
	v_add_co_ci_u32_e64 v5, null, s13, v5, vcc_lo
.LBB72_10:                              ;   Parent Loop BB72_8 Depth=1
                                        ; =>  This Inner Loop Header: Depth=2
	global_load_b64 v[11:12], v[2:3], off
	s_wait_loadcnt 0x0
	v_sub_co_u32 v11, vcc_lo, v11, s6
	s_wait_alu 0xfffd
	v_subrev_co_ci_u32_e64 v12, null, 0, v12, vcc_lo
	s_delay_alu instid0(VALU_DEP_1) | instskip(NEXT) | instid1(VALU_DEP_1)
	v_lshlrev_b64_e32 v[11:12], 1, v[11:12]
	v_add_co_u32 v11, vcc_lo, s14, v11
	s_wait_alu 0xfffd
	s_delay_alu instid0(VALU_DEP_2)
	v_add_co_ci_u32_e64 v12, null, s15, v12, vcc_lo
	v_add_co_u32 v0, vcc_lo, 0x100, v0
	global_load_u16 v13, v[4:5], off
	global_load_u16 v11, v[11:12], off
	s_wait_alu 0xfffd
	v_add_co_ci_u32_e64 v1, null, 0, v1, vcc_lo
	v_add_co_u32 v2, vcc_lo, 0x800, v2
	s_wait_alu 0xfffd
	v_add_co_ci_u32_e64 v3, null, 0, v3, vcc_lo
	s_delay_alu instid0(VALU_DEP_3)
	v_cmp_le_i64_e32 vcc_lo, s[26:27], v[0:1]
	v_add_co_u32 v4, s5, 0x200, v4
	s_wait_alu 0xf1ff
	v_add_co_ci_u32_e64 v5, null, 0, v5, s5
	s_wait_alu 0xfffe
	s_or_b32 s28, vcc_lo, s28
	s_wait_loadcnt 0x0
	v_fma_mix_f32 v10, v13, v11, v10 op_sel_hi:[1,1,0]
	s_wait_alu 0xfffe
	s_and_not1_b32 exec_lo, exec_lo, s28
	s_cbranch_execnz .LBB72_10
; %bb.11:                               ;   in Loop: Header=BB72_8 Depth=1
	s_or_b32 exec_lo, exec_lo, s28
.LBB72_12:                              ;   in Loop: Header=BB72_8 Depth=1
	s_delay_alu instid0(SALU_CYCLE_1)
	s_or_b32 exec_lo, exec_lo, s21
	ds_store_b32 v6, v10
	s_wait_loadcnt_dscnt 0x0
	s_barrier_signal -1
	s_barrier_wait -1
	global_inv scope:SCOPE_SE
	s_and_saveexec_b32 s5, s0
	s_cbranch_execz .LBB72_14
; %bb.13:                               ;   in Loop: Header=BB72_8 Depth=1
	ds_load_2addr_stride64_b32 v[0:1], v6 offset1:4
	ds_load_2addr_stride64_b32 v[2:3], v6 offset0:8 offset1:12
	s_wait_dscnt 0x0
	v_add_f32_e32 v1, v1, v2
	s_delay_alu instid0(VALU_DEP_1) | instskip(NEXT) | instid1(VALU_DEP_1)
	v_add_f32_e32 v1, v1, v3
	v_add_f32_e32 v0, v0, v1
	ds_store_b32 v6, v0
.LBB72_14:                              ;   in Loop: Header=BB72_8 Depth=1
	s_wait_alu 0xfffe
	s_or_b32 exec_lo, exec_lo, s5
	s_wait_loadcnt_dscnt 0x0
	s_barrier_signal -1
	s_barrier_wait -1
	global_inv scope:SCOPE_SE
	s_and_saveexec_b32 s5, s1
	s_cbranch_execz .LBB72_16
; %bb.15:                               ;   in Loop: Header=BB72_8 Depth=1
	ds_load_2addr_stride64_b32 v[0:1], v6 offset1:1
	ds_load_2addr_stride64_b32 v[2:3], v6 offset0:2 offset1:3
	s_wait_dscnt 0x0
	v_add_f32_e32 v1, v1, v2
	s_delay_alu instid0(VALU_DEP_1) | instskip(NEXT) | instid1(VALU_DEP_1)
	v_add_f32_e32 v1, v1, v3
	v_add_f32_e32 v0, v0, v1
	ds_store_b32 v6, v0
.LBB72_16:                              ;   in Loop: Header=BB72_8 Depth=1
	s_wait_alu 0xfffe
	s_or_b32 exec_lo, exec_lo, s5
	s_wait_loadcnt_dscnt 0x0
	s_barrier_signal -1
	s_barrier_wait -1
	global_inv scope:SCOPE_SE
	s_and_saveexec_b32 s5, s2
	s_cbranch_execz .LBB72_18
; %bb.17:                               ;   in Loop: Header=BB72_8 Depth=1
	ds_load_2addr_b32 v[0:1], v6 offset1:16
	ds_load_2addr_b32 v[2:3], v6 offset0:32 offset1:48
	s_wait_dscnt 0x0
	v_add_f32_e32 v1, v1, v2
	s_delay_alu instid0(VALU_DEP_1) | instskip(NEXT) | instid1(VALU_DEP_1)
	v_add_f32_e32 v1, v1, v3
	v_add_f32_e32 v0, v0, v1
	ds_store_b32 v6, v0
.LBB72_18:                              ;   in Loop: Header=BB72_8 Depth=1
	s_wait_alu 0xfffe
	s_or_b32 exec_lo, exec_lo, s5
	s_wait_loadcnt_dscnt 0x0
	s_barrier_signal -1
	s_barrier_wait -1
	global_inv scope:SCOPE_SE
	s_and_saveexec_b32 s5, s3
	s_cbranch_execz .LBB72_20
; %bb.19:                               ;   in Loop: Header=BB72_8 Depth=1
	ds_load_2addr_b32 v[0:1], v6 offset1:4
	ds_load_2addr_b32 v[2:3], v6 offset0:8 offset1:12
	s_wait_dscnt 0x0
	v_add_f32_e32 v1, v1, v2
	s_delay_alu instid0(VALU_DEP_1) | instskip(NEXT) | instid1(VALU_DEP_1)
	v_add_f32_e32 v1, v1, v3
	v_add_f32_e32 v0, v0, v1
	ds_store_b32 v6, v0
.LBB72_20:                              ;   in Loop: Header=BB72_8 Depth=1
	s_wait_alu 0xfffe
	s_or_b32 exec_lo, exec_lo, s5
	s_wait_loadcnt_dscnt 0x0
	s_barrier_signal -1
	s_barrier_wait -1
	global_inv scope:SCOPE_SE
	s_and_saveexec_b32 s5, s4
	s_cbranch_execz .LBB72_22
; %bb.21:                               ;   in Loop: Header=BB72_8 Depth=1
	ds_load_2addr_b32 v[0:1], v7 offset0:1 offset1:2
	ds_load_b32 v2, v7 offset:12
	ds_load_b32 v3, v6
	s_wait_dscnt 0x2
	v_add_f32_e32 v0, v0, v1
	s_wait_dscnt 0x1
	s_delay_alu instid0(VALU_DEP_1) | instskip(SKIP_1) | instid1(VALU_DEP_1)
	v_add_f32_e32 v0, v0, v2
	s_wait_dscnt 0x0
	v_add_f32_e32 v0, v3, v0
	ds_store_b32 v6, v0
.LBB72_22:                              ;   in Loop: Header=BB72_8 Depth=1
	s_wait_alu 0xfffe
	s_or_b32 exec_lo, exec_lo, s5
	s_wait_loadcnt_dscnt 0x0
	s_barrier_signal -1
	s_barrier_wait -1
	global_inv scope:SCOPE_SE
	s_and_saveexec_b32 s5, s4
	s_cbranch_execz .LBB72_7
; %bb.23:                               ;   in Loop: Header=BB72_8 Depth=1
	s_mov_b32 s21, exec_lo
	s_wait_alu 0xfffe
	v_mbcnt_lo_u32_b32 v0, s21, 0
	s_delay_alu instid0(VALU_DEP_1)
	v_cmp_eq_u32_e32 vcc_lo, 0, v0
	s_and_b32 s26, exec_lo, vcc_lo
	s_wait_alu 0xfffe
	s_mov_b32 exec_lo, s26
	s_cbranch_execz .LBB72_7
; %bb.24:                               ;   in Loop: Header=BB72_8 Depth=1
	ds_load_b32 v0, v7
	s_bcnt1_i32_b32 s21, s21
	s_lshl_b64 s[26:27], s[24:25], 2
	s_wait_alu 0xfffe
	v_cvt_f32_ubyte0_e32 v1, s21
	s_add_nc_u64 s[26:27], s[22:23], s[26:27]
	s_wait_dscnt 0x0
	v_mul_f32_e32 v0, s20, v0
	s_delay_alu instid0(VALU_DEP_1)
	v_mul_f32_e32 v0, v0, v1
	global_atomic_add_f32 v7, v0, s[26:27] scope:SCOPE_DEV
	s_branch .LBB72_7
.LBB72_25:
	s_lshl_b64 s[0:1], s[16:17], 3
	s_lshl_b64 s[2:3], s[18:19], 3
	s_wait_alu 0xfffe
	s_add_nc_u64 s[0:1], s[8:9], s[0:1]
	s_add_nc_u64 s[2:3], s[8:9], s[2:3]
	s_clause 0x1
	s_load_b64 s[0:1], s[0:1], 0x0
	s_load_b64 s[2:3], s[2:3], 0x0
	s_wait_kmcnt 0x0
	v_add_co_u32 v0, vcc_lo, s0, v8
	s_wait_alu 0xfffd
	v_add_co_ci_u32_e64 v1, null, s1, v9, vcc_lo
	s_sub_nc_u64 s[2:3], s[2:3], s[6:7]
	s_mov_b32 s0, exec_lo
	v_cmpx_gt_i64_e64 s[2:3], v[0:1]
	s_cbranch_execz .LBB72_34
; %bb.26:
	s_add_nc_u64 s[4:5], s[18:19], -1
	s_add_nc_u64 s[0:1], s[18:19], -2
	s_wait_alu 0xfffe
	v_cmp_lt_i64_e64 s7, s[16:17], s[4:5]
	s_cmp_lg_u64 s[16:17], s[0:1]
	s_cselect_b32 s0, -1, 0
	s_wait_alu 0xfffe
	s_and_b32 s1, s7, s0
	s_mov_b32 s7, 0
	s_branch .LBB72_28
.LBB72_27:                              ;   in Loop: Header=BB72_28 Depth=1
	s_wait_alu 0xfffe
	s_or_b32 exec_lo, exec_lo, s0
	v_add_co_u32 v0, vcc_lo, 0x100, v0
	s_wait_alu 0xfffd
	v_add_co_ci_u32_e64 v1, null, 0, v1, vcc_lo
	s_delay_alu instid0(VALU_DEP_1)
	v_cmp_le_i64_e32 vcc_lo, s[2:3], v[0:1]
	s_or_b32 s7, vcc_lo, s7
	s_wait_alu 0xfffe
	s_and_not1_b32 exec_lo, exec_lo, s7
	s_cbranch_execz .LBB72_34
.LBB72_28:                              ; =>This Loop Header: Depth=1
                                        ;     Child Loop BB72_30 Depth 2
	v_dual_mov_b32 v2, s16 :: v_dual_mov_b32 v3, s17
	v_dual_mov_b32 v4, s4 :: v_dual_mov_b32 v5, s5
	s_wait_alu 0xfffe
	s_and_not1_b32 vcc_lo, exec_lo, s1
	s_wait_alu 0xfffe
	s_cbranch_vccnz .LBB72_32
; %bb.29:                               ;   in Loop: Header=BB72_28 Depth=1
	v_dual_mov_b32 v2, s16 :: v_dual_mov_b32 v3, s17
	v_dual_mov_b32 v4, s4 :: v_dual_mov_b32 v5, s5
	s_mov_b32 s18, 0
.LBB72_30:                              ;   Parent Loop BB72_28 Depth=1
                                        ; =>  This Inner Loop Header: Depth=2
	s_delay_alu instid0(VALU_DEP_1) | instskip(SKIP_1) | instid1(VALU_DEP_2)
	v_add_co_u32 v6, vcc_lo, v4, v2
	s_wait_alu 0xfffd
	v_add_co_ci_u32_e64 v7, null, v5, v3, vcc_lo
	s_delay_alu instid0(VALU_DEP_1) | instskip(NEXT) | instid1(VALU_DEP_1)
	v_lshrrev_b32_e32 v8, 31, v7
	v_add_co_u32 v6, vcc_lo, v6, v8
	s_wait_alu 0xfffd
	v_add_co_ci_u32_e64 v7, null, 0, v7, vcc_lo
	s_delay_alu instid0(VALU_DEP_1) | instskip(NEXT) | instid1(VALU_DEP_1)
	v_ashrrev_i64 v[6:7], 1, v[6:7]
	v_lshlrev_b64_e32 v[8:9], 3, v[6:7]
	s_delay_alu instid0(VALU_DEP_1) | instskip(SKIP_1) | instid1(VALU_DEP_2)
	v_add_co_u32 v8, vcc_lo, s8, v8
	s_wait_alu 0xfffd
	v_add_co_ci_u32_e64 v9, null, s9, v9, vcc_lo
	global_load_b64 v[8:9], v[8:9], off
	s_wait_loadcnt 0x0
	v_sub_co_u32 v8, vcc_lo, v8, s6
	s_wait_alu 0xfffd
	v_subrev_co_ci_u32_e64 v9, null, 0, v9, vcc_lo
	s_delay_alu instid0(VALU_DEP_1) | instskip(SKIP_3) | instid1(VALU_DEP_2)
	v_cmp_lt_i64_e32 vcc_lo, v[0:1], v[8:9]
	s_wait_alu 0xfffd
	v_dual_cndmask_b32 v5, v5, v7 :: v_dual_cndmask_b32 v4, v4, v6
	v_dual_cndmask_b32 v3, v7, v3 :: v_dual_cndmask_b32 v2, v6, v2
	v_add_co_u32 v6, vcc_lo, v4, -1
	s_wait_alu 0xfffd
	s_delay_alu instid0(VALU_DEP_3) | instskip(NEXT) | instid1(VALU_DEP_3)
	v_add_co_ci_u32_e64 v7, null, -1, v5, vcc_lo
	v_cmp_ge_i64_e32 vcc_lo, v[2:3], v[4:5]
	s_delay_alu instid0(VALU_DEP_2)
	v_cmp_eq_u64_e64 s0, v[2:3], v[6:7]
	s_or_b32 s0, vcc_lo, s0
	s_wait_alu 0xfffe
	s_and_b32 s0, exec_lo, s0
	s_wait_alu 0xfffe
	s_or_b32 s18, s0, s18
	s_wait_alu 0xfffe
	s_and_not1_b32 exec_lo, exec_lo, s18
	s_cbranch_execnz .LBB72_30
; %bb.31:                               ;   in Loop: Header=BB72_28 Depth=1
	s_or_b32 exec_lo, exec_lo, s18
.LBB72_32:                              ;   in Loop: Header=BB72_28 Depth=1
	v_lshlrev_b64_e32 v[6:7], 3, v[4:5]
	v_lshlrev_b64_e32 v[8:9], 3, v[0:1]
	s_mov_b32 s0, exec_lo
	s_delay_alu instid0(VALU_DEP_2) | instskip(SKIP_1) | instid1(VALU_DEP_3)
	v_add_co_u32 v6, vcc_lo, s8, v6
	s_wait_alu 0xfffd
	v_add_co_ci_u32_e64 v7, null, s9, v7, vcc_lo
	s_delay_alu instid0(VALU_DEP_3)
	v_add_co_u32 v8, vcc_lo, s10, v8
	s_wait_alu 0xfffd
	v_add_co_ci_u32_e64 v9, null, s11, v9, vcc_lo
	global_load_b64 v[6:7], v[6:7], off
	global_load_b64 v[8:9], v[8:9], off
	s_wait_loadcnt 0x1
	v_sub_co_u32 v6, vcc_lo, v6, s6
	s_wait_alu 0xfffd
	v_subrev_co_ci_u32_e64 v7, null, 0, v7, vcc_lo
	s_delay_alu instid0(VALU_DEP_1)
	v_cmp_lt_i64_e32 vcc_lo, v[0:1], v[6:7]
	s_wait_alu 0xfffd
	v_dual_cndmask_b32 v5, v5, v3 :: v_dual_cndmask_b32 v4, v4, v2
	s_wait_loadcnt 0x0
	v_sub_co_u32 v2, vcc_lo, v8, s6
	s_wait_alu 0xfffd
	v_subrev_co_ci_u32_e64 v3, null, 0, v9, vcc_lo
	s_delay_alu instid0(VALU_DEP_1)
	v_cmpx_ne_u64_e64 v[2:3], v[4:5]
	s_cbranch_execz .LBB72_27
; %bb.33:                               ;   in Loop: Header=BB72_28 Depth=1
	v_lshlrev_b64_e32 v[6:7], 1, v[0:1]
	v_lshlrev_b64_e32 v[4:5], 1, v[4:5]
	;; [unrolled: 1-line block ×3, first 2 shown]
	s_delay_alu instid0(VALU_DEP_3) | instskip(SKIP_1) | instid1(VALU_DEP_4)
	v_add_co_u32 v6, vcc_lo, s12, v6
	s_wait_alu 0xfffd
	v_add_co_ci_u32_e64 v7, null, s13, v7, vcc_lo
	s_delay_alu instid0(VALU_DEP_4)
	v_add_co_u32 v4, vcc_lo, s14, v4
	s_wait_alu 0xfffd
	v_add_co_ci_u32_e64 v5, null, s15, v5, vcc_lo
	global_load_u16 v6, v[6:7], off
	v_add_co_u32 v2, vcc_lo, s22, v2
	global_load_u16 v4, v[4:5], off
	s_wait_alu 0xfffd
	v_add_co_ci_u32_e64 v3, null, s23, v3, vcc_lo
	s_wait_loadcnt 0x1
	v_cvt_f32_f16_e32 v5, v6
	s_wait_loadcnt 0x0
	v_cvt_f32_f16_e32 v4, v4
	s_delay_alu instid0(VALU_DEP_2) | instskip(NEXT) | instid1(VALU_DEP_1)
	v_mul_f32_e32 v5, s20, v5
	v_mul_f32_e32 v4, v5, v4
	global_atomic_add_f32 v[2:3], v4, off scope:SCOPE_DEV
	s_branch .LBB72_27
.LBB72_34:
	s_endpgm
	.section	.rodata,"a",@progbits
	.p2align	6, 0x0
	.amdhsa_kernel _ZL33csrmvn_symm_large_adaptive_kernelIllDF16_DF16_ffEvbT_PKS0_N9rocsparse24const_host_device_scalarIT4_EES2_PKT0_PKT1_PKT2_S6_PT3_21rocsparse_index_base_b
		.amdhsa_group_segment_fixed_size 4096
		.amdhsa_private_segment_fixed_size 0
		.amdhsa_kernarg_size 88
		.amdhsa_user_sgpr_count 2
		.amdhsa_user_sgpr_dispatch_ptr 0
		.amdhsa_user_sgpr_queue_ptr 0
		.amdhsa_user_sgpr_kernarg_segment_ptr 1
		.amdhsa_user_sgpr_dispatch_id 0
		.amdhsa_user_sgpr_private_segment_size 0
		.amdhsa_wavefront_size32 1
		.amdhsa_uses_dynamic_stack 0
		.amdhsa_enable_private_segment 0
		.amdhsa_system_sgpr_workgroup_id_x 1
		.amdhsa_system_sgpr_workgroup_id_y 0
		.amdhsa_system_sgpr_workgroup_id_z 0
		.amdhsa_system_sgpr_workgroup_info 0
		.amdhsa_system_vgpr_workitem_id 0
		.amdhsa_next_free_vgpr 14
		.amdhsa_next_free_sgpr 32
		.amdhsa_reserve_vcc 1
		.amdhsa_float_round_mode_32 0
		.amdhsa_float_round_mode_16_64 0
		.amdhsa_float_denorm_mode_32 3
		.amdhsa_float_denorm_mode_16_64 3
		.amdhsa_fp16_overflow 0
		.amdhsa_workgroup_processor_mode 1
		.amdhsa_memory_ordered 1
		.amdhsa_forward_progress 1
		.amdhsa_inst_pref_size 17
		.amdhsa_round_robin_scheduling 0
		.amdhsa_exception_fp_ieee_invalid_op 0
		.amdhsa_exception_fp_denorm_src 0
		.amdhsa_exception_fp_ieee_div_zero 0
		.amdhsa_exception_fp_ieee_overflow 0
		.amdhsa_exception_fp_ieee_underflow 0
		.amdhsa_exception_fp_ieee_inexact 0
		.amdhsa_exception_int_div_zero 0
	.end_amdhsa_kernel
	.section	.text._ZL33csrmvn_symm_large_adaptive_kernelIllDF16_DF16_ffEvbT_PKS0_N9rocsparse24const_host_device_scalarIT4_EES2_PKT0_PKT1_PKT2_S6_PT3_21rocsparse_index_base_b,"axG",@progbits,_ZL33csrmvn_symm_large_adaptive_kernelIllDF16_DF16_ffEvbT_PKS0_N9rocsparse24const_host_device_scalarIT4_EES2_PKT0_PKT1_PKT2_S6_PT3_21rocsparse_index_base_b,comdat
.Lfunc_end72:
	.size	_ZL33csrmvn_symm_large_adaptive_kernelIllDF16_DF16_ffEvbT_PKS0_N9rocsparse24const_host_device_scalarIT4_EES2_PKT0_PKT1_PKT2_S6_PT3_21rocsparse_index_base_b, .Lfunc_end72-_ZL33csrmvn_symm_large_adaptive_kernelIllDF16_DF16_ffEvbT_PKS0_N9rocsparse24const_host_device_scalarIT4_EES2_PKT0_PKT1_PKT2_S6_PT3_21rocsparse_index_base_b
                                        ; -- End function
	.set _ZL33csrmvn_symm_large_adaptive_kernelIllDF16_DF16_ffEvbT_PKS0_N9rocsparse24const_host_device_scalarIT4_EES2_PKT0_PKT1_PKT2_S6_PT3_21rocsparse_index_base_b.num_vgpr, 14
	.set _ZL33csrmvn_symm_large_adaptive_kernelIllDF16_DF16_ffEvbT_PKS0_N9rocsparse24const_host_device_scalarIT4_EES2_PKT0_PKT1_PKT2_S6_PT3_21rocsparse_index_base_b.num_agpr, 0
	.set _ZL33csrmvn_symm_large_adaptive_kernelIllDF16_DF16_ffEvbT_PKS0_N9rocsparse24const_host_device_scalarIT4_EES2_PKT0_PKT1_PKT2_S6_PT3_21rocsparse_index_base_b.numbered_sgpr, 32
	.set _ZL33csrmvn_symm_large_adaptive_kernelIllDF16_DF16_ffEvbT_PKS0_N9rocsparse24const_host_device_scalarIT4_EES2_PKT0_PKT1_PKT2_S6_PT3_21rocsparse_index_base_b.num_named_barrier, 0
	.set _ZL33csrmvn_symm_large_adaptive_kernelIllDF16_DF16_ffEvbT_PKS0_N9rocsparse24const_host_device_scalarIT4_EES2_PKT0_PKT1_PKT2_S6_PT3_21rocsparse_index_base_b.private_seg_size, 0
	.set _ZL33csrmvn_symm_large_adaptive_kernelIllDF16_DF16_ffEvbT_PKS0_N9rocsparse24const_host_device_scalarIT4_EES2_PKT0_PKT1_PKT2_S6_PT3_21rocsparse_index_base_b.uses_vcc, 1
	.set _ZL33csrmvn_symm_large_adaptive_kernelIllDF16_DF16_ffEvbT_PKS0_N9rocsparse24const_host_device_scalarIT4_EES2_PKT0_PKT1_PKT2_S6_PT3_21rocsparse_index_base_b.uses_flat_scratch, 0
	.set _ZL33csrmvn_symm_large_adaptive_kernelIllDF16_DF16_ffEvbT_PKS0_N9rocsparse24const_host_device_scalarIT4_EES2_PKT0_PKT1_PKT2_S6_PT3_21rocsparse_index_base_b.has_dyn_sized_stack, 0
	.set _ZL33csrmvn_symm_large_adaptive_kernelIllDF16_DF16_ffEvbT_PKS0_N9rocsparse24const_host_device_scalarIT4_EES2_PKT0_PKT1_PKT2_S6_PT3_21rocsparse_index_base_b.has_recursion, 0
	.set _ZL33csrmvn_symm_large_adaptive_kernelIllDF16_DF16_ffEvbT_PKS0_N9rocsparse24const_host_device_scalarIT4_EES2_PKT0_PKT1_PKT2_S6_PT3_21rocsparse_index_base_b.has_indirect_call, 0
	.section	.AMDGPU.csdata,"",@progbits
; Kernel info:
; codeLenInByte = 2064
; TotalNumSgprs: 34
; NumVgprs: 14
; ScratchSize: 0
; MemoryBound: 0
; FloatMode: 240
; IeeeMode: 1
; LDSByteSize: 4096 bytes/workgroup (compile time only)
; SGPRBlocks: 0
; VGPRBlocks: 1
; NumSGPRsForWavesPerEU: 34
; NumVGPRsForWavesPerEU: 14
; Occupancy: 16
; WaveLimiterHint : 1
; COMPUTE_PGM_RSRC2:SCRATCH_EN: 0
; COMPUTE_PGM_RSRC2:USER_SGPR: 2
; COMPUTE_PGM_RSRC2:TRAP_HANDLER: 0
; COMPUTE_PGM_RSRC2:TGID_X_EN: 1
; COMPUTE_PGM_RSRC2:TGID_Y_EN: 0
; COMPUTE_PGM_RSRC2:TGID_Z_EN: 0
; COMPUTE_PGM_RSRC2:TIDIG_COMP_CNT: 0
	.section	.text._ZN9rocsparseL22csrmvn_adaptive_kernelIii18rocsparse_bfloat16S1_ffEEvbT_PKS2_PjPKT0_NS_24const_host_device_scalarIT4_EES4_S8_PKT1_PKT2_SB_PT3_21rocsparse_index_base_b,"axG",@progbits,_ZN9rocsparseL22csrmvn_adaptive_kernelIii18rocsparse_bfloat16S1_ffEEvbT_PKS2_PjPKT0_NS_24const_host_device_scalarIT4_EES4_S8_PKT1_PKT2_SB_PT3_21rocsparse_index_base_b,comdat
	.globl	_ZN9rocsparseL22csrmvn_adaptive_kernelIii18rocsparse_bfloat16S1_ffEEvbT_PKS2_PjPKT0_NS_24const_host_device_scalarIT4_EES4_S8_PKT1_PKT2_SB_PT3_21rocsparse_index_base_b ; -- Begin function _ZN9rocsparseL22csrmvn_adaptive_kernelIii18rocsparse_bfloat16S1_ffEEvbT_PKS2_PjPKT0_NS_24const_host_device_scalarIT4_EES4_S8_PKT1_PKT2_SB_PT3_21rocsparse_index_base_b
	.p2align	8
	.type	_ZN9rocsparseL22csrmvn_adaptive_kernelIii18rocsparse_bfloat16S1_ffEEvbT_PKS2_PjPKT0_NS_24const_host_device_scalarIT4_EES4_S8_PKT1_PKT2_SB_PT3_21rocsparse_index_base_b,@function
_ZN9rocsparseL22csrmvn_adaptive_kernelIii18rocsparse_bfloat16S1_ffEEvbT_PKS2_PjPKT0_NS_24const_host_device_scalarIT4_EES4_S8_PKT1_PKT2_SB_PT3_21rocsparse_index_base_b: ; @_ZN9rocsparseL22csrmvn_adaptive_kernelIii18rocsparse_bfloat16S1_ffEEvbT_PKS2_PjPKT0_NS_24const_host_device_scalarIT4_EES4_S8_PKT1_PKT2_SB_PT3_21rocsparse_index_base_b
; %bb.0:
	s_clause 0x2
	s_load_b64 s[30:31], s[0:1], 0x58
	s_load_b64 s[28:29], s[0:1], 0x20
	;; [unrolled: 1-line block ×3, first 2 shown]
	s_wait_kmcnt 0x0
	s_bitcmp1_b32 s31, 0
	s_cselect_b32 s2, -1, 0
	s_delay_alu instid0(SALU_CYCLE_1)
	s_and_b32 vcc_lo, exec_lo, s2
	s_xor_b32 s2, s2, -1
	s_cbranch_vccnz .LBB73_2
; %bb.1:
	s_load_b32 s28, s[28:29], 0x0
.LBB73_2:
	s_and_not1_b32 vcc_lo, exec_lo, s2
	s_cbranch_vccnz .LBB73_4
; %bb.3:
	s_load_b32 s20, s[20:21], 0x0
.LBB73_4:
	s_wait_kmcnt 0x0
	s_cmp_neq_f32 s28, 0
	s_cselect_b32 s2, -1, 0
	s_cmp_neq_f32 s20, 1.0
	s_cselect_b32 s3, -1, 0
	s_delay_alu instid0(SALU_CYCLE_1) | instskip(NEXT) | instid1(SALU_CYCLE_1)
	s_or_b32 s2, s2, s3
	s_and_not1_b32 vcc_lo, exec_lo, s2
	s_cbranch_vccnz .LBB73_114
; %bb.5:
	s_clause 0x2
	s_load_b64 s[2:3], s[0:1], 0x8
	s_load_b64 s[4:5], s[0:1], 0x18
	;; [unrolled: 1-line block ×3, first 2 shown]
	s_mov_b32 s36, ttmp9
	s_ashr_i32 s37, ttmp9, 31
	s_delay_alu instid0(SALU_CYCLE_1)
	s_lshl_b64 s[38:39], s[36:37], 2
	s_wait_kmcnt 0x0
	s_add_nc_u64 s[2:3], s[2:3], s[38:39]
	s_load_b64 s[24:25], s[2:3], 0x0
	s_load_b256 s[12:19], s[0:1], 0x28
	s_wait_kmcnt 0x0
	s_ashr_i32 s3, s24, 31
	s_mov_b32 s2, s24
	s_delay_alu instid0(SALU_CYCLE_1)
	s_lshl_b64 s[34:35], s[2:3], 2
	s_add_nc_u64 s[2:3], s[4:5], s[38:39]
	s_add_nc_u64 s[26:27], s[12:13], s[34:35]
	s_load_b32 s21, s[2:3], 0x0
	s_load_b32 s29, s[26:27], 0x0
	s_sub_co_i32 s3, s25, s24
	s_mov_b32 s2, -1
	s_cmp_lt_i32 s3, 2
	s_cbranch_scc0 .LBB73_70
; %bb.6:
	s_cmp_lg_u32 s3, 1
	v_cmp_gt_u32_e64 s2, 0x80, v0
	s_cselect_b32 s4, -1, 0
	s_wait_kmcnt 0x0
	s_cmp_lg_u32 s21, 0
	v_cmp_gt_u32_e64 s3, 64, v0
	s_cselect_b32 s5, -1, 0
	v_cmp_gt_u32_e64 s6, 8, v0
	s_or_b32 s5, s4, s5
	v_cmp_gt_u32_e64 s4, 32, v0
	s_and_b32 vcc_lo, exec_lo, s5
	v_cmp_gt_u32_e64 s5, 16, v0
	v_cmp_gt_u32_e64 s7, 4, v0
	;; [unrolled: 1-line block ×3, first 2 shown]
	v_cmp_eq_u32_e64 s9, 0, v0
	s_mov_b32 s10, -1
	s_cbranch_vccnz .LBB73_34
; %bb.7:
	s_cmp_neq_f32 s20, 0
	v_subrev_nc_u32_e32 v6, s30, v0
	v_dual_mov_b32 v8, 0 :: v_dual_lshlrev_b32 v7, 2, v0
	s_cselect_b32 s31, -1, 0
	s_mov_b32 s40, s24
	s_branch .LBB73_10
.LBB73_8:                               ;   in Loop: Header=BB73_10 Depth=1
	s_wait_dscnt 0x0
	global_store_b32 v8, v1, s[10:11]
.LBB73_9:                               ;   in Loop: Header=BB73_10 Depth=1
	s_wait_alu 0xfffe
	s_or_b32 exec_lo, exec_lo, s33
	s_add_co_i32 s40, s40, 1
	s_delay_alu instid0(SALU_CYCLE_1)
	s_cmp_ge_i32 s40, s25
	s_cbranch_scc1 .LBB73_33
.LBB73_10:                              ; =>This Loop Header: Depth=1
                                        ;     Child Loop BB73_12 Depth 2
	s_ashr_i32 s41, s40, 31
	v_mov_b32_e32 v9, 0
	s_lshl_b64 s[42:43], s[40:41], 2
	s_delay_alu instid0(SALU_CYCLE_1)
	s_add_nc_u64 s[10:11], s[12:13], s[42:43]
	s_load_b64 s[10:11], s[10:11], 0x0
	s_wait_kmcnt 0x0
	v_add_nc_u32_e32 v1, s10, v6
	s_sub_co_i32 s33, s11, s30
	s_mov_b32 s11, exec_lo
	s_wait_alu 0xfffe
	s_delay_alu instid0(VALU_DEP_1)
	v_cmpx_gt_i32_e64 s33, v1
	s_cbranch_execz .LBB73_14
; %bb.11:                               ;   in Loop: Header=BB73_10 Depth=1
	v_ashrrev_i32_e32 v2, 31, v1
	s_mov_b32 s37, 0
	s_delay_alu instid0(VALU_DEP_1) | instskip(SKIP_1) | instid1(VALU_DEP_2)
	v_lshlrev_b64_e32 v[3:4], 1, v[1:2]
	v_lshlrev_b64_e32 v[9:10], 2, v[1:2]
	v_add_co_u32 v2, vcc_lo, s16, v3
	s_wait_alu 0xfffd
	s_delay_alu instid0(VALU_DEP_3) | instskip(NEXT) | instid1(VALU_DEP_3)
	v_add_co_ci_u32_e64 v3, null, s17, v4, vcc_lo
	v_add_co_u32 v4, vcc_lo, s14, v9
	s_wait_alu 0xfffd
	v_add_co_ci_u32_e64 v5, null, s15, v10, vcc_lo
	v_mov_b32_e32 v9, 0
.LBB73_12:                              ;   Parent Loop BB73_10 Depth=1
                                        ; =>  This Inner Loop Header: Depth=2
	global_load_b32 v10, v[4:5], off
	global_load_u16 v12, v[2:3], off
	v_add_nc_u32_e32 v1, 0x100, v1
	s_delay_alu instid0(VALU_DEP_1) | instskip(SKIP_3) | instid1(VALU_DEP_1)
	v_cmp_le_i32_e64 s10, s33, v1
	s_or_b32 s37, s10, s37
	s_wait_loadcnt 0x1
	v_subrev_nc_u32_e32 v10, s30, v10
	v_ashrrev_i32_e32 v11, 31, v10
	s_delay_alu instid0(VALU_DEP_1) | instskip(NEXT) | instid1(VALU_DEP_1)
	v_lshlrev_b64_e32 v[10:11], 1, v[10:11]
	v_add_co_u32 v10, vcc_lo, s18, v10
	s_wait_alu 0xfffd
	s_delay_alu instid0(VALU_DEP_2)
	v_add_co_ci_u32_e64 v11, null, s19, v11, vcc_lo
	v_add_co_u32 v2, vcc_lo, 0x200, v2
	s_wait_alu 0xfffd
	v_add_co_ci_u32_e64 v3, null, 0, v3, vcc_lo
	global_load_u16 v10, v[10:11], off
	s_wait_loadcnt 0x1
	v_lshlrev_b32_e32 v11, 16, v12
	v_add_co_u32 v4, vcc_lo, 0x400, v4
	s_wait_alu 0xfffd
	v_add_co_ci_u32_e64 v5, null, 0, v5, vcc_lo
	s_wait_loadcnt 0x0
	v_dual_mul_f32 v11, s28, v11 :: v_dual_lshlrev_b32 v10, 16, v10
	s_delay_alu instid0(VALU_DEP_1)
	v_fmac_f32_e32 v9, v11, v10
	s_and_not1_b32 exec_lo, exec_lo, s37
	s_cbranch_execnz .LBB73_12
; %bb.13:                               ;   in Loop: Header=BB73_10 Depth=1
	s_or_b32 exec_lo, exec_lo, s37
.LBB73_14:                              ;   in Loop: Header=BB73_10 Depth=1
	s_wait_alu 0xfffe
	s_or_b32 exec_lo, exec_lo, s11
	ds_store_b32 v7, v9
	s_wait_dscnt 0x0
	s_barrier_signal -1
	s_barrier_wait -1
	global_inv scope:SCOPE_SE
	s_and_saveexec_b32 s10, s2
	s_cbranch_execz .LBB73_16
; %bb.15:                               ;   in Loop: Header=BB73_10 Depth=1
	ds_load_2addr_stride64_b32 v[1:2], v7 offset1:2
	s_wait_dscnt 0x0
	v_add_f32_e32 v1, v1, v2
	ds_store_b32 v7, v1
.LBB73_16:                              ;   in Loop: Header=BB73_10 Depth=1
	s_wait_alu 0xfffe
	s_or_b32 exec_lo, exec_lo, s10
	s_wait_loadcnt_dscnt 0x0
	s_barrier_signal -1
	s_barrier_wait -1
	global_inv scope:SCOPE_SE
	s_and_saveexec_b32 s10, s3
	s_cbranch_execz .LBB73_18
; %bb.17:                               ;   in Loop: Header=BB73_10 Depth=1
	ds_load_2addr_stride64_b32 v[1:2], v7 offset1:1
	s_wait_dscnt 0x0
	v_add_f32_e32 v1, v1, v2
	ds_store_b32 v7, v1
.LBB73_18:                              ;   in Loop: Header=BB73_10 Depth=1
	s_wait_alu 0xfffe
	s_or_b32 exec_lo, exec_lo, s10
	s_wait_loadcnt_dscnt 0x0
	s_barrier_signal -1
	s_barrier_wait -1
	global_inv scope:SCOPE_SE
	s_and_saveexec_b32 s10, s4
	s_cbranch_execz .LBB73_20
; %bb.19:                               ;   in Loop: Header=BB73_10 Depth=1
	ds_load_2addr_b32 v[1:2], v7 offset1:32
	s_wait_dscnt 0x0
	v_add_f32_e32 v1, v1, v2
	ds_store_b32 v7, v1
.LBB73_20:                              ;   in Loop: Header=BB73_10 Depth=1
	s_wait_alu 0xfffe
	s_or_b32 exec_lo, exec_lo, s10
	s_wait_loadcnt_dscnt 0x0
	s_barrier_signal -1
	s_barrier_wait -1
	global_inv scope:SCOPE_SE
	s_and_saveexec_b32 s10, s5
	s_cbranch_execz .LBB73_22
; %bb.21:                               ;   in Loop: Header=BB73_10 Depth=1
	ds_load_2addr_b32 v[1:2], v7 offset1:16
	s_wait_dscnt 0x0
	v_add_f32_e32 v1, v1, v2
	ds_store_b32 v7, v1
.LBB73_22:                              ;   in Loop: Header=BB73_10 Depth=1
	;; [unrolled: 14-line block ×5, first 2 shown]
	s_wait_alu 0xfffe
	s_or_b32 exec_lo, exec_lo, s10
	s_wait_loadcnt_dscnt 0x0
	s_barrier_signal -1
	s_barrier_wait -1
	global_inv scope:SCOPE_SE
	s_and_saveexec_b32 s10, s9
	s_cbranch_execz .LBB73_30
; %bb.29:                               ;   in Loop: Header=BB73_10 Depth=1
	ds_load_b64 v[1:2], v8
	s_wait_dscnt 0x0
	v_add_f32_e32 v1, v1, v2
	ds_store_b32 v8, v1
.LBB73_30:                              ;   in Loop: Header=BB73_10 Depth=1
	s_wait_alu 0xfffe
	s_or_b32 exec_lo, exec_lo, s10
	s_wait_loadcnt_dscnt 0x0
	s_barrier_signal -1
	s_barrier_wait -1
	global_inv scope:SCOPE_SE
	s_and_saveexec_b32 s33, s9
	s_cbranch_execz .LBB73_9
; %bb.31:                               ;   in Loop: Header=BB73_10 Depth=1
	ds_load_b32 v1, v8
	s_and_not1_b32 vcc_lo, exec_lo, s31
	s_add_nc_u64 s[10:11], s[22:23], s[42:43]
	s_wait_alu 0xfffe
	s_cbranch_vccnz .LBB73_8
; %bb.32:                               ;   in Loop: Header=BB73_10 Depth=1
	global_load_b32 v2, v8, s[10:11]
	s_wait_loadcnt_dscnt 0x0
	v_fmac_f32_e32 v1, s20, v2
	s_branch .LBB73_8
.LBB73_33:
	s_mov_b32 s10, 0
.LBB73_34:
	s_wait_alu 0xfffe
	s_and_b32 vcc_lo, exec_lo, s10
	s_wait_alu 0xfffe
	s_cbranch_vccz .LBB73_69
; %bb.35:
	s_load_b64 s[6:7], s[0:1], 0x10
	v_mov_b32_e32 v7, 0
	v_or_b32_e32 v1, s21, v0
	s_sub_co_i32 s8, s36, s21
	s_mov_b32 s2, exec_lo
	s_wait_kmcnt 0x0
	s_add_nc_u64 s[4:5], s[6:7], s[38:39]
	global_load_b32 v6, v7, s[4:5]
	v_cmpx_eq_u32_e32 0, v1
	s_cbranch_execz .LBB73_39
; %bb.36:
	v_mov_b32_e32 v1, 0
	s_add_nc_u64 s[10:11], s[22:23], s[34:35]
	s_mov_b32 s3, exec_lo
	s_delay_alu instid0(SALU_CYCLE_1)
	v_mbcnt_lo_u32_b32 v3, s3, 0
	global_load_b32 v2, v1, s[10:11]
	s_add_f32 s10, s20, -1.0
	s_mov_b32 s11, exec_lo
	s_wait_loadcnt 0x0
	s_wait_storecnt 0x0
	global_inv scope:SCOPE_DEV
	v_cmpx_eq_u32_e32 0, v3
	s_cbranch_execz .LBB73_38
; %bb.37:
	s_bcnt1_i32_b32 s3, s3
	s_ashr_i32 s9, s8, 31
	s_wait_alu 0xfffe
	s_and_b32 s3, s3, 1
	s_lshl_b64 s[36:37], s[8:9], 2
	s_wait_alu 0xfffe
	v_mov_b32_e32 v3, s3
	s_add_nc_u64 s[36:37], s[6:7], s[36:37]
	global_atomic_xor_b32 v1, v3, s[36:37] scope:SCOPE_DEV
.LBB73_38:
	s_wait_alu 0xfffe
	s_or_b32 exec_lo, exec_lo, s11
	v_mul_f32_e32 v7, s10, v2
.LBB73_39:
	s_or_b32 exec_lo, exec_lo, s2
	s_load_b32 s2, s[26:27], 0x4
	s_mul_i32 s3, s21, 0xc00
	s_sub_co_i32 s9, s29, s30
	s_wait_alu 0xfffe
	s_add_co_i32 s9, s9, s3
	s_mov_b32 s3, exec_lo
	v_add_nc_u32_e32 v1, s9, v0
	s_wait_kmcnt 0x0
	s_sub_co_i32 s2, s2, s30
	s_wait_alu 0xfffe
	s_delay_alu instid0(VALU_DEP_1)
	v_cmpx_gt_i32_e64 s2, v1
	s_cbranch_execz .LBB73_43
; %bb.40:
	v_ashrrev_i32_e32 v2, 31, v1
	s_addk_co_i32 s9, 0xc00
	s_mov_b32 s10, 0
	s_wait_alu 0xfffe
	s_min_i32 s9, s9, s2
	v_lshlrev_b64_e32 v[3:4], 1, v[1:2]
	v_lshlrev_b64_e32 v[8:9], 2, v[1:2]
	s_delay_alu instid0(VALU_DEP_2) | instskip(SKIP_1) | instid1(VALU_DEP_3)
	v_add_co_u32 v2, vcc_lo, s16, v3
	s_wait_alu 0xfffd
	v_add_co_ci_u32_e64 v3, null, s17, v4, vcc_lo
	s_delay_alu instid0(VALU_DEP_3)
	v_add_co_u32 v4, vcc_lo, s14, v8
	s_wait_alu 0xfffd
	v_add_co_ci_u32_e64 v5, null, s15, v9, vcc_lo
.LBB73_41:                              ; =>This Inner Loop Header: Depth=1
	global_load_b32 v8, v[4:5], off
	global_load_u16 v10, v[2:3], off
	v_add_nc_u32_e32 v1, 0x100, v1
	s_wait_alu 0xfffe
	s_delay_alu instid0(VALU_DEP_1) | instskip(SKIP_3) | instid1(VALU_DEP_1)
	v_cmp_le_i32_e64 s2, s9, v1
	s_or_b32 s10, s2, s10
	s_wait_loadcnt 0x1
	v_subrev_nc_u32_e32 v8, s30, v8
	v_ashrrev_i32_e32 v9, 31, v8
	s_delay_alu instid0(VALU_DEP_1) | instskip(NEXT) | instid1(VALU_DEP_1)
	v_lshlrev_b64_e32 v[8:9], 1, v[8:9]
	v_add_co_u32 v8, vcc_lo, s18, v8
	s_wait_alu 0xfffd
	s_delay_alu instid0(VALU_DEP_2)
	v_add_co_ci_u32_e64 v9, null, s19, v9, vcc_lo
	v_add_co_u32 v2, vcc_lo, 0x200, v2
	s_wait_alu 0xfffd
	v_add_co_ci_u32_e64 v3, null, 0, v3, vcc_lo
	global_load_u16 v8, v[8:9], off
	s_wait_loadcnt 0x1
	v_lshlrev_b32_e32 v9, 16, v10
	v_add_co_u32 v4, vcc_lo, 0x400, v4
	s_wait_alu 0xfffd
	v_add_co_ci_u32_e64 v5, null, 0, v5, vcc_lo
	s_wait_loadcnt 0x0
	v_dual_mul_f32 v9, s28, v9 :: v_dual_lshlrev_b32 v8, 16, v8
	s_delay_alu instid0(VALU_DEP_1)
	v_fmac_f32_e32 v7, v9, v8
	s_wait_alu 0xfffe
	s_and_not1_b32 exec_lo, exec_lo, s10
	s_cbranch_execnz .LBB73_41
; %bb.42:
	s_or_b32 exec_lo, exec_lo, s10
.LBB73_43:
	s_delay_alu instid0(SALU_CYCLE_1)
	s_or_b32 exec_lo, exec_lo, s3
	v_lshlrev_b32_e32 v1, 2, v0
	s_mov_b32 s2, exec_lo
	ds_store_b32 v1, v7
	s_wait_storecnt 0x0
	s_wait_loadcnt_dscnt 0x0
	s_barrier_signal -1
	s_barrier_wait -1
	global_inv scope:SCOPE_SE
	v_cmpx_gt_u32_e32 0x80, v0
	s_cbranch_execz .LBB73_45
; %bb.44:
	ds_load_2addr_stride64_b32 v[2:3], v1 offset1:2
	s_wait_dscnt 0x0
	v_add_f32_e32 v2, v2, v3
	ds_store_b32 v1, v2
.LBB73_45:
	s_wait_alu 0xfffe
	s_or_b32 exec_lo, exec_lo, s2
	s_delay_alu instid0(SALU_CYCLE_1)
	s_mov_b32 s2, exec_lo
	s_wait_loadcnt_dscnt 0x0
	s_barrier_signal -1
	s_barrier_wait -1
	global_inv scope:SCOPE_SE
	v_cmpx_gt_u32_e32 64, v0
	s_cbranch_execz .LBB73_47
; %bb.46:
	ds_load_2addr_stride64_b32 v[2:3], v1 offset1:1
	s_wait_dscnt 0x0
	v_add_f32_e32 v2, v2, v3
	ds_store_b32 v1, v2
.LBB73_47:
	s_wait_alu 0xfffe
	s_or_b32 exec_lo, exec_lo, s2
	s_delay_alu instid0(SALU_CYCLE_1)
	s_mov_b32 s2, exec_lo
	s_wait_loadcnt_dscnt 0x0
	s_barrier_signal -1
	s_barrier_wait -1
	global_inv scope:SCOPE_SE
	v_cmpx_gt_u32_e32 32, v0
	s_cbranch_execz .LBB73_49
; %bb.48:
	ds_load_2addr_b32 v[2:3], v1 offset1:32
	s_wait_dscnt 0x0
	v_add_f32_e32 v2, v2, v3
	ds_store_b32 v1, v2
.LBB73_49:
	s_wait_alu 0xfffe
	s_or_b32 exec_lo, exec_lo, s2
	s_delay_alu instid0(SALU_CYCLE_1)
	s_mov_b32 s2, exec_lo
	s_wait_loadcnt_dscnt 0x0
	s_barrier_signal -1
	s_barrier_wait -1
	global_inv scope:SCOPE_SE
	v_cmpx_gt_u32_e32 16, v0
	s_cbranch_execz .LBB73_51
; %bb.50:
	ds_load_2addr_b32 v[2:3], v1 offset1:16
	s_wait_dscnt 0x0
	v_add_f32_e32 v2, v2, v3
	ds_store_b32 v1, v2
.LBB73_51:
	;; [unrolled: 16-line block ×5, first 2 shown]
	s_wait_alu 0xfffe
	s_or_b32 exec_lo, exec_lo, s2
	v_cmp_eq_u32_e32 vcc_lo, 0, v0
	s_wait_loadcnt_dscnt 0x0
	s_barrier_signal -1
	s_barrier_wait -1
	global_inv scope:SCOPE_SE
	s_and_saveexec_b32 s2, vcc_lo
	s_cbranch_execz .LBB73_59
; %bb.58:
	v_mov_b32_e32 v3, 0
	ds_load_b64 v[1:2], v3
	s_wait_dscnt 0x0
	v_add_f32_e32 v1, v1, v2
	ds_store_b32 v3, v1
.LBB73_59:
	s_wait_alu 0xfffe
	s_or_b32 exec_lo, exec_lo, s2
	s_wait_loadcnt_dscnt 0x0
	s_barrier_signal -1
	s_barrier_wait -1
	global_inv scope:SCOPE_SE
	s_and_saveexec_b32 s10, vcc_lo
	s_cbranch_execz .LBB73_68
; %bb.60:
	s_cmp_eq_u32 s21, 0
	s_cbranch_scc1 .LBB73_66
; %bb.61:
	s_ashr_i32 s9, s8, 31
	v_mov_b32_e32 v1, 0
	s_wait_alu 0xfffe
	s_lshl_b64 s[2:3], s[8:9], 2
	s_wait_alu 0xfffe
	s_add_nc_u64 s[2:3], s[6:7], s[2:3]
	s_branch .LBB73_63
.LBB73_62:                              ;   in Loop: Header=BB73_63 Depth=1
	s_wait_alu 0xfffe
	s_or_b32 exec_lo, exec_lo, s6
	s_wait_loadcnt 0x0
	v_readfirstlane_b32 s6, v2
	s_wait_alu 0xf1ff
	s_delay_alu instid0(VALU_DEP_1)
	v_cmp_eq_u32_e32 vcc_lo, s6, v6
	s_cbranch_vccz .LBB73_65
.LBB73_63:                              ; =>This Inner Loop Header: Depth=1
	v_mbcnt_lo_u32_b32 v2, exec_lo, 0
	s_delay_alu instid0(VALU_DEP_1)
	v_cmp_eq_u32_e32 vcc_lo, 0, v2
                                        ; implicit-def: $vgpr2
	s_and_saveexec_b32 s6, vcc_lo
	s_cbranch_execz .LBB73_62
; %bb.64:                               ;   in Loop: Header=BB73_63 Depth=1
	global_load_b32 v2, v1, s[2:3] scope:SCOPE_DEV
	s_branch .LBB73_62
.LBB73_65:
	v_mov_b32_e32 v1, 0
	global_load_u16 v2, v1, s[4:5]
	s_wait_loadcnt 0x0
	v_xor_b32_e32 v2, 1, v2
	global_store_b16 v1, v2, s[4:5]
.LBB73_66:
	s_mov_b32 s2, exec_lo
	s_wait_alu 0xfffe
	v_mbcnt_lo_u32_b32 v1, s2, 0
	s_delay_alu instid0(VALU_DEP_1)
	v_cmp_eq_u32_e32 vcc_lo, 0, v1
	s_and_b32 s3, exec_lo, vcc_lo
	s_wait_alu 0xfffe
	s_mov_b32 exec_lo, s3
	s_cbranch_execz .LBB73_68
; %bb.67:
	s_bcnt1_i32_b32 s2, s2
	s_wait_alu 0xfffe
	v_cvt_f32_ubyte0_e32 v3, s2
	v_mov_b32_e32 v1, 0
	s_add_nc_u64 s[2:3], s[22:23], s[34:35]
	ds_load_b32 v2, v1
	s_wait_dscnt 0x0
	v_mul_f32_e32 v2, v2, v3
	global_atomic_add_f32 v1, v2, s[2:3] scope:SCOPE_DEV
.LBB73_68:
	s_wait_alu 0xfffe
	s_or_b32 exec_lo, exec_lo, s10
.LBB73_69:
	s_mov_b32 s2, 0
.LBB73_70:
	s_wait_alu 0xfffe
	s_and_not1_b32 vcc_lo, exec_lo, s2
	s_wait_alu 0xfffe
	s_cbranch_vccnz .LBB73_114
; %bb.71:
	s_load_b32 s0, s[0:1], 0x4
	v_subrev_nc_u32_e32 v1, s30, v0
	s_wait_kmcnt 0x0
	s_delay_alu instid0(VALU_DEP_1) | instskip(NEXT) | instid1(VALU_DEP_1)
	v_add_nc_u32_e32 v1, s29, v1
	v_add_nc_u32_e32 v2, 0x300, v1
	s_delay_alu instid0(VALU_DEP_1)
	v_cmp_le_i32_e32 vcc_lo, s0, v2
	s_and_saveexec_b32 s0, vcc_lo
	s_wait_alu 0xfffe
	s_xor_b32 s0, exec_lo, s0
	s_cbranch_execz .LBB73_76
; %bb.72:
	s_ashr_i32 s3, s25, 31
	s_mov_b32 s2, s25
	s_wait_alu 0xfffe
	s_lshl_b64 s[2:3], s[2:3], 2
	s_wait_alu 0xfffe
	s_add_nc_u64 s[2:3], s[12:13], s[2:3]
	s_load_b32 s1, s[2:3], 0x0
	s_mov_b32 s2, exec_lo
	s_wait_kmcnt 0x0
	s_sub_co_i32 s1, s1, s30
	s_wait_alu 0xfffe
	v_cmpx_gt_i32_e64 s1, v1
	s_cbranch_execz .LBB73_75
; %bb.73:
	v_lshlrev_b32_e32 v3, 2, v0
	s_mov_b32 s3, 0
.LBB73_74:                              ; =>This Inner Loop Header: Depth=1
	v_ashrrev_i32_e32 v2, 31, v1
	s_delay_alu instid0(VALU_DEP_1) | instskip(NEXT) | instid1(VALU_DEP_1)
	v_lshlrev_b64_e32 v[4:5], 2, v[1:2]
	v_add_co_u32 v4, vcc_lo, s14, v4
	s_wait_alu 0xfffd
	s_delay_alu instid0(VALU_DEP_2) | instskip(SKIP_3) | instid1(VALU_DEP_2)
	v_add_co_ci_u32_e64 v5, null, s15, v5, vcc_lo
	global_load_b32 v6, v[4:5], off
	v_lshlrev_b64_e32 v[4:5], 1, v[1:2]
	v_add_nc_u32_e32 v1, 0x100, v1
	v_add_co_u32 v4, vcc_lo, s16, v4
	s_wait_alu 0xfffd
	s_delay_alu instid0(VALU_DEP_3) | instskip(SKIP_3) | instid1(VALU_DEP_1)
	v_add_co_ci_u32_e64 v5, null, s17, v5, vcc_lo
	global_load_u16 v2, v[4:5], off
	s_wait_loadcnt 0x1
	v_subrev_nc_u32_e32 v6, s30, v6
	v_ashrrev_i32_e32 v7, 31, v6
	s_delay_alu instid0(VALU_DEP_1) | instskip(SKIP_2) | instid1(VALU_DEP_2)
	v_lshlrev_b64_e32 v[6:7], 1, v[6:7]
	s_wait_loadcnt 0x0
	v_lshlrev_b32_e32 v2, 16, v2
	v_add_co_u32 v4, vcc_lo, s18, v6
	s_wait_alu 0xfffd
	s_delay_alu instid0(VALU_DEP_3) | instskip(NEXT) | instid1(VALU_DEP_3)
	v_add_co_ci_u32_e64 v5, null, s19, v7, vcc_lo
	v_mul_f32_e32 v2, s28, v2
	v_cmp_le_i32_e32 vcc_lo, s1, v1
	global_load_u16 v4, v[4:5], off
	s_wait_alu 0xfffe
	s_or_b32 s3, vcc_lo, s3
	s_wait_loadcnt 0x0
	v_lshlrev_b32_e32 v4, 16, v4
	s_delay_alu instid0(VALU_DEP_1)
	v_mul_f32_e32 v2, v2, v4
	ds_store_b32 v3, v2
	v_add_nc_u32_e32 v3, 0x400, v3
	s_wait_alu 0xfffe
	s_and_not1_b32 exec_lo, exec_lo, s3
	s_cbranch_execnz .LBB73_74
.LBB73_75:
	s_or_b32 exec_lo, exec_lo, s2
                                        ; implicit-def: $vgpr1
.LBB73_76:
	s_wait_alu 0xfffe
	s_or_saveexec_b32 s0, s0
	v_lshlrev_b32_e32 v6, 2, v0
	s_wait_alu 0xfffe
	s_xor_b32 exec_lo, exec_lo, s0
	s_cbranch_execz .LBB73_78
; %bb.77:
	v_ashrrev_i32_e32 v2, 31, v1
	s_delay_alu instid0(VALU_DEP_1) | instskip(SKIP_1) | instid1(VALU_DEP_2)
	v_lshlrev_b64_e32 v[3:4], 2, v[1:2]
	v_lshlrev_b64_e32 v[1:2], 1, v[1:2]
	v_add_co_u32 v3, vcc_lo, s14, v3
	s_wait_alu 0xfffd
	s_delay_alu instid0(VALU_DEP_3) | instskip(NEXT) | instid1(VALU_DEP_3)
	v_add_co_ci_u32_e64 v4, null, s15, v4, vcc_lo
	v_add_co_u32 v1, vcc_lo, s16, v1
	s_wait_alu 0xfffd
	v_add_co_ci_u32_e64 v2, null, s17, v2, vcc_lo
	s_clause 0x3
	global_load_b32 v5, v[3:4], off
	global_load_b32 v7, v[3:4], off offset:1024
	global_load_b32 v8, v[3:4], off offset:2048
	;; [unrolled: 1-line block ×3, first 2 shown]
	s_wait_loadcnt 0x3
	v_subrev_nc_u32_e32 v3, s30, v5
	s_wait_loadcnt 0x2
	v_subrev_nc_u32_e32 v7, s30, v7
	;; [unrolled: 2-line block ×4, first 2 shown]
	s_clause 0x3
	global_load_u16 v5, v[1:2], off
	global_load_u16 v13, v[1:2], off offset:512
	global_load_u16 v14, v[1:2], off offset:1024
	;; [unrolled: 1-line block ×3, first 2 shown]
	v_ashrrev_i32_e32 v4, 31, v3
	v_ashrrev_i32_e32 v8, 31, v7
	;; [unrolled: 1-line block ×4, first 2 shown]
	s_delay_alu instid0(VALU_DEP_4) | instskip(NEXT) | instid1(VALU_DEP_4)
	v_lshlrev_b64_e32 v[3:4], 1, v[3:4]
	v_lshlrev_b64_e32 v[1:2], 1, v[7:8]
	s_delay_alu instid0(VALU_DEP_4) | instskip(NEXT) | instid1(VALU_DEP_4)
	v_lshlrev_b64_e32 v[7:8], 1, v[9:10]
	v_lshlrev_b64_e32 v[9:10], 1, v[11:12]
	s_delay_alu instid0(VALU_DEP_4)
	v_add_co_u32 v3, vcc_lo, s18, v3
	s_wait_alu 0xfffd
	v_add_co_ci_u32_e64 v4, null, s19, v4, vcc_lo
	v_add_co_u32 v1, vcc_lo, s18, v1
	s_wait_alu 0xfffd
	v_add_co_ci_u32_e64 v2, null, s19, v2, vcc_lo
	;; [unrolled: 3-line block ×4, first 2 shown]
	s_clause 0x3
	global_load_u16 v3, v[3:4], off
	global_load_u16 v1, v[1:2], off
	global_load_u16 v2, v[7:8], off
	global_load_u16 v4, v[9:10], off
	s_wait_loadcnt 0x5
	v_lshlrev_b32_e32 v8, 16, v14
	s_wait_loadcnt 0x4
	v_lshlrev_b32_e32 v9, 16, v15
	s_delay_alu instid0(VALU_DEP_2) | instskip(NEXT) | instid1(VALU_DEP_2)
	v_dual_mul_f32 v8, s28, v8 :: v_dual_lshlrev_b32 v5, 16, v5
	v_mul_f32_e32 v9, s28, v9
	s_delay_alu instid0(VALU_DEP_2)
	v_mul_f32_e32 v5, s28, v5
	s_wait_loadcnt 0x2
	v_lshlrev_b32_e32 v1, 16, v1
	s_wait_loadcnt 0x1
	v_lshlrev_b32_e32 v2, 16, v2
	v_lshlrev_b32_e32 v7, 16, v13
	s_wait_loadcnt 0x0
	v_lshlrev_b32_e32 v4, 16, v4
	s_delay_alu instid0(VALU_DEP_3) | instskip(NEXT) | instid1(VALU_DEP_2)
	v_dual_mul_f32 v2, v8, v2 :: v_dual_lshlrev_b32 v3, 16, v3
	v_dual_mul_f32 v7, s28, v7 :: v_dual_mul_f32 v4, v9, v4
	s_delay_alu instid0(VALU_DEP_2) | instskip(NEXT) | instid1(VALU_DEP_2)
	v_mul_f32_e32 v3, v5, v3
	v_mul_f32_e32 v1, v7, v1
	ds_store_2addr_stride64_b32 v6, v3, v1 offset1:4
	ds_store_2addr_stride64_b32 v6, v2, v4 offset0:8 offset1:12
.LBB73_78:
	s_or_b32 exec_lo, exec_lo, s0
	s_cmp_lt_i32 s21, 2
	s_mov_b32 s0, -1
	s_wait_storecnt 0x0
	s_wait_loadcnt_dscnt 0x0
	s_barrier_signal -1
	s_barrier_wait -1
	global_inv scope:SCOPE_SE
	s_cbranch_scc0 .LBB73_89
; %bb.79:
	v_add_nc_u32_e32 v1, s24, v0
	s_mov_b32 s1, exec_lo
	s_delay_alu instid0(VALU_DEP_1)
	v_cmpx_gt_i32_e64 s25, v1
	s_cbranch_execz .LBB73_88
; %bb.80:
	s_cmp_neq_f32 s20, 0
	s_mov_b32 s3, 0
	s_cselect_b32 s2, -1, 0
	s_lshl_b32 s0, s29, 2
	s_wait_alu 0xfffe
	s_sub_co_i32 s4, 0, s0
	s_branch .LBB73_82
.LBB73_81:                              ;   in Loop: Header=BB73_82 Depth=1
	v_add_nc_u32_e32 v1, 0x100, v1
	v_add_co_u32 v2, s0, s22, v2
	s_wait_alu 0xf1ff
	v_add_co_ci_u32_e64 v3, null, s23, v3, s0
	s_delay_alu instid0(VALU_DEP_3)
	v_cmp_le_i32_e32 vcc_lo, s25, v1
	global_store_b32 v[2:3], v7, off
	s_or_b32 s3, vcc_lo, s3
	s_wait_alu 0xfffe
	s_and_not1_b32 exec_lo, exec_lo, s3
	s_cbranch_execz .LBB73_88
.LBB73_82:                              ; =>This Loop Header: Depth=1
                                        ;     Child Loop BB73_84 Depth 2
	v_ashrrev_i32_e32 v2, 31, v1
	v_mov_b32_e32 v7, 0
	s_mov_b32 s0, exec_lo
	s_delay_alu instid0(VALU_DEP_2) | instskip(NEXT) | instid1(VALU_DEP_1)
	v_lshlrev_b64_e32 v[2:3], 2, v[1:2]
	v_add_co_u32 v4, vcc_lo, s12, v2
	s_wait_alu 0xfffd
	s_delay_alu instid0(VALU_DEP_2)
	v_add_co_ci_u32_e64 v5, null, s13, v3, vcc_lo
	global_load_b64 v[4:5], v[4:5], off
	s_wait_loadcnt 0x0
	v_cmpx_lt_i32_e64 v4, v5
	s_cbranch_execz .LBB73_86
; %bb.83:                               ;   in Loop: Header=BB73_82 Depth=1
	v_subrev_nc_u32_e32 v5, s29, v5
	v_subrev_nc_u32_e32 v8, s29, v4
	v_lshl_add_u32 v4, v4, 2, s4
	v_mov_b32_e32 v7, 0
	s_mov_b32 s5, 0
.LBB73_84:                              ;   Parent Loop BB73_82 Depth=1
                                        ; =>  This Inner Loop Header: Depth=2
	ds_load_b32 v9, v4
	v_add_nc_u32_e32 v8, 1, v8
	s_wait_dscnt 0x0
	v_dual_add_f32 v7, v7, v9 :: v_dual_add_nc_u32 v4, 4, v4
	s_delay_alu instid0(VALU_DEP_2)
	v_cmp_ge_i32_e32 vcc_lo, v8, v5
	s_wait_alu 0xfffe
	s_or_b32 s5, vcc_lo, s5
	s_wait_alu 0xfffe
	s_and_not1_b32 exec_lo, exec_lo, s5
	s_cbranch_execnz .LBB73_84
; %bb.85:                               ;   in Loop: Header=BB73_82 Depth=1
	s_or_b32 exec_lo, exec_lo, s5
.LBB73_86:                              ;   in Loop: Header=BB73_82 Depth=1
	s_wait_alu 0xfffe
	s_or_b32 exec_lo, exec_lo, s0
	s_delay_alu instid0(SALU_CYCLE_1)
	s_and_b32 vcc_lo, exec_lo, s2
	s_wait_alu 0xfffe
	s_cbranch_vccz .LBB73_81
; %bb.87:                               ;   in Loop: Header=BB73_82 Depth=1
	v_add_co_u32 v4, vcc_lo, s22, v2
	s_wait_alu 0xfffd
	v_add_co_ci_u32_e64 v5, null, s23, v3, vcc_lo
	global_load_b32 v4, v[4:5], off
	s_wait_loadcnt 0x0
	v_fmac_f32_e32 v7, s20, v4
	s_branch .LBB73_81
.LBB73_88:
	s_wait_alu 0xfffe
	s_or_b32 exec_lo, exec_lo, s1
	s_mov_b32 s0, 0
.LBB73_89:
	s_wait_alu 0xfffe
	s_and_not1_b32 vcc_lo, exec_lo, s0
	s_wait_alu 0xfffe
	s_cbranch_vccnz .LBB73_114
; %bb.90:
	s_clz_i32_u32 s0, s21
	s_mov_b32 s1, exec_lo
	s_wait_alu 0xfffe
	s_xor_b32 s0, s0, 31
	v_mov_b32_e32 v2, 0
	s_wait_alu 0xfffe
	v_lshrrev_b32_e32 v3, s0, v0
	s_add_co_i32 s0, s21, -1
	s_wait_alu 0xfffe
	v_and_b32_e32 v0, s0, v0
	s_delay_alu instid0(VALU_DEP_2) | instskip(NEXT) | instid1(VALU_DEP_1)
	v_add_nc_u32_e32 v1, s24, v3
	v_cmp_le_i32_e32 vcc_lo, s25, v1
	v_cmpx_gt_i32_e64 s25, v1
	s_cbranch_execz .LBB73_96
; %bb.91:
	v_lshlrev_b32_e32 v2, 2, v3
	v_subrev_nc_u32_e32 v4, s29, v0
	s_mov_b32 s2, exec_lo
	global_load_b64 v[2:3], v2, s[26:27]
	s_wait_loadcnt 0x0
	v_subrev_nc_u32_e32 v3, s29, v3
	v_add_nc_u32_e32 v4, v2, v4
	v_mov_b32_e32 v2, 0
	s_delay_alu instid0(VALU_DEP_2)
	v_cmpx_lt_i32_e64 v4, v3
	s_cbranch_execz .LBB73_95
; %bb.92:
	v_dual_mov_b32 v2, 0 :: v_dual_lshlrev_b32 v5, 2, v4
	s_lshl_b32 s4, s21, 2
	s_mov_b32 s3, 0
.LBB73_93:                              ; =>This Inner Loop Header: Depth=1
	ds_load_b32 v7, v5
	v_add_nc_u32_e32 v4, s21, v4
	s_wait_alu 0xfffe
	v_add_nc_u32_e32 v5, s4, v5
	s_delay_alu instid0(VALU_DEP_2)
	v_cmp_ge_i32_e64 s0, v4, v3
	s_or_b32 s3, s0, s3
	s_wait_dscnt 0x0
	v_add_f32_e32 v2, v2, v7
	s_wait_alu 0xfffe
	s_and_not1_b32 exec_lo, exec_lo, s3
	s_cbranch_execnz .LBB73_93
; %bb.94:
	s_or_b32 exec_lo, exec_lo, s3
.LBB73_95:
	s_wait_alu 0xfffe
	s_or_b32 exec_lo, exec_lo, s2
.LBB73_96:
	s_delay_alu instid0(SALU_CYCLE_1)
	s_or_b32 exec_lo, exec_lo, s1
	s_cmp_lt_u32 s21, 0x81
	s_wait_loadcnt 0x0
	s_wait_storecnt 0x0
	s_barrier_signal -1
	s_barrier_wait -1
	global_inv scope:SCOPE_SE
	ds_store_b32 v6, v2
	s_wait_loadcnt_dscnt 0x0
	s_barrier_signal -1
	s_barrier_wait -1
	global_inv scope:SCOPE_SE
	s_cbranch_scc1 .LBB73_98
; %bb.97:
	ds_load_b32 v3, v6 offset:512
	s_wait_loadcnt_dscnt 0x0
	s_barrier_signal -1
	s_barrier_wait -1
	global_inv scope:SCOPE_SE
	v_add_f32_e32 v2, v2, v3
	ds_store_b32 v6, v2
.LBB73_98:
	s_cmp_lt_u32 s21, 0x41
	s_wait_loadcnt_dscnt 0x0
	s_barrier_signal -1
	s_barrier_wait -1
	global_inv scope:SCOPE_SE
	s_cbranch_scc1 .LBB73_100
; %bb.99:
	ds_load_b32 v3, v6 offset:256
	s_wait_loadcnt_dscnt 0x0
	s_barrier_signal -1
	s_barrier_wait -1
	global_inv scope:SCOPE_SE
	v_add_f32_e32 v2, v2, v3
	ds_store_b32 v6, v2
.LBB73_100:
	s_cmp_lt_u32 s21, 33
	;; [unrolled: 15-line block ×5, first 2 shown]
	s_wait_loadcnt_dscnt 0x0
	s_barrier_signal -1
	s_barrier_wait -1
	global_inv scope:SCOPE_SE
	s_cbranch_scc1 .LBB73_108
; %bb.107:
	ds_load_b32 v3, v6 offset:16
	s_wait_loadcnt_dscnt 0x0
	s_barrier_signal -1
	s_barrier_wait -1
	global_inv scope:SCOPE_SE
	v_add_f32_e32 v2, v2, v3
	ds_store_b32 v6, v2
.LBB73_108:
	s_cmp_eq_u32 s21, 2
	s_wait_loadcnt_dscnt 0x0
	s_barrier_signal -1
	s_barrier_wait -1
	global_inv scope:SCOPE_SE
	s_cbranch_scc1 .LBB73_110
; %bb.109:
	ds_load_b32 v3, v6 offset:8
	s_wait_loadcnt_dscnt 0x0
	s_barrier_signal -1
	s_barrier_wait -1
	global_inv scope:SCOPE_SE
	v_add_f32_e32 v2, v2, v3
	ds_store_b32 v6, v2
.LBB73_110:
	s_wait_loadcnt_dscnt 0x0
	s_barrier_signal -1
	s_barrier_wait -1
	global_inv scope:SCOPE_SE
	ds_load_b32 v3, v6 offset:4
	v_cmp_eq_u32_e64 s0, 0, v0
	s_xor_b32 s1, vcc_lo, -1
	s_wait_loadcnt_dscnt 0x0
	s_barrier_signal -1
	s_barrier_wait -1
	s_wait_alu 0xfffe
	s_and_b32 s0, s0, s1
	global_inv scope:SCOPE_SE
	v_add_f32_e32 v3, v2, v3
	ds_store_b32 v6, v3
	s_wait_alu 0xfffe
	s_and_saveexec_b32 s1, s0
	s_cbranch_execz .LBB73_114
; %bb.111:
	v_ashrrev_i32_e32 v2, 31, v1
	s_cmp_eq_f32 s20, 0
	s_delay_alu instid0(VALU_DEP_1)
	v_lshlrev_b64_e32 v[0:1], 2, v[1:2]
	s_cbranch_scc1 .LBB73_113
; %bb.112:
	s_delay_alu instid0(VALU_DEP_1) | instskip(SKIP_1) | instid1(VALU_DEP_2)
	v_add_co_u32 v4, vcc_lo, s22, v0
	s_wait_alu 0xfffd
	v_add_co_ci_u32_e64 v5, null, s23, v1, vcc_lo
	global_load_b32 v2, v[4:5], off
	s_wait_loadcnt 0x0
	v_fmac_f32_e32 v3, s20, v2
.LBB73_113:
	s_delay_alu instid0(VALU_DEP_1) | instskip(SKIP_1) | instid1(VALU_DEP_2)
	v_add_co_u32 v0, vcc_lo, s22, v0
	s_wait_alu 0xfffd
	v_add_co_ci_u32_e64 v1, null, s23, v1, vcc_lo
	global_store_b32 v[0:1], v3, off
.LBB73_114:
	s_endpgm
	.section	.rodata,"a",@progbits
	.p2align	6, 0x0
	.amdhsa_kernel _ZN9rocsparseL22csrmvn_adaptive_kernelIii18rocsparse_bfloat16S1_ffEEvbT_PKS2_PjPKT0_NS_24const_host_device_scalarIT4_EES4_S8_PKT1_PKT2_SB_PT3_21rocsparse_index_base_b
		.amdhsa_group_segment_fixed_size 4096
		.amdhsa_private_segment_fixed_size 0
		.amdhsa_kernarg_size 96
		.amdhsa_user_sgpr_count 2
		.amdhsa_user_sgpr_dispatch_ptr 0
		.amdhsa_user_sgpr_queue_ptr 0
		.amdhsa_user_sgpr_kernarg_segment_ptr 1
		.amdhsa_user_sgpr_dispatch_id 0
		.amdhsa_user_sgpr_private_segment_size 0
		.amdhsa_wavefront_size32 1
		.amdhsa_uses_dynamic_stack 0
		.amdhsa_enable_private_segment 0
		.amdhsa_system_sgpr_workgroup_id_x 1
		.amdhsa_system_sgpr_workgroup_id_y 0
		.amdhsa_system_sgpr_workgroup_id_z 0
		.amdhsa_system_sgpr_workgroup_info 0
		.amdhsa_system_vgpr_workitem_id 0
		.amdhsa_next_free_vgpr 16
		.amdhsa_next_free_sgpr 44
		.amdhsa_reserve_vcc 1
		.amdhsa_float_round_mode_32 0
		.amdhsa_float_round_mode_16_64 0
		.amdhsa_float_denorm_mode_32 3
		.amdhsa_float_denorm_mode_16_64 3
		.amdhsa_fp16_overflow 0
		.amdhsa_workgroup_processor_mode 1
		.amdhsa_memory_ordered 1
		.amdhsa_forward_progress 1
		.amdhsa_inst_pref_size 40
		.amdhsa_round_robin_scheduling 0
		.amdhsa_exception_fp_ieee_invalid_op 0
		.amdhsa_exception_fp_denorm_src 0
		.amdhsa_exception_fp_ieee_div_zero 0
		.amdhsa_exception_fp_ieee_overflow 0
		.amdhsa_exception_fp_ieee_underflow 0
		.amdhsa_exception_fp_ieee_inexact 0
		.amdhsa_exception_int_div_zero 0
	.end_amdhsa_kernel
	.section	.text._ZN9rocsparseL22csrmvn_adaptive_kernelIii18rocsparse_bfloat16S1_ffEEvbT_PKS2_PjPKT0_NS_24const_host_device_scalarIT4_EES4_S8_PKT1_PKT2_SB_PT3_21rocsparse_index_base_b,"axG",@progbits,_ZN9rocsparseL22csrmvn_adaptive_kernelIii18rocsparse_bfloat16S1_ffEEvbT_PKS2_PjPKT0_NS_24const_host_device_scalarIT4_EES4_S8_PKT1_PKT2_SB_PT3_21rocsparse_index_base_b,comdat
.Lfunc_end73:
	.size	_ZN9rocsparseL22csrmvn_adaptive_kernelIii18rocsparse_bfloat16S1_ffEEvbT_PKS2_PjPKT0_NS_24const_host_device_scalarIT4_EES4_S8_PKT1_PKT2_SB_PT3_21rocsparse_index_base_b, .Lfunc_end73-_ZN9rocsparseL22csrmvn_adaptive_kernelIii18rocsparse_bfloat16S1_ffEEvbT_PKS2_PjPKT0_NS_24const_host_device_scalarIT4_EES4_S8_PKT1_PKT2_SB_PT3_21rocsparse_index_base_b
                                        ; -- End function
	.set _ZN9rocsparseL22csrmvn_adaptive_kernelIii18rocsparse_bfloat16S1_ffEEvbT_PKS2_PjPKT0_NS_24const_host_device_scalarIT4_EES4_S8_PKT1_PKT2_SB_PT3_21rocsparse_index_base_b.num_vgpr, 16
	.set _ZN9rocsparseL22csrmvn_adaptive_kernelIii18rocsparse_bfloat16S1_ffEEvbT_PKS2_PjPKT0_NS_24const_host_device_scalarIT4_EES4_S8_PKT1_PKT2_SB_PT3_21rocsparse_index_base_b.num_agpr, 0
	.set _ZN9rocsparseL22csrmvn_adaptive_kernelIii18rocsparse_bfloat16S1_ffEEvbT_PKS2_PjPKT0_NS_24const_host_device_scalarIT4_EES4_S8_PKT1_PKT2_SB_PT3_21rocsparse_index_base_b.numbered_sgpr, 44
	.set _ZN9rocsparseL22csrmvn_adaptive_kernelIii18rocsparse_bfloat16S1_ffEEvbT_PKS2_PjPKT0_NS_24const_host_device_scalarIT4_EES4_S8_PKT1_PKT2_SB_PT3_21rocsparse_index_base_b.num_named_barrier, 0
	.set _ZN9rocsparseL22csrmvn_adaptive_kernelIii18rocsparse_bfloat16S1_ffEEvbT_PKS2_PjPKT0_NS_24const_host_device_scalarIT4_EES4_S8_PKT1_PKT2_SB_PT3_21rocsparse_index_base_b.private_seg_size, 0
	.set _ZN9rocsparseL22csrmvn_adaptive_kernelIii18rocsparse_bfloat16S1_ffEEvbT_PKS2_PjPKT0_NS_24const_host_device_scalarIT4_EES4_S8_PKT1_PKT2_SB_PT3_21rocsparse_index_base_b.uses_vcc, 1
	.set _ZN9rocsparseL22csrmvn_adaptive_kernelIii18rocsparse_bfloat16S1_ffEEvbT_PKS2_PjPKT0_NS_24const_host_device_scalarIT4_EES4_S8_PKT1_PKT2_SB_PT3_21rocsparse_index_base_b.uses_flat_scratch, 0
	.set _ZN9rocsparseL22csrmvn_adaptive_kernelIii18rocsparse_bfloat16S1_ffEEvbT_PKS2_PjPKT0_NS_24const_host_device_scalarIT4_EES4_S8_PKT1_PKT2_SB_PT3_21rocsparse_index_base_b.has_dyn_sized_stack, 0
	.set _ZN9rocsparseL22csrmvn_adaptive_kernelIii18rocsparse_bfloat16S1_ffEEvbT_PKS2_PjPKT0_NS_24const_host_device_scalarIT4_EES4_S8_PKT1_PKT2_SB_PT3_21rocsparse_index_base_b.has_recursion, 0
	.set _ZN9rocsparseL22csrmvn_adaptive_kernelIii18rocsparse_bfloat16S1_ffEEvbT_PKS2_PjPKT0_NS_24const_host_device_scalarIT4_EES4_S8_PKT1_PKT2_SB_PT3_21rocsparse_index_base_b.has_indirect_call, 0
	.section	.AMDGPU.csdata,"",@progbits
; Kernel info:
; codeLenInByte = 5044
; TotalNumSgprs: 46
; NumVgprs: 16
; ScratchSize: 0
; MemoryBound: 0
; FloatMode: 240
; IeeeMode: 1
; LDSByteSize: 4096 bytes/workgroup (compile time only)
; SGPRBlocks: 0
; VGPRBlocks: 1
; NumSGPRsForWavesPerEU: 46
; NumVGPRsForWavesPerEU: 16
; Occupancy: 16
; WaveLimiterHint : 1
; COMPUTE_PGM_RSRC2:SCRATCH_EN: 0
; COMPUTE_PGM_RSRC2:USER_SGPR: 2
; COMPUTE_PGM_RSRC2:TRAP_HANDLER: 0
; COMPUTE_PGM_RSRC2:TGID_X_EN: 1
; COMPUTE_PGM_RSRC2:TGID_Y_EN: 0
; COMPUTE_PGM_RSRC2:TGID_Z_EN: 0
; COMPUTE_PGM_RSRC2:TIDIG_COMP_CNT: 0
	.section	.text._ZN9rocsparseL27csrmvn_symm_adaptive_kernelIii18rocsparse_bfloat16S1_ffEEvbT_S2_PKS2_NS_24const_host_device_scalarIT4_EES4_PKT0_PKT1_PKT2_S7_PT3_21rocsparse_index_base_b,"axG",@progbits,_ZN9rocsparseL27csrmvn_symm_adaptive_kernelIii18rocsparse_bfloat16S1_ffEEvbT_S2_PKS2_NS_24const_host_device_scalarIT4_EES4_PKT0_PKT1_PKT2_S7_PT3_21rocsparse_index_base_b,comdat
	.globl	_ZN9rocsparseL27csrmvn_symm_adaptive_kernelIii18rocsparse_bfloat16S1_ffEEvbT_S2_PKS2_NS_24const_host_device_scalarIT4_EES4_PKT0_PKT1_PKT2_S7_PT3_21rocsparse_index_base_b ; -- Begin function _ZN9rocsparseL27csrmvn_symm_adaptive_kernelIii18rocsparse_bfloat16S1_ffEEvbT_S2_PKS2_NS_24const_host_device_scalarIT4_EES4_PKT0_PKT1_PKT2_S7_PT3_21rocsparse_index_base_b
	.p2align	8
	.type	_ZN9rocsparseL27csrmvn_symm_adaptive_kernelIii18rocsparse_bfloat16S1_ffEEvbT_S2_PKS2_NS_24const_host_device_scalarIT4_EES4_PKT0_PKT1_PKT2_S7_PT3_21rocsparse_index_base_b,@function
_ZN9rocsparseL27csrmvn_symm_adaptive_kernelIii18rocsparse_bfloat16S1_ffEEvbT_S2_PKS2_NS_24const_host_device_scalarIT4_EES4_PKT0_PKT1_PKT2_S7_PT3_21rocsparse_index_base_b: ; @_ZN9rocsparseL27csrmvn_symm_adaptive_kernelIii18rocsparse_bfloat16S1_ffEEvbT_S2_PKS2_NS_24const_host_device_scalarIT4_EES4_PKT0_PKT1_PKT2_S7_PT3_21rocsparse_index_base_b
; %bb.0:
	s_clause 0x2
	s_load_b64 s[20:21], s[0:1], 0x50
	s_load_b64 s[22:23], s[0:1], 0x18
	;; [unrolled: 1-line block ×3, first 2 shown]
	s_wait_kmcnt 0x0
	s_bitcmp1_b32 s21, 0
	s_cselect_b32 s4, -1, 0
	s_delay_alu instid0(SALU_CYCLE_1)
	s_and_b32 vcc_lo, exec_lo, s4
	s_xor_b32 s4, s4, -1
	s_cbranch_vccnz .LBB74_2
; %bb.1:
	s_load_b32 s22, s[22:23], 0x0
.LBB74_2:
	s_and_not1_b32 vcc_lo, exec_lo, s4
	s_cbranch_vccnz .LBB74_4
; %bb.3:
	s_load_b32 s2, s[2:3], 0x0
.LBB74_4:
	s_wait_kmcnt 0x0
	s_cmp_neq_f32 s22, 0
	s_cselect_b32 s3, -1, 0
	s_cmp_neq_f32 s2, 1.0
	s_cselect_b32 s2, -1, 0
	s_delay_alu instid0(SALU_CYCLE_1) | instskip(NEXT) | instid1(SALU_CYCLE_1)
	s_or_b32 s2, s3, s2
	s_and_not1_b32 vcc_lo, exec_lo, s2
	s_cbranch_vccnz .LBB74_126
; %bb.5:
	s_load_b64 s[4:5], s[0:1], 0x10
	s_mov_b32 s2, ttmp9
	s_ashr_i32 s3, ttmp9, 31
	v_lshlrev_b32_e32 v7, 2, v0
	v_mov_b32_e32 v1, 0
	s_lshl_b64 s[2:3], s[2:3], 2
	ds_store_2addr_stride64_b32 v7, v1, v1 offset1:4
	ds_store_2addr_stride64_b32 v7, v1, v1 offset0:8 offset1:12
	s_wait_dscnt 0x0
	s_barrier_signal -1
	s_barrier_wait -1
	global_inv scope:SCOPE_SE
	v_subrev_nc_u32_e32 v6, s20, v0
	s_wait_kmcnt 0x0
	s_add_nc_u64 s[2:3], s[4:5], s[2:3]
	s_load_b64 s[18:19], s[2:3], 0x0
	s_clause 0x1
	s_load_b256 s[8:15], s[0:1], 0x20
	s_load_b64 s[16:17], s[0:1], 0x48
	s_mov_b32 s2, -1
	s_wait_kmcnt 0x0
	s_sub_co_i32 s21, s19, s18
	s_wait_alu 0xfffe
	s_cmp_gt_i32 s21, 2
	s_cbranch_scc1 .LBB74_34
; %bb.6:
	s_cmp_le_i32 s19, s18
	s_cbranch_scc1 .LBB74_24
; %bb.7:
	v_cmp_gt_u32_e64 s2, 16, v0
	v_cmp_gt_u32_e64 s3, 4, v0
	v_cmp_eq_u32_e64 s4, 0, v0
	v_mov_b32_e32 v8, 0
	s_mov_b32 s24, s18
	v_cmp_gt_u32_e32 vcc_lo, 64, v0
	s_branch .LBB74_9
.LBB74_8:                               ;   in Loop: Header=BB74_9 Depth=1
	s_wait_alu 0xfffe
	s_or_b32 exec_lo, exec_lo, s6
	s_add_co_i32 s24, s24, 1
	s_delay_alu instid0(SALU_CYCLE_1)
	s_cmp_ge_i32 s24, s19
	s_cbranch_scc1 .LBB74_24
.LBB74_9:                               ; =>This Loop Header: Depth=1
                                        ;     Child Loop BB74_11 Depth 2
	s_ashr_i32 s25, s24, 31
	v_mov_b32_e32 v9, 0
	s_lshl_b64 s[26:27], s[24:25], 2
	s_delay_alu instid0(SALU_CYCLE_1)
	s_add_nc_u64 s[6:7], s[8:9], s[26:27]
	s_load_b64 s[6:7], s[6:7], 0x0
	s_wait_kmcnt 0x0
	v_add_nc_u32_e32 v1, s6, v6
	s_sub_co_i32 s23, s7, s20
	s_mov_b32 s7, exec_lo
	s_wait_alu 0xfffe
	s_delay_alu instid0(VALU_DEP_1)
	v_cmpx_gt_i32_e64 s23, v1
	s_cbranch_execz .LBB74_13
; %bb.10:                               ;   in Loop: Header=BB74_9 Depth=1
	v_ashrrev_i32_e32 v2, 31, v1
	s_mov_b32 s25, 0
	s_delay_alu instid0(VALU_DEP_1) | instskip(SKIP_1) | instid1(VALU_DEP_2)
	v_lshlrev_b64_e32 v[3:4], 2, v[1:2]
	v_lshlrev_b64_e32 v[9:10], 1, v[1:2]
	v_add_co_u32 v2, s5, s10, v3
	s_wait_alu 0xf1ff
	s_delay_alu instid0(VALU_DEP_3) | instskip(NEXT) | instid1(VALU_DEP_3)
	v_add_co_ci_u32_e64 v3, null, s11, v4, s5
	v_add_co_u32 v4, s5, s12, v9
	s_wait_alu 0xf1ff
	v_add_co_ci_u32_e64 v5, null, s13, v10, s5
	v_mov_b32_e32 v9, 0
.LBB74_11:                              ;   Parent Loop BB74_9 Depth=1
                                        ; =>  This Inner Loop Header: Depth=2
	global_load_b32 v10, v[2:3], off
	v_add_nc_u32_e32 v1, 0x100, v1
	s_delay_alu instid0(VALU_DEP_1) | instskip(SKIP_3) | instid1(VALU_DEP_1)
	v_cmp_le_i32_e64 s6, s23, v1
	s_or_b32 s25, s6, s25
	s_wait_loadcnt 0x0
	v_subrev_nc_u32_e32 v10, s20, v10
	v_ashrrev_i32_e32 v11, 31, v10
	s_delay_alu instid0(VALU_DEP_1) | instskip(NEXT) | instid1(VALU_DEP_1)
	v_lshlrev_b64_e32 v[10:11], 1, v[10:11]
	v_add_co_u32 v10, s5, s14, v10
	s_wait_alu 0xf1ff
	s_delay_alu instid0(VALU_DEP_2)
	v_add_co_ci_u32_e64 v11, null, s15, v11, s5
	v_add_co_u32 v2, s5, 0x400, v2
	global_load_u16 v12, v[4:5], off
	global_load_u16 v10, v[10:11], off
	s_wait_alu 0xf1ff
	v_add_co_ci_u32_e64 v3, null, 0, v3, s5
	v_add_co_u32 v4, s5, 0x200, v4
	s_wait_alu 0xf1ff
	v_add_co_ci_u32_e64 v5, null, 0, v5, s5
	s_wait_loadcnt 0x1
	v_lshlrev_b32_e32 v11, 16, v12
	s_wait_loadcnt 0x0
	v_lshlrev_b32_e32 v10, 16, v10
	s_delay_alu instid0(VALU_DEP_1)
	v_fmac_f32_e32 v9, v11, v10
	s_and_not1_b32 exec_lo, exec_lo, s25
	s_cbranch_execnz .LBB74_11
; %bb.12:                               ;   in Loop: Header=BB74_9 Depth=1
	s_or_b32 exec_lo, exec_lo, s25
.LBB74_13:                              ;   in Loop: Header=BB74_9 Depth=1
	s_wait_alu 0xfffe
	s_or_b32 exec_lo, exec_lo, s7
	ds_store_b32 v7, v9
	s_wait_loadcnt_dscnt 0x0
	s_barrier_signal -1
	s_barrier_wait -1
	global_inv scope:SCOPE_SE
	ds_load_2addr_stride64_b32 v[1:2], v7 offset1:4
	ds_load_2addr_stride64_b32 v[3:4], v7 offset0:8 offset1:12
	s_wait_dscnt 0x0
	v_add_f32_e32 v2, v2, v3
	s_delay_alu instid0(VALU_DEP_1) | instskip(NEXT) | instid1(VALU_DEP_1)
	v_add_f32_e32 v2, v2, v4
	v_add_f32_e32 v1, v1, v2
	ds_store_b32 v7, v1
	s_wait_loadcnt_dscnt 0x0
	s_barrier_signal -1
	s_barrier_wait -1
	global_inv scope:SCOPE_SE
	s_and_saveexec_b32 s5, vcc_lo
	s_cbranch_execz .LBB74_15
; %bb.14:                               ;   in Loop: Header=BB74_9 Depth=1
	ds_load_2addr_stride64_b32 v[1:2], v7 offset1:1
	ds_load_2addr_stride64_b32 v[3:4], v7 offset0:2 offset1:3
	s_wait_dscnt 0x0
	v_add_f32_e32 v2, v2, v3
	s_delay_alu instid0(VALU_DEP_1) | instskip(NEXT) | instid1(VALU_DEP_1)
	v_add_f32_e32 v2, v2, v4
	v_add_f32_e32 v1, v1, v2
	ds_store_b32 v7, v1
.LBB74_15:                              ;   in Loop: Header=BB74_9 Depth=1
	s_wait_alu 0xfffe
	s_or_b32 exec_lo, exec_lo, s5
	s_wait_loadcnt_dscnt 0x0
	s_barrier_signal -1
	s_barrier_wait -1
	global_inv scope:SCOPE_SE
	s_and_saveexec_b32 s5, s2
	s_cbranch_execz .LBB74_17
; %bb.16:                               ;   in Loop: Header=BB74_9 Depth=1
	ds_load_2addr_b32 v[1:2], v7 offset1:16
	ds_load_2addr_b32 v[3:4], v7 offset0:32 offset1:48
	s_wait_dscnt 0x0
	v_add_f32_e32 v2, v2, v3
	s_delay_alu instid0(VALU_DEP_1) | instskip(NEXT) | instid1(VALU_DEP_1)
	v_add_f32_e32 v2, v2, v4
	v_add_f32_e32 v1, v1, v2
	ds_store_b32 v7, v1
.LBB74_17:                              ;   in Loop: Header=BB74_9 Depth=1
	s_wait_alu 0xfffe
	s_or_b32 exec_lo, exec_lo, s5
	s_wait_loadcnt_dscnt 0x0
	s_barrier_signal -1
	s_barrier_wait -1
	global_inv scope:SCOPE_SE
	s_and_saveexec_b32 s5, s3
	s_cbranch_execz .LBB74_19
; %bb.18:                               ;   in Loop: Header=BB74_9 Depth=1
	ds_load_2addr_b32 v[1:2], v7 offset1:4
	ds_load_2addr_b32 v[3:4], v7 offset0:8 offset1:12
	s_wait_dscnt 0x0
	v_add_f32_e32 v2, v2, v3
	s_delay_alu instid0(VALU_DEP_1) | instskip(NEXT) | instid1(VALU_DEP_1)
	v_add_f32_e32 v2, v2, v4
	v_add_f32_e32 v1, v1, v2
	ds_store_b32 v7, v1
.LBB74_19:                              ;   in Loop: Header=BB74_9 Depth=1
	s_wait_alu 0xfffe
	s_or_b32 exec_lo, exec_lo, s5
	s_wait_loadcnt_dscnt 0x0
	s_barrier_signal -1
	s_barrier_wait -1
	global_inv scope:SCOPE_SE
	s_and_saveexec_b32 s5, s4
	s_cbranch_execz .LBB74_21
; %bb.20:                               ;   in Loop: Header=BB74_9 Depth=1
	ds_load_2addr_b32 v[1:2], v8 offset0:1 offset1:2
	ds_load_b32 v3, v8 offset:12
	ds_load_b32 v4, v7
	s_wait_dscnt 0x2
	v_add_f32_e32 v1, v1, v2
	s_wait_dscnt 0x1
	s_delay_alu instid0(VALU_DEP_1) | instskip(SKIP_1) | instid1(VALU_DEP_1)
	v_add_f32_e32 v1, v1, v3
	s_wait_dscnt 0x0
	v_add_f32_e32 v1, v4, v1
	ds_store_b32 v7, v1
.LBB74_21:                              ;   in Loop: Header=BB74_9 Depth=1
	s_wait_alu 0xfffe
	s_or_b32 exec_lo, exec_lo, s5
	s_wait_loadcnt_dscnt 0x0
	s_barrier_signal -1
	s_barrier_wait -1
	global_inv scope:SCOPE_SE
	s_and_saveexec_b32 s6, s4
	s_cbranch_execz .LBB74_8
; %bb.22:                               ;   in Loop: Header=BB74_9 Depth=1
	s_mov_b32 s7, exec_lo
	s_wait_alu 0xfffe
	v_mbcnt_lo_u32_b32 v1, s7, 0
	s_delay_alu instid0(VALU_DEP_1)
	v_cmp_eq_u32_e64 s5, 0, v1
	s_and_b32 s5, exec_lo, s5
	s_wait_alu 0xfffe
	s_mov_b32 exec_lo, s5
	s_cbranch_execz .LBB74_8
; %bb.23:                               ;   in Loop: Header=BB74_9 Depth=1
	ds_load_b32 v1, v8
	s_bcnt1_i32_b32 s5, s7
	s_add_nc_u64 s[26:27], s[16:17], s[26:27]
	s_wait_alu 0xfffe
	v_cvt_f32_ubyte0_e32 v2, s5
	s_wait_dscnt 0x0
	v_mul_f32_e32 v1, s22, v1
	s_delay_alu instid0(VALU_DEP_1)
	v_mul_f32_e32 v1, v1, v2
	global_atomic_add_f32 v8, v1, s[26:27] scope:SCOPE_DEV
	s_branch .LBB74_8
.LBB74_24:
	s_ashr_i32 s3, s18, 31
	s_mov_b32 s2, s18
	s_ashr_i32 s5, s19, 31
	s_lshl_b64 s[2:3], s[2:3], 2
	s_mov_b32 s4, s19
	s_add_nc_u64 s[2:3], s[8:9], s[2:3]
	s_wait_alu 0xfffe
	s_lshl_b64 s[4:5], s[4:5], 2
	s_load_b32 s6, s[2:3], 0x0
	s_add_nc_u64 s[2:3], s[8:9], s[4:5]
	s_mov_b32 s4, exec_lo
	s_load_b32 s2, s[2:3], 0x0
	s_wait_kmcnt 0x0
	v_add_nc_u32_e32 v1, s6, v6
	s_sub_co_i32 s3, s2, s20
	s_delay_alu instid0(VALU_DEP_1) | instid1(SALU_CYCLE_1)
	v_cmpx_gt_i32_e64 s3, v1
	s_cbranch_execz .LBB74_33
; %bb.25:
	s_add_co_i32 s5, s19, -1
	s_mov_b32 s7, 0
	s_wait_alu 0xfffe
	s_cmp_lt_i32 s18, s5
	s_cselect_b32 s2, -1, 0
	s_add_co_i32 s6, s19, -2
	s_wait_alu 0xfffe
	s_cmp_lg_u32 s18, s6
	s_cselect_b32 s6, -1, 0
	s_wait_alu 0xfffe
	s_and_b32 s6, s2, s6
	s_branch .LBB74_27
.LBB74_26:                              ;   in Loop: Header=BB74_27 Depth=1
	s_wait_alu 0xfffe
	s_or_b32 exec_lo, exec_lo, s2
	v_add_nc_u32_e32 v1, 0x100, v1
	s_delay_alu instid0(VALU_DEP_1)
	v_cmp_le_i32_e32 vcc_lo, s3, v1
	s_or_b32 s7, vcc_lo, s7
	s_wait_alu 0xfffe
	s_and_not1_b32 exec_lo, exec_lo, s7
	s_cbranch_execz .LBB74_33
.LBB74_27:                              ; =>This Loop Header: Depth=1
                                        ;     Child Loop BB74_29 Depth 2
	v_mov_b32_e32 v5, s18
	v_mov_b32_e32 v3, s5
	s_wait_alu 0xfffe
	s_and_not1_b32 vcc_lo, exec_lo, s6
	s_wait_alu 0xfffe
	s_cbranch_vccnz .LBB74_31
; %bb.28:                               ;   in Loop: Header=BB74_27 Depth=1
	v_mov_b32_e32 v5, s18
	v_mov_b32_e32 v3, s5
	s_mov_b32 s23, 0
.LBB74_29:                              ;   Parent Loop BB74_27 Depth=1
                                        ; =>  This Inner Loop Header: Depth=2
	s_delay_alu instid0(VALU_DEP_1) | instskip(NEXT) | instid1(VALU_DEP_1)
	v_add_nc_u32_e32 v2, v3, v5
	v_lshrrev_b32_e32 v4, 31, v2
	s_delay_alu instid0(VALU_DEP_1) | instskip(NEXT) | instid1(VALU_DEP_1)
	v_add_nc_u32_e32 v2, v2, v4
	v_ashrrev_i32_e32 v8, 1, v2
	s_delay_alu instid0(VALU_DEP_1) | instskip(NEXT) | instid1(VALU_DEP_1)
	v_ashrrev_i32_e32 v9, 31, v8
	v_lshlrev_b64_e32 v[9:10], 2, v[8:9]
	s_delay_alu instid0(VALU_DEP_1) | instskip(SKIP_1) | instid1(VALU_DEP_2)
	v_add_co_u32 v9, vcc_lo, s8, v9
	s_wait_alu 0xfffd
	v_add_co_ci_u32_e64 v10, null, s9, v10, vcc_lo
	global_load_b32 v2, v[9:10], off
	s_wait_loadcnt 0x0
	v_subrev_nc_u32_e32 v2, s20, v2
	s_delay_alu instid0(VALU_DEP_1) | instskip(SKIP_2) | instid1(VALU_DEP_1)
	v_cmp_lt_i32_e32 vcc_lo, v1, v2
	s_wait_alu 0xfffd
	v_cndmask_b32_e32 v3, v3, v8, vcc_lo
	v_dual_cndmask_b32 v5, v8, v5 :: v_dual_add_nc_u32 v2, -1, v3
	s_delay_alu instid0(VALU_DEP_1) | instskip(NEXT) | instid1(VALU_DEP_2)
	v_cmp_ge_i32_e32 vcc_lo, v5, v3
	v_cmp_eq_u32_e64 s2, v5, v2
	s_or_b32 s2, vcc_lo, s2
	s_wait_alu 0xfffe
	s_and_b32 s2, exec_lo, s2
	s_wait_alu 0xfffe
	s_or_b32 s23, s2, s23
	s_wait_alu 0xfffe
	s_and_not1_b32 exec_lo, exec_lo, s23
	s_cbranch_execnz .LBB74_29
; %bb.30:                               ;   in Loop: Header=BB74_27 Depth=1
	s_or_b32 exec_lo, exec_lo, s23
.LBB74_31:                              ;   in Loop: Header=BB74_27 Depth=1
	v_ashrrev_i32_e32 v4, 31, v3
	v_ashrrev_i32_e32 v2, 31, v1
	s_mov_b32 s2, exec_lo
	s_delay_alu instid0(VALU_DEP_2) | instskip(NEXT) | instid1(VALU_DEP_2)
	v_lshlrev_b64_e32 v[8:9], 2, v[3:4]
	v_lshlrev_b64_e32 v[10:11], 2, v[1:2]
	s_delay_alu instid0(VALU_DEP_2) | instskip(SKIP_1) | instid1(VALU_DEP_3)
	v_add_co_u32 v8, vcc_lo, s8, v8
	s_wait_alu 0xfffd
	v_add_co_ci_u32_e64 v9, null, s9, v9, vcc_lo
	global_load_b32 v4, v[8:9], off
	v_add_co_u32 v8, vcc_lo, s10, v10
	s_wait_alu 0xfffd
	v_add_co_ci_u32_e64 v9, null, s11, v11, vcc_lo
	global_load_b32 v8, v[8:9], off
	s_wait_loadcnt 0x1
	v_subrev_nc_u32_e32 v4, s20, v4
	s_delay_alu instid0(VALU_DEP_1) | instskip(SKIP_4) | instid1(VALU_DEP_1)
	v_cmp_lt_i32_e32 vcc_lo, v1, v4
	s_wait_alu 0xfffd
	v_cndmask_b32_e32 v4, v3, v5, vcc_lo
	s_wait_loadcnt 0x0
	v_subrev_nc_u32_e32 v3, s20, v8
	v_cmpx_ne_u32_e64 v3, v4
	s_cbranch_execz .LBB74_26
; %bb.32:                               ;   in Loop: Header=BB74_27 Depth=1
	v_lshlrev_b64_e32 v[8:9], 1, v[1:2]
	v_ashrrev_i32_e32 v5, 31, v4
	s_delay_alu instid0(VALU_DEP_1) | instskip(NEXT) | instid1(VALU_DEP_3)
	v_lshlrev_b64_e32 v[4:5], 1, v[4:5]
	v_add_co_u32 v8, vcc_lo, s12, v8
	s_wait_alu 0xfffd
	s_delay_alu instid0(VALU_DEP_4) | instskip(NEXT) | instid1(VALU_DEP_3)
	v_add_co_ci_u32_e64 v9, null, s13, v9, vcc_lo
	v_add_co_u32 v4, vcc_lo, s14, v4
	global_load_u16 v2, v[8:9], off
	s_wait_alu 0xfffd
	v_add_co_ci_u32_e64 v5, null, s15, v5, vcc_lo
	global_load_u16 v5, v[4:5], off
	v_ashrrev_i32_e32 v4, 31, v3
	s_wait_loadcnt 0x1
	v_lshlrev_b32_e32 v8, 16, v2
	s_delay_alu instid0(VALU_DEP_2) | instskip(SKIP_1) | instid1(VALU_DEP_2)
	v_lshlrev_b64_e32 v[2:3], 2, v[3:4]
	s_wait_loadcnt 0x0
	v_dual_mul_f32 v4, s22, v8 :: v_dual_lshlrev_b32 v5, 16, v5
	s_delay_alu instid0(VALU_DEP_2) | instskip(SKIP_1) | instid1(VALU_DEP_3)
	v_add_co_u32 v2, vcc_lo, s16, v2
	s_wait_alu 0xfffd
	v_add_co_ci_u32_e64 v3, null, s17, v3, vcc_lo
	s_delay_alu instid0(VALU_DEP_3)
	v_mul_f32_e32 v4, v4, v5
	global_atomic_add_f32 v[2:3], v4, off scope:SCOPE_DEV
	s_branch .LBB74_26
.LBB74_33:
	s_or_b32 exec_lo, exec_lo, s4
	s_mov_b32 s2, 0
.LBB74_34:
	s_wait_alu 0xfffe
	s_and_b32 vcc_lo, exec_lo, s2
	s_wait_alu 0xfffe
	s_cbranch_vccz .LBB74_126
; %bb.35:
	s_ashr_i32 s3, s18, 31
	s_mov_b32 s2, s18
	s_cvt_f32_u32 s4, s21
	s_wait_alu 0xfffe
	s_lshl_b64 s[2:3], s[2:3], 2
	s_mov_b32 s5, 0
	s_wait_alu 0xfffe
	s_add_nc_u64 s[2:3], s[8:9], s[2:3]
	v_rcp_iflag_f32_e32 v1, s4
	s_load_b32 s23, s[2:3], 0x0
	s_clause 0x1
	s_load_b64 s[6:7], s[0:1], 0x4
	s_load_b32 s1, s[0:1], 0x64
	s_delay_alu instid0(TRANS32_DEP_1) | instskip(SKIP_1) | instid1(SALU_CYCLE_3)
	v_readfirstlane_b32 s0, v1
	s_mul_f32 s0, s0, 0x4f7ffffe
	s_cvt_u32_f32 s24, s0
	s_sub_co_i32 s0, 0, s21
	s_wait_kmcnt 0x0
	v_add_nc_u32_e32 v1, s23, v6
	s_mul_i32 s0, s0, s24
	s_delay_alu instid0(VALU_DEP_1) | instskip(NEXT) | instid1(VALU_DEP_1)
	v_add_nc_u32_e32 v9, 0x300, v1
	v_cmp_le_i32_e32 vcc_lo, s6, v9
	s_mul_hi_u32 s6, s24, s0
	s_and_saveexec_b32 s0, vcc_lo
	s_delay_alu instid0(SALU_CYCLE_1)
	s_xor_b32 s4, exec_lo, s0
	s_cbranch_execz .LBB74_40
; %bb.36:
	s_ashr_i32 s27, s19, 31
	s_mov_b32 s26, s19
	s_delay_alu instid0(SALU_CYCLE_1) | instskip(NEXT) | instid1(SALU_CYCLE_1)
	s_lshl_b64 s[26:27], s[26:27], 2
	s_add_nc_u64 s[26:27], s[8:9], s[26:27]
	s_load_b32 s0, s[26:27], 0x0
	s_mov_b32 s26, exec_lo
	s_wait_kmcnt 0x0
	s_sub_co_i32 s25, s0, s23
	s_delay_alu instid0(SALU_CYCLE_1)
	v_cmpx_gt_i32_e64 s25, v0
	s_cbranch_execz .LBB74_39
; %bb.37:
	v_dual_mov_b32 v2, v7 :: v_dual_mov_b32 v3, v0
	s_sub_co_i32 s27, s23, s20
	s_mov_b32 s28, 0
.LBB74_38:                              ; =>This Inner Loop Header: Depth=1
	s_delay_alu instid0(VALU_DEP_1) | instskip(NEXT) | instid1(VALU_DEP_1)
	v_add_nc_u32_e32 v4, s27, v3
	v_ashrrev_i32_e32 v5, 31, v4
	s_delay_alu instid0(VALU_DEP_1) | instskip(NEXT) | instid1(VALU_DEP_1)
	v_lshlrev_b64_e32 v[4:5], 1, v[4:5]
	v_add_co_u32 v4, s0, s12, v4
	s_wait_alu 0xf1ff
	s_delay_alu instid0(VALU_DEP_2) | instskip(SKIP_3) | instid1(VALU_DEP_1)
	v_add_co_ci_u32_e64 v5, null, s13, v5, s0
	global_load_u16 v4, v[4:5], off
	s_wait_loadcnt 0x0
	v_lshlrev_b32_e32 v4, 16, v4
	v_dual_mul_f32 v4, s22, v4 :: v_dual_add_nc_u32 v3, 0x100, v3
	s_delay_alu instid0(VALU_DEP_1) | instskip(SKIP_3) | instid1(SALU_CYCLE_1)
	v_cmp_le_i32_e64 s0, s25, v3
	ds_store_b32 v2, v4
	v_add_nc_u32_e32 v2, 0x400, v2
	s_or_b32 s28, s0, s28
	s_and_not1_b32 exec_lo, exec_lo, s28
	s_cbranch_execnz .LBB74_38
.LBB74_39:
	s_or_b32 exec_lo, exec_lo, s26
.LBB74_40:
	s_wait_alu 0xfffe
	s_or_saveexec_b32 s25, s4
	v_ashrrev_i32_e32 v2, 31, v1
	s_and_b32 s4, s1, 0xffff
	s_add_co_i32 s24, s24, s6
	s_wait_alu 0xfffe
	s_xor_b32 exec_lo, exec_lo, s25
	s_cbranch_execz .LBB74_42
; %bb.41:
	v_lshlrev_b64_e32 v[3:4], 1, v[1:2]
	s_delay_alu instid0(VALU_DEP_1) | instskip(SKIP_1) | instid1(VALU_DEP_2)
	v_add_co_u32 v3, s0, s12, v3
	s_wait_alu 0xf1ff
	v_add_co_ci_u32_e64 v4, null, s13, v4, s0
	s_clause 0x3
	global_load_u16 v5, v[3:4], off
	global_load_u16 v6, v[3:4], off offset:512
	global_load_u16 v8, v[3:4], off offset:1024
	;; [unrolled: 1-line block ×3, first 2 shown]
	s_wait_loadcnt 0x0
	v_lshlrev_b32_e32 v3, 16, v3
	s_delay_alu instid0(VALU_DEP_1) | instskip(NEXT) | instid1(VALU_DEP_1)
	v_dual_mul_f32 v3, s22, v3 :: v_dual_lshlrev_b32 v4, 16, v5
	v_dual_mul_f32 v4, s22, v4 :: v_dual_lshlrev_b32 v5, 16, v6
	s_delay_alu instid0(VALU_DEP_1) | instskip(NEXT) | instid1(VALU_DEP_1)
	v_dual_mul_f32 v5, s22, v5 :: v_dual_lshlrev_b32 v6, 16, v8
	v_mul_f32_e32 v6, s22, v6
	ds_store_2addr_stride64_b32 v7, v4, v5 offset1:4
	ds_store_2addr_stride64_b32 v7, v6, v3 offset0:8 offset1:12
.LBB74_42:
	s_or_b32 exec_lo, exec_lo, s25
	v_lshl_add_u32 v8, v0, 2, 0x1000
	s_mov_b32 s25, s5
	s_mov_b32 s1, exec_lo
	v_cmpx_gt_i32_e64 s7, v0
	s_cbranch_execz .LBB74_45
; %bb.43:
	v_lshl_add_u32 v3, v0, 2, 0x1000
	v_dual_mov_b32 v4, 0 :: v_dual_mov_b32 v5, v0
	s_mov_b32 s6, 0
.LBB74_44:                              ; =>This Inner Loop Header: Depth=1
	s_delay_alu instid0(VALU_DEP_1)
	v_add_nc_u32_e32 v5, 0x100, v5
	ds_store_b32 v3, v4
	v_add_nc_u32_e32 v3, 0x400, v3
	v_cmp_le_i32_e64 s0, s7, v5
	s_wait_alu 0xfffe
	s_or_b32 s6, s0, s6
	s_wait_alu 0xfffe
	s_and_not1_b32 exec_lo, exec_lo, s6
	s_cbranch_execnz .LBB74_44
.LBB74_45:
	s_wait_alu 0xfffe
	s_or_b32 exec_lo, exec_lo, s1
	s_mul_u64 s[0:1], s[4:5], s[24:25]
	s_sub_co_i32 s0, s19, s7
	s_cmp_ge_i32 s19, s7
	s_wait_storecnt 0x0
	s_wait_loadcnt_dscnt 0x0
	s_wait_alu 0xfffe
	s_cselect_b32 s5, s0, 0
	s_barrier_signal -1
	s_barrier_wait -1
	global_inv scope:SCOPE_SE
	s_and_saveexec_b32 s0, vcc_lo
	s_wait_alu 0xfffe
	s_xor_b32 s6, exec_lo, s0
	s_cbranch_execz .LBB74_59
; %bb.46:
	s_ashr_i32 s13, s19, 31
	s_mov_b32 s12, s19
	s_wait_alu 0xfffe
	s_lshl_b64 s[12:13], s[12:13], 2
	s_wait_alu 0xfffe
	s_add_nc_u64 s[12:13], s[8:9], s[12:13]
	s_load_b32 s0, s[12:13], 0x0
	s_mov_b32 s13, exec_lo
	s_wait_kmcnt 0x0
	s_sub_co_i32 s12, s0, s23
	s_wait_alu 0xfffe
	v_cmpx_gt_i32_e64 s12, v0
	s_cbranch_execz .LBB74_58
; %bb.47:
	s_add_co_i32 s24, s19, -2
	s_add_co_i32 s22, s19, -1
	s_wait_alu 0xfffe
	s_cmp_lg_u32 s18, s24
	s_mov_b32 s26, 0
	s_cselect_b32 s24, -1, 0
	s_sub_co_i32 s25, s0, s20
	s_mov_b32 s27, 0
	s_branch .LBB74_49
.LBB74_48:                              ;   in Loop: Header=BB74_49 Depth=1
	s_or_b32 exec_lo, exec_lo, s28
	s_addk_co_i32 s27, 0x100
	s_wait_alu 0xfffe
	v_add_nc_u32_e32 v2, s27, v0
	s_delay_alu instid0(VALU_DEP_1)
	v_cmp_le_i32_e32 vcc_lo, s12, v2
	s_or_b32 s26, vcc_lo, s26
	s_wait_alu 0xfffe
	s_and_not1_b32 exec_lo, exec_lo, s26
	s_cbranch_execz .LBB74_58
.LBB74_49:                              ; =>This Loop Header: Depth=1
                                        ;     Child Loop BB74_51 Depth 2
	s_wait_alu 0xfffe
	v_add_nc_u32_e32 v2, s27, v1
	v_mov_b32_e32 v6, s18
	v_mov_b32_e32 v4, s22
	s_and_not1_b32 vcc_lo, exec_lo, s24
	s_wait_alu 0xfffe
	s_cbranch_vccnz .LBB74_53
; %bb.50:                               ;   in Loop: Header=BB74_49 Depth=1
	v_mov_b32_e32 v6, s18
	v_mov_b32_e32 v4, s22
	s_mov_b32 s28, 0
.LBB74_51:                              ;   Parent Loop BB74_49 Depth=1
                                        ; =>  This Inner Loop Header: Depth=2
	s_delay_alu instid0(VALU_DEP_1) | instskip(NEXT) | instid1(VALU_DEP_1)
	v_add_nc_u32_e32 v3, v4, v6
	v_lshrrev_b32_e32 v5, 31, v3
	s_delay_alu instid0(VALU_DEP_1) | instskip(NEXT) | instid1(VALU_DEP_1)
	v_add_nc_u32_e32 v3, v3, v5
	v_ashrrev_i32_e32 v9, 1, v3
	s_delay_alu instid0(VALU_DEP_1) | instskip(NEXT) | instid1(VALU_DEP_1)
	v_ashrrev_i32_e32 v10, 31, v9
	v_lshlrev_b64_e32 v[10:11], 2, v[9:10]
	s_delay_alu instid0(VALU_DEP_1) | instskip(SKIP_1) | instid1(VALU_DEP_2)
	v_add_co_u32 v10, vcc_lo, s8, v10
	s_wait_alu 0xfffd
	v_add_co_ci_u32_e64 v11, null, s9, v11, vcc_lo
	global_load_b32 v3, v[10:11], off
	s_wait_loadcnt 0x0
	v_subrev_nc_u32_e32 v3, s20, v3
	s_delay_alu instid0(VALU_DEP_1) | instskip(SKIP_2) | instid1(VALU_DEP_1)
	v_cmp_lt_i32_e32 vcc_lo, v2, v3
	s_wait_alu 0xfffd
	v_cndmask_b32_e32 v4, v4, v9, vcc_lo
	v_dual_cndmask_b32 v6, v9, v6 :: v_dual_add_nc_u32 v3, -1, v4
	s_delay_alu instid0(VALU_DEP_1) | instskip(NEXT) | instid1(VALU_DEP_2)
	v_cmp_ge_i32_e32 vcc_lo, v6, v4
	v_cmp_eq_u32_e64 s0, v6, v3
	s_or_b32 s0, vcc_lo, s0
	s_wait_alu 0xfffe
	s_and_b32 s0, exec_lo, s0
	s_wait_alu 0xfffe
	s_or_b32 s28, s0, s28
	s_delay_alu instid0(SALU_CYCLE_1)
	s_and_not1_b32 exec_lo, exec_lo, s28
	s_cbranch_execnz .LBB74_51
; %bb.52:                               ;   in Loop: Header=BB74_49 Depth=1
	s_or_b32 exec_lo, exec_lo, s28
.LBB74_53:                              ;   in Loop: Header=BB74_49 Depth=1
	s_delay_alu instid0(VALU_DEP_1) | instskip(SKIP_2) | instid1(VALU_DEP_3)
	v_ashrrev_i32_e32 v5, 31, v4
	v_ashrrev_i32_e32 v3, 31, v2
	v_cmp_gt_i32_e64 s0, s25, v2
	v_lshlrev_b64_e32 v[9:10], 2, v[4:5]
	s_delay_alu instid0(VALU_DEP_3) | instskip(NEXT) | instid1(VALU_DEP_2)
	v_lshlrev_b64_e32 v[11:12], 2, v[2:3]
	v_add_co_u32 v9, vcc_lo, s8, v9
	s_wait_alu 0xfffd
	s_delay_alu instid0(VALU_DEP_3) | instskip(NEXT) | instid1(VALU_DEP_3)
	v_add_co_ci_u32_e64 v10, null, s9, v10, vcc_lo
	v_add_co_u32 v11, vcc_lo, s10, v11
	s_wait_alu 0xfffd
	v_add_co_ci_u32_e64 v12, null, s11, v12, vcc_lo
	global_load_b32 v3, v[9:10], off
	global_load_b32 v5, v[11:12], off
	s_wait_loadcnt 0x1
	v_subrev_nc_u32_e32 v9, s20, v3
	s_wait_loadcnt 0x0
	v_subrev_nc_u32_e32 v3, s20, v5
	s_delay_alu instid0(VALU_DEP_2) | instskip(SKIP_2) | instid1(VALU_DEP_1)
	v_cmp_lt_i32_e32 vcc_lo, v2, v9
	s_wait_alu 0xfffd
	v_cndmask_b32_e32 v4, v4, v6, vcc_lo
	v_cmp_ne_u32_e32 vcc_lo, v3, v4
	s_and_b32 s0, vcc_lo, s0
	s_wait_alu 0xfffe
	s_and_saveexec_b32 s28, s0
	s_cbranch_execz .LBB74_48
; %bb.54:                               ;   in Loop: Header=BB74_49 Depth=1
	v_ashrrev_i32_e32 v5, 31, v4
	v_cmp_le_i32_e64 s0, s19, v3
	s_delay_alu instid0(VALU_DEP_2) | instskip(NEXT) | instid1(VALU_DEP_1)
	v_lshlrev_b64_e32 v[4:5], 1, v[4:5]
	v_add_co_u32 v4, vcc_lo, s14, v4
	s_wait_alu 0xfffd
	s_delay_alu instid0(VALU_DEP_2)
	v_add_co_ci_u32_e64 v5, null, s15, v5, vcc_lo
	v_cmp_gt_i32_e32 vcc_lo, s5, v3
	global_load_u16 v2, v[4:5], off
	v_lshl_add_u32 v4, s27, 2, v7
	s_or_b32 s0, vcc_lo, s0
	ds_load_b32 v4, v4
	s_wait_loadcnt 0x0
	v_lshlrev_b32_e32 v2, 16, v2
	s_wait_dscnt 0x0
	s_delay_alu instid0(VALU_DEP_1) | instskip(SKIP_2) | instid1(SALU_CYCLE_1)
	v_mul_f32_e32 v2, v4, v2
	s_wait_alu 0xfffe
	s_and_saveexec_b32 s29, s0
	s_xor_b32 s0, exec_lo, s29
	s_cbranch_execz .LBB74_56
; %bb.55:                               ;   in Loop: Header=BB74_49 Depth=1
	v_ashrrev_i32_e32 v4, 31, v3
	s_delay_alu instid0(VALU_DEP_1) | instskip(NEXT) | instid1(VALU_DEP_1)
	v_lshlrev_b64_e32 v[3:4], 2, v[3:4]
	v_add_co_u32 v3, vcc_lo, s16, v3
	s_wait_alu 0xfffd
	s_delay_alu instid0(VALU_DEP_2)
	v_add_co_ci_u32_e64 v4, null, s17, v4, vcc_lo
	global_atomic_add_f32 v[3:4], v2, off scope:SCOPE_DEV
                                        ; implicit-def: $vgpr3
                                        ; implicit-def: $vgpr2
.LBB74_56:                              ;   in Loop: Header=BB74_49 Depth=1
	s_wait_alu 0xfffe
	s_and_not1_saveexec_b32 s0, s0
	s_cbranch_execz .LBB74_48
; %bb.57:                               ;   in Loop: Header=BB74_49 Depth=1
	v_subrev_nc_u32_e32 v3, s5, v3
	s_delay_alu instid0(VALU_DEP_1)
	v_lshl_add_u32 v3, v3, 2, 0x1000
	ds_add_f32 v3, v2
	s_branch .LBB74_48
.LBB74_58:
	s_or_b32 exec_lo, exec_lo, s13
                                        ; implicit-def: $vgpr9
                                        ; implicit-def: $vgpr1
.LBB74_59:
	s_wait_alu 0xfffe
	s_and_not1_saveexec_b32 s6, s6
	s_cbranch_execz .LBB74_101
; %bb.60:
	s_add_co_i32 s12, s19, -1
	s_add_co_i32 s0, s19, -2
	v_mov_b32_e32 v6, s18
	s_wait_alu 0xfffe
	v_mov_b32_e32 v4, s12
	s_cmp_lg_u32 s18, s0
	s_cselect_b32 s13, -1, 0
	s_cmp_eq_u32 s18, s0
	s_cbranch_scc1 .LBB74_64
; %bb.61:
	v_mov_b32_e32 v6, s18
	v_mov_b32_e32 v4, s12
	s_mov_b32 s22, 0
.LBB74_62:                              ; =>This Inner Loop Header: Depth=1
	s_delay_alu instid0(VALU_DEP_1) | instskip(NEXT) | instid1(VALU_DEP_1)
	v_add_nc_u32_e32 v3, v4, v6
	v_lshrrev_b32_e32 v5, 31, v3
	s_delay_alu instid0(VALU_DEP_1) | instskip(NEXT) | instid1(VALU_DEP_1)
	v_add_nc_u32_e32 v3, v3, v5
	v_ashrrev_i32_e32 v10, 1, v3
	s_delay_alu instid0(VALU_DEP_1) | instskip(NEXT) | instid1(VALU_DEP_1)
	v_ashrrev_i32_e32 v11, 31, v10
	v_lshlrev_b64_e32 v[11:12], 2, v[10:11]
	s_delay_alu instid0(VALU_DEP_1) | instskip(SKIP_1) | instid1(VALU_DEP_2)
	v_add_co_u32 v11, vcc_lo, s8, v11
	s_wait_alu 0xfffd
	v_add_co_ci_u32_e64 v12, null, s9, v12, vcc_lo
	global_load_b32 v3, v[11:12], off
	s_wait_loadcnt 0x0
	v_subrev_nc_u32_e32 v3, s20, v3
	s_delay_alu instid0(VALU_DEP_1) | instskip(SKIP_2) | instid1(VALU_DEP_1)
	v_cmp_lt_i32_e32 vcc_lo, v1, v3
	s_wait_alu 0xfffd
	v_cndmask_b32_e32 v4, v4, v10, vcc_lo
	v_dual_cndmask_b32 v6, v10, v6 :: v_dual_add_nc_u32 v3, -1, v4
	s_delay_alu instid0(VALU_DEP_1) | instskip(NEXT) | instid1(VALU_DEP_2)
	v_cmp_ge_i32_e32 vcc_lo, v6, v4
	v_cmp_eq_u32_e64 s0, v6, v3
	s_or_b32 s0, vcc_lo, s0
	s_wait_alu 0xfffe
	s_and_b32 s0, exec_lo, s0
	s_wait_alu 0xfffe
	s_or_b32 s22, s0, s22
	s_wait_alu 0xfffe
	s_and_not1_b32 exec_lo, exec_lo, s22
	s_cbranch_execnz .LBB74_62
; %bb.63:
	s_or_b32 exec_lo, exec_lo, s22
.LBB74_64:
	v_ashrrev_i32_e32 v5, 31, v4
	v_lshlrev_b64_e32 v[2:3], 2, v[1:2]
	s_mov_b32 s22, exec_lo
	s_delay_alu instid0(VALU_DEP_2) | instskip(NEXT) | instid1(VALU_DEP_1)
	v_lshlrev_b64_e32 v[10:11], 2, v[4:5]
	v_add_co_u32 v10, vcc_lo, s8, v10
	s_wait_alu 0xfffd
	s_delay_alu instid0(VALU_DEP_2)
	v_add_co_ci_u32_e64 v11, null, s9, v11, vcc_lo
	v_add_co_u32 v2, vcc_lo, s10, v2
	s_wait_alu 0xfffd
	v_add_co_ci_u32_e64 v3, null, s11, v3, vcc_lo
	global_load_b32 v5, v[10:11], off
	s_ashr_i32 s11, s19, 31
	s_mov_b32 s10, s19
	global_load_b32 v10, v[2:3], off
	s_wait_alu 0xfffe
	s_lshl_b64 s[10:11], s[10:11], 2
	s_wait_alu 0xfffe
	s_add_nc_u64 s[10:11], s[8:9], s[10:11]
	s_wait_loadcnt 0x1
	v_subrev_nc_u32_e32 v5, s20, v5
	s_delay_alu instid0(VALU_DEP_1) | instskip(SKIP_4) | instid1(VALU_DEP_1)
	v_cmp_lt_i32_e32 vcc_lo, v1, v5
	s_wait_alu 0xfffd
	v_cndmask_b32_e32 v5, v4, v6, vcc_lo
	s_wait_loadcnt 0x0
	v_subrev_nc_u32_e32 v4, s20, v10
	v_cmpx_ne_u32_e64 v4, v5
	s_cbranch_execz .LBB74_70
; %bb.65:
	s_load_b32 s0, s[10:11], 0x0
	s_wait_kmcnt 0x0
	s_sub_co_i32 s0, s0, s20
	s_wait_alu 0xfffe
	v_cmp_gt_i32_e32 vcc_lo, s0, v1
	s_and_b32 exec_lo, exec_lo, vcc_lo
	s_cbranch_execz .LBB74_70
; %bb.66:
	v_ashrrev_i32_e32 v6, 31, v5
	v_cmp_le_i32_e64 s0, s19, v4
	s_delay_alu instid0(VALU_DEP_2) | instskip(NEXT) | instid1(VALU_DEP_1)
	v_lshlrev_b64_e32 v[5:6], 1, v[5:6]
	v_add_co_u32 v5, vcc_lo, s14, v5
	s_wait_alu 0xfffd
	s_delay_alu instid0(VALU_DEP_2)
	v_add_co_ci_u32_e64 v6, null, s15, v6, vcc_lo
	v_cmp_gt_i32_e32 vcc_lo, s5, v4
	global_load_u16 v5, v[5:6], off
	ds_load_b32 v6, v7
	s_or_b32 s0, vcc_lo, s0
	s_wait_loadcnt 0x0
	v_lshlrev_b32_e32 v5, 16, v5
	s_wait_dscnt 0x0
	s_delay_alu instid0(VALU_DEP_1)
	v_mul_f32_e32 v6, v6, v5
	s_wait_alu 0xfffe
	s_and_saveexec_b32 s24, s0
	s_wait_alu 0xfffe
	s_xor_b32 s0, exec_lo, s24
	s_cbranch_execz .LBB74_68
; %bb.67:
	v_ashrrev_i32_e32 v5, 31, v4
	s_delay_alu instid0(VALU_DEP_1) | instskip(NEXT) | instid1(VALU_DEP_1)
	v_lshlrev_b64_e32 v[4:5], 2, v[4:5]
	v_add_co_u32 v4, vcc_lo, s16, v4
	s_wait_alu 0xfffd
	s_delay_alu instid0(VALU_DEP_2)
	v_add_co_ci_u32_e64 v5, null, s17, v5, vcc_lo
	global_atomic_add_f32 v[4:5], v6, off scope:SCOPE_DEV
                                        ; implicit-def: $vgpr4
                                        ; implicit-def: $vgpr6
.LBB74_68:
	s_wait_alu 0xfffe
	s_and_not1_saveexec_b32 s0, s0
; %bb.69:
	v_subrev_nc_u32_e32 v4, s5, v4
	s_delay_alu instid0(VALU_DEP_1)
	v_lshl_add_u32 v4, v4, 2, 0x1000
	ds_add_f32 v4, v6
.LBB74_70:
	s_or_b32 exec_lo, exec_lo, s22
	v_cndmask_b32_e64 v10, 0, 1, s13
	v_dual_mov_b32 v11, s18 :: v_dual_add_nc_u32 v6, 0x100, v1
	v_mov_b32_e32 v4, s12
	s_and_not1_b32 vcc_lo, exec_lo, s13
	s_wait_alu 0xfffe
	s_cbranch_vccnz .LBB74_74
; %bb.71:
	v_dual_mov_b32 v11, s18 :: v_dual_mov_b32 v4, s12
	s_mov_b32 s13, 0
.LBB74_72:                              ; =>This Inner Loop Header: Depth=1
	s_delay_alu instid0(VALU_DEP_1) | instskip(NEXT) | instid1(VALU_DEP_1)
	v_add_nc_u32_e32 v5, v4, v11
	v_lshrrev_b32_e32 v12, 31, v5
	s_delay_alu instid0(VALU_DEP_1) | instskip(NEXT) | instid1(VALU_DEP_1)
	v_add_nc_u32_e32 v5, v5, v12
	v_ashrrev_i32_e32 v12, 1, v5
	s_delay_alu instid0(VALU_DEP_1) | instskip(NEXT) | instid1(VALU_DEP_1)
	v_ashrrev_i32_e32 v13, 31, v12
	v_lshlrev_b64_e32 v[13:14], 2, v[12:13]
	s_delay_alu instid0(VALU_DEP_1) | instskip(SKIP_1) | instid1(VALU_DEP_2)
	v_add_co_u32 v13, vcc_lo, s8, v13
	s_wait_alu 0xfffd
	v_add_co_ci_u32_e64 v14, null, s9, v14, vcc_lo
	global_load_b32 v5, v[13:14], off
	s_wait_loadcnt 0x0
	v_subrev_nc_u32_e32 v5, s20, v5
	s_delay_alu instid0(VALU_DEP_1) | instskip(SKIP_3) | instid1(VALU_DEP_2)
	v_cmp_lt_i32_e32 vcc_lo, v6, v5
	s_wait_alu 0xfffd
	v_cndmask_b32_e32 v4, v4, v12, vcc_lo
	v_cndmask_b32_e32 v11, v12, v11, vcc_lo
	v_add_nc_u32_e32 v5, -1, v4
	s_delay_alu instid0(VALU_DEP_2) | instskip(NEXT) | instid1(VALU_DEP_2)
	v_cmp_ge_i32_e32 vcc_lo, v11, v4
	v_cmp_eq_u32_e64 s0, v11, v5
	s_or_b32 s0, vcc_lo, s0
	s_wait_alu 0xfffe
	s_and_b32 s0, exec_lo, s0
	s_wait_alu 0xfffe
	s_or_b32 s13, s0, s13
	s_wait_alu 0xfffe
	s_and_not1_b32 exec_lo, exec_lo, s13
	s_cbranch_execnz .LBB74_72
; %bb.73:
	s_or_b32 exec_lo, exec_lo, s13
.LBB74_74:
	s_delay_alu instid0(VALU_DEP_1) | instskip(SKIP_1) | instid1(VALU_DEP_1)
	v_ashrrev_i32_e32 v5, 31, v4
	s_mov_b32 s13, exec_lo
	v_lshlrev_b64_e32 v[12:13], 2, v[4:5]
	s_delay_alu instid0(VALU_DEP_1) | instskip(SKIP_1) | instid1(VALU_DEP_2)
	v_add_co_u32 v12, vcc_lo, s8, v12
	s_wait_alu 0xfffd
	v_add_co_ci_u32_e64 v13, null, s9, v13, vcc_lo
	global_load_b32 v5, v[12:13], off
	global_load_b32 v12, v[2:3], off offset:1024
	s_wait_loadcnt 0x1
	v_subrev_nc_u32_e32 v5, s20, v5
	s_delay_alu instid0(VALU_DEP_1) | instskip(SKIP_4) | instid1(VALU_DEP_1)
	v_cmp_lt_i32_e32 vcc_lo, v6, v5
	s_wait_alu 0xfffd
	v_cndmask_b32_e32 v5, v4, v11, vcc_lo
	s_wait_loadcnt 0x0
	v_subrev_nc_u32_e32 v4, s20, v12
	v_cmpx_ne_u32_e64 v4, v5
	s_cbranch_execz .LBB74_80
; %bb.75:
	s_load_b32 s0, s[10:11], 0x0
	s_wait_kmcnt 0x0
	s_sub_co_i32 s0, s0, s20
	s_wait_alu 0xfffe
	v_cmp_gt_i32_e32 vcc_lo, s0, v6
	s_and_b32 exec_lo, exec_lo, vcc_lo
	s_cbranch_execz .LBB74_80
; %bb.76:
	v_ashrrev_i32_e32 v6, 31, v5
	v_cmp_le_i32_e64 s0, s19, v4
	s_delay_alu instid0(VALU_DEP_2) | instskip(NEXT) | instid1(VALU_DEP_1)
	v_lshlrev_b64_e32 v[5:6], 1, v[5:6]
	v_add_co_u32 v5, vcc_lo, s14, v5
	s_wait_alu 0xfffd
	s_delay_alu instid0(VALU_DEP_2)
	v_add_co_ci_u32_e64 v6, null, s15, v6, vcc_lo
	v_cmp_gt_i32_e32 vcc_lo, s5, v4
	global_load_u16 v5, v[5:6], off
	ds_load_b32 v6, v7 offset:1024
	s_or_b32 s0, vcc_lo, s0
	s_wait_loadcnt 0x0
	v_lshlrev_b32_e32 v5, 16, v5
	s_wait_dscnt 0x0
	s_delay_alu instid0(VALU_DEP_1)
	v_mul_f32_e32 v6, v6, v5
	s_wait_alu 0xfffe
	s_and_saveexec_b32 s22, s0
	s_wait_alu 0xfffe
	s_xor_b32 s0, exec_lo, s22
	s_cbranch_execz .LBB74_78
; %bb.77:
	v_ashrrev_i32_e32 v5, 31, v4
	s_delay_alu instid0(VALU_DEP_1) | instskip(NEXT) | instid1(VALU_DEP_1)
	v_lshlrev_b64_e32 v[4:5], 2, v[4:5]
	v_add_co_u32 v4, vcc_lo, s16, v4
	s_wait_alu 0xfffd
	s_delay_alu instid0(VALU_DEP_2)
	v_add_co_ci_u32_e64 v5, null, s17, v5, vcc_lo
	global_atomic_add_f32 v[4:5], v6, off scope:SCOPE_DEV
                                        ; implicit-def: $vgpr4
                                        ; implicit-def: $vgpr6
.LBB74_78:
	s_wait_alu 0xfffe
	s_and_not1_saveexec_b32 s0, s0
; %bb.79:
	v_subrev_nc_u32_e32 v4, s5, v4
	s_delay_alu instid0(VALU_DEP_1)
	v_lshl_add_u32 v4, v4, 2, 0x1000
	ds_add_f32 v4, v6
.LBB74_80:
	s_wait_alu 0xfffe
	s_or_b32 exec_lo, exec_lo, s13
	v_cmp_ne_u32_e32 vcc_lo, 1, v10
	v_dual_mov_b32 v6, s18 :: v_dual_add_nc_u32 v1, 0x200, v1
	v_mov_b32_e32 v4, s12
	s_cbranch_vccnz .LBB74_84
; %bb.81:
	v_mov_b32_e32 v6, s18
	v_mov_b32_e32 v4, s12
	s_mov_b32 s13, 0
.LBB74_82:                              ; =>This Inner Loop Header: Depth=1
	s_delay_alu instid0(VALU_DEP_1) | instskip(NEXT) | instid1(VALU_DEP_1)
	v_add_nc_u32_e32 v5, v4, v6
	v_lshrrev_b32_e32 v11, 31, v5
	s_delay_alu instid0(VALU_DEP_1) | instskip(NEXT) | instid1(VALU_DEP_1)
	v_add_nc_u32_e32 v5, v5, v11
	v_ashrrev_i32_e32 v11, 1, v5
	s_delay_alu instid0(VALU_DEP_1) | instskip(NEXT) | instid1(VALU_DEP_1)
	v_ashrrev_i32_e32 v12, 31, v11
	v_lshlrev_b64_e32 v[12:13], 2, v[11:12]
	s_delay_alu instid0(VALU_DEP_1) | instskip(SKIP_1) | instid1(VALU_DEP_2)
	v_add_co_u32 v12, vcc_lo, s8, v12
	s_wait_alu 0xfffd
	v_add_co_ci_u32_e64 v13, null, s9, v13, vcc_lo
	global_load_b32 v5, v[12:13], off
	s_wait_loadcnt 0x0
	v_subrev_nc_u32_e32 v5, s20, v5
	s_delay_alu instid0(VALU_DEP_1) | instskip(SKIP_2) | instid1(VALU_DEP_1)
	v_cmp_lt_i32_e32 vcc_lo, v1, v5
	s_wait_alu 0xfffd
	v_cndmask_b32_e32 v4, v4, v11, vcc_lo
	v_dual_cndmask_b32 v6, v11, v6 :: v_dual_add_nc_u32 v5, -1, v4
	s_delay_alu instid0(VALU_DEP_1) | instskip(NEXT) | instid1(VALU_DEP_2)
	v_cmp_ge_i32_e32 vcc_lo, v6, v4
	v_cmp_eq_u32_e64 s0, v6, v5
	s_or_b32 s0, vcc_lo, s0
	s_wait_alu 0xfffe
	s_and_b32 s0, exec_lo, s0
	s_wait_alu 0xfffe
	s_or_b32 s13, s0, s13
	s_wait_alu 0xfffe
	s_and_not1_b32 exec_lo, exec_lo, s13
	s_cbranch_execnz .LBB74_82
; %bb.83:
	s_or_b32 exec_lo, exec_lo, s13
.LBB74_84:
	s_delay_alu instid0(VALU_DEP_1) | instskip(SKIP_1) | instid1(VALU_DEP_1)
	v_ashrrev_i32_e32 v5, 31, v4
	s_mov_b32 s13, exec_lo
	v_lshlrev_b64_e32 v[11:12], 2, v[4:5]
	s_delay_alu instid0(VALU_DEP_1) | instskip(SKIP_1) | instid1(VALU_DEP_2)
	v_add_co_u32 v11, vcc_lo, s8, v11
	s_wait_alu 0xfffd
	v_add_co_ci_u32_e64 v12, null, s9, v12, vcc_lo
	global_load_b32 v5, v[11:12], off
	global_load_b32 v11, v[2:3], off offset:2048
	s_wait_loadcnt 0x1
	v_subrev_nc_u32_e32 v5, s20, v5
	s_delay_alu instid0(VALU_DEP_1) | instskip(SKIP_4) | instid1(VALU_DEP_1)
	v_cmp_lt_i32_e32 vcc_lo, v1, v5
	s_wait_alu 0xfffd
	v_cndmask_b32_e32 v5, v4, v6, vcc_lo
	s_wait_loadcnt 0x0
	v_subrev_nc_u32_e32 v4, s20, v11
	v_cmpx_ne_u32_e64 v4, v5
	s_cbranch_execz .LBB74_90
; %bb.85:
	s_load_b32 s0, s[10:11], 0x0
	s_wait_kmcnt 0x0
	s_sub_co_i32 s0, s0, s20
	s_wait_alu 0xfffe
	v_cmp_gt_i32_e32 vcc_lo, s0, v1
	s_and_b32 exec_lo, exec_lo, vcc_lo
	s_cbranch_execz .LBB74_90
; %bb.86:
	v_ashrrev_i32_e32 v6, 31, v5
	v_cmp_le_i32_e64 s0, s19, v4
	s_delay_alu instid0(VALU_DEP_2) | instskip(NEXT) | instid1(VALU_DEP_1)
	v_lshlrev_b64_e32 v[5:6], 1, v[5:6]
	v_add_co_u32 v5, vcc_lo, s14, v5
	s_wait_alu 0xfffd
	s_delay_alu instid0(VALU_DEP_2)
	v_add_co_ci_u32_e64 v6, null, s15, v6, vcc_lo
	v_cmp_gt_i32_e32 vcc_lo, s5, v4
	global_load_u16 v1, v[5:6], off
	ds_load_b32 v5, v7 offset:2048
	s_or_b32 s0, vcc_lo, s0
	s_wait_loadcnt 0x0
	v_lshlrev_b32_e32 v1, 16, v1
	s_wait_dscnt 0x0
	s_delay_alu instid0(VALU_DEP_1)
	v_mul_f32_e32 v1, v5, v1
	s_wait_alu 0xfffe
	s_and_saveexec_b32 s22, s0
	s_wait_alu 0xfffe
	s_xor_b32 s0, exec_lo, s22
	s_cbranch_execz .LBB74_88
; %bb.87:
	v_ashrrev_i32_e32 v5, 31, v4
	s_delay_alu instid0(VALU_DEP_1) | instskip(NEXT) | instid1(VALU_DEP_1)
	v_lshlrev_b64_e32 v[4:5], 2, v[4:5]
	v_add_co_u32 v4, vcc_lo, s16, v4
	s_wait_alu 0xfffd
	s_delay_alu instid0(VALU_DEP_2)
	v_add_co_ci_u32_e64 v5, null, s17, v5, vcc_lo
	global_atomic_add_f32 v[4:5], v1, off scope:SCOPE_DEV
                                        ; implicit-def: $vgpr4
                                        ; implicit-def: $vgpr1
.LBB74_88:
	s_wait_alu 0xfffe
	s_and_not1_saveexec_b32 s0, s0
; %bb.89:
	v_subrev_nc_u32_e32 v4, s5, v4
	s_delay_alu instid0(VALU_DEP_1)
	v_lshl_add_u32 v4, v4, 2, 0x1000
	ds_add_f32 v4, v1
.LBB74_90:
	s_wait_alu 0xfffe
	s_or_b32 exec_lo, exec_lo, s13
	v_cmp_ne_u32_e32 vcc_lo, 1, v10
	v_dual_mov_b32 v1, s18 :: v_dual_mov_b32 v4, s12
	s_cbranch_vccnz .LBB74_94
; %bb.91:
	v_dual_mov_b32 v1, s18 :: v_dual_mov_b32 v4, s12
	s_mov_b32 s12, 0
.LBB74_92:                              ; =>This Inner Loop Header: Depth=1
	s_delay_alu instid0(VALU_DEP_1) | instskip(NEXT) | instid1(VALU_DEP_1)
	v_add_nc_u32_e32 v5, v4, v1
	v_lshrrev_b32_e32 v6, 31, v5
	s_delay_alu instid0(VALU_DEP_1) | instskip(NEXT) | instid1(VALU_DEP_1)
	v_add_nc_u32_e32 v5, v5, v6
	v_ashrrev_i32_e32 v5, 1, v5
	s_delay_alu instid0(VALU_DEP_1) | instskip(NEXT) | instid1(VALU_DEP_1)
	v_ashrrev_i32_e32 v6, 31, v5
	v_lshlrev_b64_e32 v[10:11], 2, v[5:6]
	s_delay_alu instid0(VALU_DEP_1) | instskip(SKIP_1) | instid1(VALU_DEP_2)
	v_add_co_u32 v10, vcc_lo, s8, v10
	s_wait_alu 0xfffd
	v_add_co_ci_u32_e64 v11, null, s9, v11, vcc_lo
	global_load_b32 v6, v[10:11], off
	s_wait_loadcnt 0x0
	v_subrev_nc_u32_e32 v6, s20, v6
	s_delay_alu instid0(VALU_DEP_1) | instskip(SKIP_3) | instid1(VALU_DEP_2)
	v_cmp_lt_i32_e32 vcc_lo, v9, v6
	s_wait_alu 0xfffd
	v_cndmask_b32_e32 v4, v4, v5, vcc_lo
	v_cndmask_b32_e32 v1, v5, v1, vcc_lo
	v_add_nc_u32_e32 v5, -1, v4
	s_delay_alu instid0(VALU_DEP_2) | instskip(NEXT) | instid1(VALU_DEP_2)
	v_cmp_ge_i32_e32 vcc_lo, v1, v4
	v_cmp_eq_u32_e64 s0, v1, v5
	s_or_b32 s0, vcc_lo, s0
	s_wait_alu 0xfffe
	s_and_b32 s0, exec_lo, s0
	s_wait_alu 0xfffe
	s_or_b32 s12, s0, s12
	s_wait_alu 0xfffe
	s_and_not1_b32 exec_lo, exec_lo, s12
	s_cbranch_execnz .LBB74_92
; %bb.93:
	s_or_b32 exec_lo, exec_lo, s12
.LBB74_94:
	s_delay_alu instid0(VALU_DEP_1) | instskip(SKIP_1) | instid1(VALU_DEP_1)
	v_ashrrev_i32_e32 v5, 31, v4
	s_mov_b32 s12, exec_lo
	v_lshlrev_b64_e32 v[5:6], 2, v[4:5]
	s_delay_alu instid0(VALU_DEP_1) | instskip(SKIP_1) | instid1(VALU_DEP_2)
	v_add_co_u32 v5, vcc_lo, s8, v5
	s_wait_alu 0xfffd
	v_add_co_ci_u32_e64 v6, null, s9, v6, vcc_lo
	global_load_b32 v5, v[5:6], off
	global_load_b32 v3, v[2:3], off offset:3072
	s_wait_loadcnt 0x1
	v_subrev_nc_u32_e32 v2, s20, v5
	s_delay_alu instid0(VALU_DEP_1) | instskip(SKIP_4) | instid1(VALU_DEP_1)
	v_cmp_lt_i32_e32 vcc_lo, v9, v2
	s_wait_alu 0xfffd
	v_cndmask_b32_e32 v2, v4, v1, vcc_lo
	s_wait_loadcnt 0x0
	v_subrev_nc_u32_e32 v1, s20, v3
	v_cmpx_ne_u32_e64 v1, v2
	s_cbranch_execz .LBB74_100
; %bb.95:
	s_load_b32 s0, s[10:11], 0x0
	s_wait_kmcnt 0x0
	s_sub_co_i32 s0, s0, s20
	s_wait_alu 0xfffe
	v_cmp_gt_i32_e32 vcc_lo, s0, v9
	s_and_b32 exec_lo, exec_lo, vcc_lo
	s_cbranch_execz .LBB74_100
; %bb.96:
	v_ashrrev_i32_e32 v3, 31, v2
	v_cmp_le_i32_e64 s0, s19, v1
	s_delay_alu instid0(VALU_DEP_2) | instskip(NEXT) | instid1(VALU_DEP_1)
	v_lshlrev_b64_e32 v[2:3], 1, v[2:3]
	v_add_co_u32 v2, vcc_lo, s14, v2
	s_wait_alu 0xfffd
	s_delay_alu instid0(VALU_DEP_2)
	v_add_co_ci_u32_e64 v3, null, s15, v3, vcc_lo
	v_cmp_gt_i32_e32 vcc_lo, s5, v1
	global_load_u16 v2, v[2:3], off
	ds_load_b32 v3, v7 offset:3072
	s_or_b32 s0, vcc_lo, s0
	s_wait_loadcnt 0x0
	v_lshlrev_b32_e32 v2, 16, v2
	s_wait_dscnt 0x0
	s_delay_alu instid0(VALU_DEP_1)
	v_mul_f32_e32 v3, v3, v2
	s_wait_alu 0xfffe
	s_and_saveexec_b32 s10, s0
	s_wait_alu 0xfffe
	s_xor_b32 s0, exec_lo, s10
	s_cbranch_execz .LBB74_98
; %bb.97:
	v_ashrrev_i32_e32 v2, 31, v1
	s_delay_alu instid0(VALU_DEP_1) | instskip(NEXT) | instid1(VALU_DEP_1)
	v_lshlrev_b64_e32 v[1:2], 2, v[1:2]
	v_add_co_u32 v1, vcc_lo, s16, v1
	s_wait_alu 0xfffd
	s_delay_alu instid0(VALU_DEP_2)
	v_add_co_ci_u32_e64 v2, null, s17, v2, vcc_lo
	global_atomic_add_f32 v[1:2], v3, off scope:SCOPE_DEV
                                        ; implicit-def: $vgpr1
                                        ; implicit-def: $vgpr3
.LBB74_98:
	s_wait_alu 0xfffe
	s_and_not1_saveexec_b32 s0, s0
; %bb.99:
	v_subrev_nc_u32_e32 v1, s5, v1
	s_delay_alu instid0(VALU_DEP_1)
	v_lshl_add_u32 v1, v1, 2, 0x1000
	ds_add_f32 v1, v3
.LBB74_100:
	s_wait_alu 0xfffe
	s_or_b32 exec_lo, exec_lo, s12
.LBB74_101:
	s_wait_alu 0xfffe
	s_or_b32 exec_lo, exec_lo, s6
	s_min_i32 s6, s19, s7
	s_mov_b32 s7, exec_lo
	s_wait_alu 0xfffe
	s_sub_co_i32 s0, s6, s21
	s_wait_storecnt 0x0
	s_wait_loadcnt_dscnt 0x0
	s_barrier_signal -1
	s_barrier_wait -1
	global_inv scope:SCOPE_SE
	s_wait_alu 0xfffe
	v_cmpx_gt_i32_e64 s0, v0
	s_cbranch_execz .LBB74_104
; %bb.102:
	v_mov_b32_e32 v1, v0
	s_mov_b32 s10, 0
.LBB74_103:                             ; =>This Inner Loop Header: Depth=1
	s_delay_alu instid0(VALU_DEP_1) | instskip(SKIP_4) | instid1(VALU_DEP_1)
	v_add_nc_u32_e32 v2, s5, v1
	ds_load_b32 v4, v8
	v_add_nc_u32_e32 v1, 0x100, v1
	v_add_nc_u32_e32 v8, 0x400, v8
	v_ashrrev_i32_e32 v3, 31, v2
	v_lshlrev_b64_e32 v[2:3], 2, v[2:3]
	s_delay_alu instid0(VALU_DEP_1) | instskip(SKIP_1) | instid1(VALU_DEP_2)
	v_add_co_u32 v2, vcc_lo, s16, v2
	s_wait_alu 0xfffd
	v_add_co_ci_u32_e64 v3, null, s17, v3, vcc_lo
	v_cmp_le_i32_e32 vcc_lo, s0, v1
	s_wait_dscnt 0x0
	global_atomic_add_f32 v[2:3], v4, off scope:SCOPE_DEV
	s_wait_alu 0xfffe
	s_or_b32 s10, vcc_lo, s10
	s_wait_alu 0xfffe
	s_and_not1_b32 exec_lo, exec_lo, s10
	s_cbranch_execnz .LBB74_103
.LBB74_104:
	s_or_b32 exec_lo, exec_lo, s7
	s_mul_i32 s5, s1, s21
	s_add_co_i32 s7, s1, 1
	s_wait_alu 0xfffe
	s_sub_co_i32 s5, s4, s5
	v_add_nc_u32_e32 v1, s18, v0
	s_wait_alu 0xfffe
	s_sub_co_i32 s10, s5, s21
	s_cmp_ge_u32 s5, s21
	s_wait_loadcnt 0x0
	s_wait_storecnt 0x0
	s_cselect_b32 s1, s7, s1
	s_wait_alu 0xfffe
	s_cselect_b32 s5, s10, s5
	s_add_co_i32 s7, s1, 1
	s_wait_alu 0xfffe
	s_cmp_ge_u32 s5, s21
	s_barrier_signal -1
	s_cselect_b32 s1, s7, s1
	s_barrier_wait -1
	s_wait_alu 0xfffe
	s_add_co_i32 s1, s1, -1
	global_inv scope:SCOPE_SE
	s_wait_alu 0xfffe
	s_ashr_i32 s5, s1, 1
	s_wait_alu 0xfffe
	s_or_b32 s1, s5, s1
	s_wait_alu 0xfffe
	s_ashr_i32 s5, s1, 2
	s_wait_alu 0xfffe
	s_or_b32 s1, s5, s1
	;; [unrolled: 4-line block ×5, first 2 shown]
	s_mov_b32 s5, -1
	s_wait_alu 0xfffe
	s_add_co_i32 s1, s1, 1
	s_wait_alu 0xfffe
	s_ashr_i32 s1, s1, 1
	s_wait_alu 0xfffe
	s_cmp_gt_i32 s1, 1
	s_cbranch_scc1 .LBB74_113
; %bb.105:
	s_mov_b32 s5, exec_lo
	v_cmpx_gt_i32_e64 s19, v1
	s_cbranch_execz .LBB74_112
; %bb.106:
	s_sub_co_i32 s6, s6, s19
	v_mov_b32_e32 v2, v1
	s_lshl_b32 s10, s23, 2
	s_wait_alu 0xfffe
	s_lshl_b32 s6, s6, 2
	s_mov_b32 s7, 0
	s_wait_alu 0xfffe
	s_addk_co_i32 s6, 0x1000
	s_sub_co_i32 s10, 0, s10
	s_branch .LBB74_108
.LBB74_107:                             ;   in Loop: Header=BB74_108 Depth=1
	s_wait_alu 0xfffe
	s_or_b32 exec_lo, exec_lo, s11
	v_lshl_add_u32 v5, v2, 2, s6
	v_add_co_u32 v3, vcc_lo, s16, v3
	s_wait_alu 0xfffd
	v_add_co_ci_u32_e64 v4, null, s17, v4, vcc_lo
	ds_load_b32 v5, v5
	v_add_nc_u32_e32 v2, s4, v2
	s_delay_alu instid0(VALU_DEP_1)
	v_cmp_le_i32_e32 vcc_lo, s19, v2
	s_or_b32 s7, vcc_lo, s7
	s_wait_dscnt 0x0
	v_add_f32_e32 v5, v8, v5
	global_atomic_add_f32 v[3:4], v5, off scope:SCOPE_DEV
	s_wait_alu 0xfffe
	s_and_not1_b32 exec_lo, exec_lo, s7
	s_cbranch_execz .LBB74_112
.LBB74_108:                             ; =>This Loop Header: Depth=1
                                        ;     Child Loop BB74_110 Depth 2
	v_ashrrev_i32_e32 v3, 31, v2
	v_mov_b32_e32 v8, 0
	s_mov_b32 s11, exec_lo
	s_delay_alu instid0(VALU_DEP_2) | instskip(NEXT) | instid1(VALU_DEP_1)
	v_lshlrev_b64_e32 v[3:4], 2, v[2:3]
	v_add_co_u32 v5, vcc_lo, s8, v3
	s_wait_alu 0xfffd
	s_delay_alu instid0(VALU_DEP_2)
	v_add_co_ci_u32_e64 v6, null, s9, v4, vcc_lo
	global_load_b64 v[5:6], v[5:6], off
	s_wait_loadcnt 0x0
	v_cmpx_lt_i32_e64 v5, v6
	s_cbranch_execz .LBB74_107
; %bb.109:                              ;   in Loop: Header=BB74_108 Depth=1
	v_subrev_nc_u32_e32 v6, s23, v6
	v_subrev_nc_u32_e32 v9, s23, v5
	s_wait_alu 0xfffe
	v_lshl_add_u32 v5, v5, 2, s10
	v_mov_b32_e32 v8, 0
	s_mov_b32 s12, 0
.LBB74_110:                             ;   Parent Loop BB74_108 Depth=1
                                        ; =>  This Inner Loop Header: Depth=2
	ds_load_b32 v10, v5
	v_add_nc_u32_e32 v9, 1, v9
	s_wait_dscnt 0x0
	v_dual_add_f32 v8, v8, v10 :: v_dual_add_nc_u32 v5, 4, v5
	s_delay_alu instid0(VALU_DEP_2)
	v_cmp_ge_i32_e32 vcc_lo, v9, v6
	s_wait_alu 0xfffe
	s_or_b32 s12, vcc_lo, s12
	s_wait_alu 0xfffe
	s_and_not1_b32 exec_lo, exec_lo, s12
	s_cbranch_execnz .LBB74_110
; %bb.111:                              ;   in Loop: Header=BB74_108 Depth=1
	s_or_b32 exec_lo, exec_lo, s12
	s_branch .LBB74_107
.LBB74_112:
	s_wait_alu 0xfffe
	s_or_b32 exec_lo, exec_lo, s5
	s_mov_b32 s5, 0
.LBB74_113:
	s_wait_alu 0xfffe
	s_and_not1_b32 vcc_lo, exec_lo, s5
	s_wait_alu 0xfffe
	s_cbranch_vccnz .LBB74_126
; %bb.114:
	s_cvt_f32_u32 s4, s1
	s_sub_co_i32 s5, 0, s1
	s_wait_alu 0xfffe
	s_delay_alu instid0(SALU_CYCLE_1) | instskip(NEXT) | instid1(TRANS32_DEP_1)
	v_rcp_iflag_f32_e32 v2, s4
	v_readfirstlane_b32 s4, v2
	s_mul_f32 s4, s4, 0x4f7ffffe
	s_wait_alu 0xfffe
	s_delay_alu instid0(SALU_CYCLE_2) | instskip(SKIP_1) | instid1(SALU_CYCLE_2)
	s_cvt_u32_f32 s4, s4
	s_wait_alu 0xfffe
	s_mul_i32 s5, s5, s4
	s_wait_alu 0xfffe
	s_mul_hi_u32 s5, s4, s5
	s_wait_alu 0xfffe
	s_add_co_i32 s4, s4, s5
	s_wait_alu 0xfffe
	v_mul_hi_u32 v2, v0, s4
	s_delay_alu instid0(VALU_DEP_1) | instskip(NEXT) | instid1(VALU_DEP_1)
	v_mul_lo_u32 v3, v2, s1
	v_sub_nc_u32_e32 v3, v0, v3
	s_delay_alu instid0(VALU_DEP_1) | instskip(SKIP_2) | instid1(VALU_DEP_2)
	v_subrev_nc_u32_e32 v5, s1, v3
	v_cmp_le_u32_e32 vcc_lo, s1, v3
	s_wait_alu 0xfffd
	v_dual_cndmask_b32 v3, v3, v5 :: v_dual_add_nc_u32 v4, 1, v2
	s_delay_alu instid0(VALU_DEP_1) | instskip(NEXT) | instid1(VALU_DEP_2)
	v_cndmask_b32_e32 v2, v2, v4, vcc_lo
	v_cmp_le_u32_e32 vcc_lo, s1, v3
	s_delay_alu instid0(VALU_DEP_2) | instskip(SKIP_1) | instid1(VALU_DEP_1)
	v_add_nc_u32_e32 v4, 1, v2
	s_wait_alu 0xfffd
	v_cndmask_b32_e32 v4, v2, v4, vcc_lo
	s_delay_alu instid0(VALU_DEP_1)
	v_lshlrev_b32_e32 v2, 2, v4
	global_load_b64 v[2:3], v2, s[2:3]
	s_abs_i32 s3, s1
	s_wait_alu 0xfffe
	s_cvt_f32_u32 s2, s3
	s_wait_alu 0xfffe
	s_delay_alu instid0(SALU_CYCLE_2) | instskip(SKIP_1) | instid1(TRANS32_DEP_1)
	v_rcp_iflag_f32_e32 v5, s2
	s_mov_b32 s2, exec_lo
	v_readfirstlane_b32 s4, v5
	v_mov_b32_e32 v5, 0
	v_cmpx_gt_i32_e64 s21, v4
	s_cbranch_execz .LBB74_122
; %bb.115:
	s_wait_loadcnt 0x0
	v_subrev_nc_u32_e32 v2, s23, v2
	v_subrev_nc_u32_e32 v4, s23, v3
	s_mul_f32 s4, s4, 0x4f7ffffe
	s_sub_co_i32 s5, 0, s3
	s_wait_alu 0xfffe
	s_delay_alu instid0(SALU_CYCLE_1) | instskip(SKIP_2) | instid1(SALU_CYCLE_1)
	s_cvt_u32_f32 s4, s4
	v_sub_nc_u32_e32 v3, v4, v2
	s_wait_alu 0xfffe
	s_mul_i32 s5, s5, s4
	s_delay_alu instid0(VALU_DEP_1)
	v_sub_nc_u32_e32 v5, 0, v3
	s_wait_alu 0xfffe
	s_mul_hi_u32 s5, s4, s5
	s_wait_alu 0xfffe
	s_add_co_i32 s4, s4, s5
	v_max_i32_e32 v8, v3, v5
	v_ashrrev_i32_e32 v3, 31, v3
	s_wait_alu 0xfffe
	s_delay_alu instid0(VALU_DEP_2) | instskip(SKIP_4) | instid1(VALU_DEP_1)
	v_mad_co_u64_u32 v[5:6], null, v8, s4, 0
	s_ashr_i32 s4, s1, 31
	s_wait_alu 0xfffe
	v_xor_b32_e32 v3, s4, v3
	v_mul_lo_u32 v5, v6, s3
	v_sub_nc_u32_e32 v5, v8, v5
	s_delay_alu instid0(VALU_DEP_1) | instskip(SKIP_2) | instid1(VALU_DEP_2)
	v_subrev_nc_u32_e32 v9, s3, v5
	v_cmp_le_u32_e32 vcc_lo, s3, v5
	s_wait_alu 0xfffd
	v_dual_cndmask_b32 v5, v5, v9 :: v_dual_add_nc_u32 v8, 1, v6
	s_delay_alu instid0(VALU_DEP_1) | instskip(NEXT) | instid1(VALU_DEP_2)
	v_cndmask_b32_e32 v6, v6, v8, vcc_lo
	v_cmp_le_u32_e32 vcc_lo, s3, v5
	s_delay_alu instid0(VALU_DEP_2) | instskip(SKIP_2) | instid1(VALU_DEP_1)
	v_add_nc_u32_e32 v8, 1, v6
	s_add_co_i32 s3, s1, -1
	s_wait_alu 0xfffd
	v_cndmask_b32_e32 v5, v6, v8, vcc_lo
	s_wait_alu 0xfffe
	v_and_b32_e32 v8, s3, v0
	s_mov_b32 s3, exec_lo
	s_delay_alu instid0(VALU_DEP_2) | instskip(NEXT) | instid1(VALU_DEP_2)
	v_xor_b32_e32 v5, v5, v3
	v_lshlrev_b32_e32 v6, 2, v8
	s_delay_alu instid0(VALU_DEP_2) | instskip(SKIP_1) | instid1(VALU_DEP_2)
	v_sub_nc_u32_e32 v3, v5, v3
	v_mov_b32_e32 v5, 0
	v_cmpx_lt_i32_e32 0, v3
	s_cbranch_execz .LBB74_119
; %bb.116:
	v_lshl_add_u32 v9, v2, 2, v6
	v_dual_mov_b32 v5, 0 :: v_dual_mov_b32 v10, v3
	s_lshl_b32 s5, s1, 2
	s_mov_b32 s4, 0
.LBB74_117:                             ; =>This Inner Loop Header: Depth=1
	ds_load_b32 v11, v9
	v_add_nc_u32_e32 v10, -1, v10
	s_wait_alu 0xfffe
	v_add_nc_u32_e32 v9, s5, v9
	s_wait_dscnt 0x0
	v_add_f32_e32 v5, v5, v11
	v_cmp_eq_u32_e32 vcc_lo, 0, v10
	s_or_b32 s4, vcc_lo, s4
	s_wait_alu 0xfffe
	s_and_not1_b32 exec_lo, exec_lo, s4
	s_cbranch_execnz .LBB74_117
; %bb.118:
	s_or_b32 exec_lo, exec_lo, s4
.LBB74_119:
	s_wait_alu 0xfffe
	s_or_b32 exec_lo, exec_lo, s3
	v_mad_co_u64_u32 v[2:3], null, v3, s1, v[2:3]
	s_mov_b32 s3, exec_lo
	v_sub_nc_u32_e32 v3, v4, v2
	s_delay_alu instid0(VALU_DEP_1)
	v_cmpx_lt_i32_e64 v8, v3
	s_cbranch_execz .LBB74_121
; %bb.120:
	v_lshl_add_u32 v2, v2, 2, v6
	ds_load_b32 v2, v2
	s_wait_dscnt 0x0
	v_add_f32_e32 v5, v5, v2
.LBB74_121:
	s_wait_alu 0xfffe
	s_or_b32 exec_lo, exec_lo, s3
.LBB74_122:
	s_wait_alu 0xfffe
	s_or_b32 exec_lo, exec_lo, s2
	s_wait_loadcnt 0x0
	s_wait_storecnt 0x0
	s_barrier_signal -1
	s_barrier_wait -1
	global_inv scope:SCOPE_SE
	ds_store_b32 v7, v5
	s_wait_loadcnt_dscnt 0x0
	s_barrier_signal -1
	s_barrier_wait -1
	global_inv scope:SCOPE_SE
	s_mov_b32 s2, exec_lo
	v_cmpx_gt_i32_e64 s21, v0
	s_cbranch_execz .LBB74_126
; %bb.123:
	v_mul_lo_u32 v2, s1, v0
	s_delay_alu instid0(VALU_DEP_1)
	v_dual_mov_b32 v3, 0 :: v_dual_lshlrev_b32 v2, 2, v2
.LBB74_124:                             ; =>This Inner Loop Header: Depth=1
	ds_load_b32 v4, v2
	v_add_nc_u32_e32 v2, 4, v2
	s_add_co_i32 s1, s1, -1
	s_wait_alu 0xfffe
	s_cmp_eq_u32 s1, 0
	s_wait_dscnt 0x0
	v_add_f32_e32 v3, v3, v4
	s_cbranch_scc0 .LBB74_124
; %bb.125:
	v_lshlrev_b32_e32 v0, 2, v0
	s_lshl_b32 s0, s0, 2
	v_ashrrev_i32_e32 v2, 31, v1
	s_wait_alu 0xfffe
	s_delay_alu instid0(VALU_DEP_2) | instskip(SKIP_2) | instid1(VALU_DEP_1)
	v_add3_u32 v0, 0x1000, s0, v0
	ds_load_b32 v4, v0
	v_lshlrev_b64_e32 v[0:1], 2, v[1:2]
	v_add_co_u32 v0, vcc_lo, s16, v0
	s_wait_alu 0xfffd
	s_delay_alu instid0(VALU_DEP_2)
	v_add_co_ci_u32_e64 v1, null, s17, v1, vcc_lo
	s_wait_dscnt 0x0
	v_add_f32_e32 v2, v3, v4
	global_atomic_add_f32 v[0:1], v2, off scope:SCOPE_DEV
.LBB74_126:
	s_endpgm
	.section	.rodata,"a",@progbits
	.p2align	6, 0x0
	.amdhsa_kernel _ZN9rocsparseL27csrmvn_symm_adaptive_kernelIii18rocsparse_bfloat16S1_ffEEvbT_S2_PKS2_NS_24const_host_device_scalarIT4_EES4_PKT0_PKT1_PKT2_S7_PT3_21rocsparse_index_base_b
		.amdhsa_group_segment_fixed_size 4096
		.amdhsa_private_segment_fixed_size 0
		.amdhsa_kernarg_size 344
		.amdhsa_user_sgpr_count 2
		.amdhsa_user_sgpr_dispatch_ptr 0
		.amdhsa_user_sgpr_queue_ptr 0
		.amdhsa_user_sgpr_kernarg_segment_ptr 1
		.amdhsa_user_sgpr_dispatch_id 0
		.amdhsa_user_sgpr_private_segment_size 0
		.amdhsa_wavefront_size32 1
		.amdhsa_uses_dynamic_stack 0
		.amdhsa_enable_private_segment 0
		.amdhsa_system_sgpr_workgroup_id_x 1
		.amdhsa_system_sgpr_workgroup_id_y 0
		.amdhsa_system_sgpr_workgroup_id_z 0
		.amdhsa_system_sgpr_workgroup_info 0
		.amdhsa_system_vgpr_workitem_id 0
		.amdhsa_next_free_vgpr 15
		.amdhsa_next_free_sgpr 30
		.amdhsa_reserve_vcc 1
		.amdhsa_float_round_mode_32 0
		.amdhsa_float_round_mode_16_64 0
		.amdhsa_float_denorm_mode_32 3
		.amdhsa_float_denorm_mode_16_64 3
		.amdhsa_fp16_overflow 0
		.amdhsa_workgroup_processor_mode 1
		.amdhsa_memory_ordered 1
		.amdhsa_forward_progress 1
		.amdhsa_inst_pref_size 56
		.amdhsa_round_robin_scheduling 0
		.amdhsa_exception_fp_ieee_invalid_op 0
		.amdhsa_exception_fp_denorm_src 0
		.amdhsa_exception_fp_ieee_div_zero 0
		.amdhsa_exception_fp_ieee_overflow 0
		.amdhsa_exception_fp_ieee_underflow 0
		.amdhsa_exception_fp_ieee_inexact 0
		.amdhsa_exception_int_div_zero 0
	.end_amdhsa_kernel
	.section	.text._ZN9rocsparseL27csrmvn_symm_adaptive_kernelIii18rocsparse_bfloat16S1_ffEEvbT_S2_PKS2_NS_24const_host_device_scalarIT4_EES4_PKT0_PKT1_PKT2_S7_PT3_21rocsparse_index_base_b,"axG",@progbits,_ZN9rocsparseL27csrmvn_symm_adaptive_kernelIii18rocsparse_bfloat16S1_ffEEvbT_S2_PKS2_NS_24const_host_device_scalarIT4_EES4_PKT0_PKT1_PKT2_S7_PT3_21rocsparse_index_base_b,comdat
.Lfunc_end74:
	.size	_ZN9rocsparseL27csrmvn_symm_adaptive_kernelIii18rocsparse_bfloat16S1_ffEEvbT_S2_PKS2_NS_24const_host_device_scalarIT4_EES4_PKT0_PKT1_PKT2_S7_PT3_21rocsparse_index_base_b, .Lfunc_end74-_ZN9rocsparseL27csrmvn_symm_adaptive_kernelIii18rocsparse_bfloat16S1_ffEEvbT_S2_PKS2_NS_24const_host_device_scalarIT4_EES4_PKT0_PKT1_PKT2_S7_PT3_21rocsparse_index_base_b
                                        ; -- End function
	.set _ZN9rocsparseL27csrmvn_symm_adaptive_kernelIii18rocsparse_bfloat16S1_ffEEvbT_S2_PKS2_NS_24const_host_device_scalarIT4_EES4_PKT0_PKT1_PKT2_S7_PT3_21rocsparse_index_base_b.num_vgpr, 15
	.set _ZN9rocsparseL27csrmvn_symm_adaptive_kernelIii18rocsparse_bfloat16S1_ffEEvbT_S2_PKS2_NS_24const_host_device_scalarIT4_EES4_PKT0_PKT1_PKT2_S7_PT3_21rocsparse_index_base_b.num_agpr, 0
	.set _ZN9rocsparseL27csrmvn_symm_adaptive_kernelIii18rocsparse_bfloat16S1_ffEEvbT_S2_PKS2_NS_24const_host_device_scalarIT4_EES4_PKT0_PKT1_PKT2_S7_PT3_21rocsparse_index_base_b.numbered_sgpr, 30
	.set _ZN9rocsparseL27csrmvn_symm_adaptive_kernelIii18rocsparse_bfloat16S1_ffEEvbT_S2_PKS2_NS_24const_host_device_scalarIT4_EES4_PKT0_PKT1_PKT2_S7_PT3_21rocsparse_index_base_b.num_named_barrier, 0
	.set _ZN9rocsparseL27csrmvn_symm_adaptive_kernelIii18rocsparse_bfloat16S1_ffEEvbT_S2_PKS2_NS_24const_host_device_scalarIT4_EES4_PKT0_PKT1_PKT2_S7_PT3_21rocsparse_index_base_b.private_seg_size, 0
	.set _ZN9rocsparseL27csrmvn_symm_adaptive_kernelIii18rocsparse_bfloat16S1_ffEEvbT_S2_PKS2_NS_24const_host_device_scalarIT4_EES4_PKT0_PKT1_PKT2_S7_PT3_21rocsparse_index_base_b.uses_vcc, 1
	.set _ZN9rocsparseL27csrmvn_symm_adaptive_kernelIii18rocsparse_bfloat16S1_ffEEvbT_S2_PKS2_NS_24const_host_device_scalarIT4_EES4_PKT0_PKT1_PKT2_S7_PT3_21rocsparse_index_base_b.uses_flat_scratch, 0
	.set _ZN9rocsparseL27csrmvn_symm_adaptive_kernelIii18rocsparse_bfloat16S1_ffEEvbT_S2_PKS2_NS_24const_host_device_scalarIT4_EES4_PKT0_PKT1_PKT2_S7_PT3_21rocsparse_index_base_b.has_dyn_sized_stack, 0
	.set _ZN9rocsparseL27csrmvn_symm_adaptive_kernelIii18rocsparse_bfloat16S1_ffEEvbT_S2_PKS2_NS_24const_host_device_scalarIT4_EES4_PKT0_PKT1_PKT2_S7_PT3_21rocsparse_index_base_b.has_recursion, 0
	.set _ZN9rocsparseL27csrmvn_symm_adaptive_kernelIii18rocsparse_bfloat16S1_ffEEvbT_S2_PKS2_NS_24const_host_device_scalarIT4_EES4_PKT0_PKT1_PKT2_S7_PT3_21rocsparse_index_base_b.has_indirect_call, 0
	.section	.AMDGPU.csdata,"",@progbits
; Kernel info:
; codeLenInByte = 7044
; TotalNumSgprs: 32
; NumVgprs: 15
; ScratchSize: 0
; MemoryBound: 0
; FloatMode: 240
; IeeeMode: 1
; LDSByteSize: 4096 bytes/workgroup (compile time only)
; SGPRBlocks: 0
; VGPRBlocks: 1
; NumSGPRsForWavesPerEU: 32
; NumVGPRsForWavesPerEU: 15
; Occupancy: 16
; WaveLimiterHint : 1
; COMPUTE_PGM_RSRC2:SCRATCH_EN: 0
; COMPUTE_PGM_RSRC2:USER_SGPR: 2
; COMPUTE_PGM_RSRC2:TRAP_HANDLER: 0
; COMPUTE_PGM_RSRC2:TGID_X_EN: 1
; COMPUTE_PGM_RSRC2:TGID_Y_EN: 0
; COMPUTE_PGM_RSRC2:TGID_Z_EN: 0
; COMPUTE_PGM_RSRC2:TIDIG_COMP_CNT: 0
	.section	.text._ZL33csrmvn_symm_large_adaptive_kernelIii18rocsparse_bfloat16S0_ffEvbT_PKS1_N9rocsparse24const_host_device_scalarIT4_EES3_PKT0_PKT1_PKT2_S7_PT3_21rocsparse_index_base_b,"axG",@progbits,_ZL33csrmvn_symm_large_adaptive_kernelIii18rocsparse_bfloat16S0_ffEvbT_PKS1_N9rocsparse24const_host_device_scalarIT4_EES3_PKT0_PKT1_PKT2_S7_PT3_21rocsparse_index_base_b,comdat
	.globl	_ZL33csrmvn_symm_large_adaptive_kernelIii18rocsparse_bfloat16S0_ffEvbT_PKS1_N9rocsparse24const_host_device_scalarIT4_EES3_PKT0_PKT1_PKT2_S7_PT3_21rocsparse_index_base_b ; -- Begin function _ZL33csrmvn_symm_large_adaptive_kernelIii18rocsparse_bfloat16S0_ffEvbT_PKS1_N9rocsparse24const_host_device_scalarIT4_EES3_PKT0_PKT1_PKT2_S7_PT3_21rocsparse_index_base_b
	.p2align	8
	.type	_ZL33csrmvn_symm_large_adaptive_kernelIii18rocsparse_bfloat16S0_ffEvbT_PKS1_N9rocsparse24const_host_device_scalarIT4_EES3_PKT0_PKT1_PKT2_S7_PT3_21rocsparse_index_base_b,@function
_ZL33csrmvn_symm_large_adaptive_kernelIii18rocsparse_bfloat16S0_ffEvbT_PKS1_N9rocsparse24const_host_device_scalarIT4_EES3_PKT0_PKT1_PKT2_S7_PT3_21rocsparse_index_base_b: ; @_ZL33csrmvn_symm_large_adaptive_kernelIii18rocsparse_bfloat16S0_ffEvbT_PKS1_N9rocsparse24const_host_device_scalarIT4_EES3_PKT0_PKT1_PKT2_S7_PT3_21rocsparse_index_base_b
; %bb.0:
	s_clause 0x2
	s_load_b64 s[6:7], s[0:1], 0x48
	s_load_b64 s[16:17], s[0:1], 0x10
	s_load_b64 s[2:3], s[0:1], 0x38
	s_wait_kmcnt 0x0
	s_bitcmp1_b32 s7, 0
	s_cselect_b32 s4, -1, 0
	s_delay_alu instid0(SALU_CYCLE_1)
	s_and_b32 vcc_lo, exec_lo, s4
	s_xor_b32 s4, s4, -1
	s_cbranch_vccnz .LBB75_2
; %bb.1:
	s_load_b32 s16, s[16:17], 0x0
.LBB75_2:
	s_and_not1_b32 vcc_lo, exec_lo, s4
	s_cbranch_vccnz .LBB75_4
; %bb.3:
	s_load_b32 s2, s[2:3], 0x0
.LBB75_4:
	s_wait_kmcnt 0x0
	s_cmp_neq_f32 s16, 0
	s_cselect_b32 s3, -1, 0
	s_cmp_neq_f32 s2, 1.0
	s_cselect_b32 s2, -1, 0
	s_delay_alu instid0(SALU_CYCLE_1) | instskip(NEXT) | instid1(SALU_CYCLE_1)
	s_or_b32 s2, s3, s2
	s_and_not1_b32 vcc_lo, exec_lo, s2
	s_cbranch_vccnz .LBB75_32
; %bb.5:
	s_load_b64 s[4:5], s[0:1], 0x8
	s_mov_b32 s2, ttmp9
	s_ashr_i32 s3, ttmp9, 31
	v_dual_mov_b32 v6, 0 :: v_dual_lshlrev_b32 v5, 2, v0
	s_lshl_b64 s[2:3], s[2:3], 2
	ds_store_2addr_stride64_b32 v5, v6, v6 offset1:4
	ds_store_2addr_stride64_b32 v5, v6, v6 offset0:8 offset1:12
	s_wait_dscnt 0x0
	s_barrier_signal -1
	s_barrier_wait -1
	global_inv scope:SCOPE_SE
	v_subrev_nc_u32_e32 v7, s6, v0
	s_wait_kmcnt 0x0
	s_add_nc_u64 s[2:3], s[4:5], s[2:3]
	s_load_b64 s[18:19], s[2:3], 0x0
	s_clause 0x1
	s_load_b256 s[8:15], s[0:1], 0x18
	s_load_b64 s[20:21], s[0:1], 0x40
	s_wait_kmcnt 0x0
	s_cmp_ge_i32 s18, s19
	s_cbranch_scc1 .LBB75_23
; %bb.6:
	v_cmp_gt_u32_e64 s0, 16, v0
	v_cmp_gt_u32_e64 s1, 4, v0
	v_cmp_eq_u32_e64 s2, 0, v0
	s_mov_b32 s22, s18
	v_cmp_gt_u32_e32 vcc_lo, 64, v0
	s_branch .LBB75_8
.LBB75_7:                               ;   in Loop: Header=BB75_8 Depth=1
	s_wait_alu 0xfffe
	s_or_b32 exec_lo, exec_lo, s4
	s_add_co_i32 s22, s22, 1
	s_delay_alu instid0(SALU_CYCLE_1)
	s_cmp_ge_i32 s22, s19
	s_cbranch_scc1 .LBB75_23
.LBB75_8:                               ; =>This Loop Header: Depth=1
                                        ;     Child Loop BB75_10 Depth 2
	s_ashr_i32 s23, s22, 31
	v_mov_b32_e32 v8, 0
	s_lshl_b64 s[24:25], s[22:23], 2
	s_delay_alu instid0(SALU_CYCLE_1)
	s_add_nc_u64 s[4:5], s[8:9], s[24:25]
	s_load_b64 s[4:5], s[4:5], 0x0
	s_wait_kmcnt 0x0
	v_add_nc_u32_e32 v0, s4, v7
	s_sub_co_i32 s7, s5, s6
	s_mov_b32 s5, exec_lo
	s_wait_alu 0xfffe
	s_delay_alu instid0(VALU_DEP_1)
	v_cmpx_gt_i32_e64 s7, v0
	s_cbranch_execz .LBB75_12
; %bb.9:                                ;   in Loop: Header=BB75_8 Depth=1
	v_ashrrev_i32_e32 v1, 31, v0
	s_mov_b32 s17, 0
	s_delay_alu instid0(VALU_DEP_1) | instskip(SKIP_1) | instid1(VALU_DEP_2)
	v_lshlrev_b64_e32 v[2:3], 2, v[0:1]
	v_lshlrev_b64_e32 v[8:9], 1, v[0:1]
	v_add_co_u32 v1, s3, s10, v2
	s_wait_alu 0xf1ff
	s_delay_alu instid0(VALU_DEP_3) | instskip(NEXT) | instid1(VALU_DEP_3)
	v_add_co_ci_u32_e64 v2, null, s11, v3, s3
	v_add_co_u32 v3, s3, s12, v8
	s_wait_alu 0xf1ff
	v_add_co_ci_u32_e64 v4, null, s13, v9, s3
	v_mov_b32_e32 v8, 0
.LBB75_10:                              ;   Parent Loop BB75_8 Depth=1
                                        ; =>  This Inner Loop Header: Depth=2
	global_load_b32 v9, v[1:2], off
	v_add_nc_u32_e32 v0, 0x100, v0
	s_delay_alu instid0(VALU_DEP_1) | instskip(SKIP_4) | instid1(VALU_DEP_1)
	v_cmp_le_i32_e64 s4, s7, v0
	s_wait_alu 0xfffe
	s_or_b32 s17, s4, s17
	s_wait_loadcnt 0x0
	v_subrev_nc_u32_e32 v9, s6, v9
	v_ashrrev_i32_e32 v10, 31, v9
	s_delay_alu instid0(VALU_DEP_1) | instskip(NEXT) | instid1(VALU_DEP_1)
	v_lshlrev_b64_e32 v[9:10], 1, v[9:10]
	v_add_co_u32 v9, s3, s14, v9
	s_wait_alu 0xf1ff
	s_delay_alu instid0(VALU_DEP_2)
	v_add_co_ci_u32_e64 v10, null, s15, v10, s3
	v_add_co_u32 v1, s3, 0x400, v1
	global_load_u16 v11, v[3:4], off
	global_load_u16 v9, v[9:10], off
	s_wait_alu 0xf1ff
	v_add_co_ci_u32_e64 v2, null, 0, v2, s3
	v_add_co_u32 v3, s3, 0x200, v3
	s_wait_alu 0xf1ff
	v_add_co_ci_u32_e64 v4, null, 0, v4, s3
	s_wait_loadcnt 0x1
	v_lshlrev_b32_e32 v10, 16, v11
	s_wait_loadcnt 0x0
	v_lshlrev_b32_e32 v9, 16, v9
	s_delay_alu instid0(VALU_DEP_1)
	v_fmac_f32_e32 v8, v10, v9
	s_wait_alu 0xfffe
	s_and_not1_b32 exec_lo, exec_lo, s17
	s_cbranch_execnz .LBB75_10
; %bb.11:                               ;   in Loop: Header=BB75_8 Depth=1
	s_or_b32 exec_lo, exec_lo, s17
.LBB75_12:                              ;   in Loop: Header=BB75_8 Depth=1
	s_delay_alu instid0(SALU_CYCLE_1)
	s_or_b32 exec_lo, exec_lo, s5
	ds_store_b32 v5, v8
	s_wait_loadcnt_dscnt 0x0
	s_barrier_signal -1
	s_barrier_wait -1
	global_inv scope:SCOPE_SE
	ds_load_2addr_stride64_b32 v[0:1], v5 offset1:4
	ds_load_2addr_stride64_b32 v[2:3], v5 offset0:8 offset1:12
	s_wait_dscnt 0x0
	v_add_f32_e32 v1, v1, v2
	s_delay_alu instid0(VALU_DEP_1) | instskip(NEXT) | instid1(VALU_DEP_1)
	v_add_f32_e32 v1, v1, v3
	v_add_f32_e32 v0, v0, v1
	ds_store_b32 v5, v0
	s_wait_loadcnt_dscnt 0x0
	s_barrier_signal -1
	s_barrier_wait -1
	global_inv scope:SCOPE_SE
	s_and_saveexec_b32 s3, vcc_lo
	s_cbranch_execz .LBB75_14
; %bb.13:                               ;   in Loop: Header=BB75_8 Depth=1
	ds_load_2addr_stride64_b32 v[0:1], v5 offset1:1
	ds_load_2addr_stride64_b32 v[2:3], v5 offset0:2 offset1:3
	s_wait_dscnt 0x0
	v_add_f32_e32 v1, v1, v2
	s_delay_alu instid0(VALU_DEP_1) | instskip(NEXT) | instid1(VALU_DEP_1)
	v_add_f32_e32 v1, v1, v3
	v_add_f32_e32 v0, v0, v1
	ds_store_b32 v5, v0
.LBB75_14:                              ;   in Loop: Header=BB75_8 Depth=1
	s_wait_alu 0xfffe
	s_or_b32 exec_lo, exec_lo, s3
	s_wait_loadcnt_dscnt 0x0
	s_barrier_signal -1
	s_barrier_wait -1
	global_inv scope:SCOPE_SE
	s_and_saveexec_b32 s3, s0
	s_cbranch_execz .LBB75_16
; %bb.15:                               ;   in Loop: Header=BB75_8 Depth=1
	ds_load_2addr_b32 v[0:1], v5 offset1:16
	ds_load_2addr_b32 v[2:3], v5 offset0:32 offset1:48
	s_wait_dscnt 0x0
	v_add_f32_e32 v1, v1, v2
	s_delay_alu instid0(VALU_DEP_1) | instskip(NEXT) | instid1(VALU_DEP_1)
	v_add_f32_e32 v1, v1, v3
	v_add_f32_e32 v0, v0, v1
	ds_store_b32 v5, v0
.LBB75_16:                              ;   in Loop: Header=BB75_8 Depth=1
	s_wait_alu 0xfffe
	s_or_b32 exec_lo, exec_lo, s3
	s_wait_loadcnt_dscnt 0x0
	s_barrier_signal -1
	s_barrier_wait -1
	global_inv scope:SCOPE_SE
	s_and_saveexec_b32 s3, s1
	s_cbranch_execz .LBB75_18
; %bb.17:                               ;   in Loop: Header=BB75_8 Depth=1
	ds_load_2addr_b32 v[0:1], v5 offset1:4
	ds_load_2addr_b32 v[2:3], v5 offset0:8 offset1:12
	s_wait_dscnt 0x0
	v_add_f32_e32 v1, v1, v2
	s_delay_alu instid0(VALU_DEP_1) | instskip(NEXT) | instid1(VALU_DEP_1)
	v_add_f32_e32 v1, v1, v3
	v_add_f32_e32 v0, v0, v1
	ds_store_b32 v5, v0
.LBB75_18:                              ;   in Loop: Header=BB75_8 Depth=1
	s_wait_alu 0xfffe
	s_or_b32 exec_lo, exec_lo, s3
	s_wait_loadcnt_dscnt 0x0
	s_barrier_signal -1
	s_barrier_wait -1
	global_inv scope:SCOPE_SE
	s_and_saveexec_b32 s3, s2
	s_cbranch_execz .LBB75_20
; %bb.19:                               ;   in Loop: Header=BB75_8 Depth=1
	ds_load_2addr_b32 v[0:1], v6 offset0:1 offset1:2
	ds_load_b32 v2, v6 offset:12
	ds_load_b32 v3, v5
	s_wait_dscnt 0x2
	v_add_f32_e32 v0, v0, v1
	s_wait_dscnt 0x1
	s_delay_alu instid0(VALU_DEP_1) | instskip(SKIP_1) | instid1(VALU_DEP_1)
	v_add_f32_e32 v0, v0, v2
	s_wait_dscnt 0x0
	v_add_f32_e32 v0, v3, v0
	ds_store_b32 v5, v0
.LBB75_20:                              ;   in Loop: Header=BB75_8 Depth=1
	s_wait_alu 0xfffe
	s_or_b32 exec_lo, exec_lo, s3
	s_wait_loadcnt_dscnt 0x0
	s_barrier_signal -1
	s_barrier_wait -1
	global_inv scope:SCOPE_SE
	s_and_saveexec_b32 s4, s2
	s_cbranch_execz .LBB75_7
; %bb.21:                               ;   in Loop: Header=BB75_8 Depth=1
	s_mov_b32 s5, exec_lo
	s_wait_alu 0xfffe
	v_mbcnt_lo_u32_b32 v0, s5, 0
	s_delay_alu instid0(VALU_DEP_1)
	v_cmp_eq_u32_e64 s3, 0, v0
	s_and_b32 s3, exec_lo, s3
	s_wait_alu 0xfffe
	s_mov_b32 exec_lo, s3
	s_cbranch_execz .LBB75_7
; %bb.22:                               ;   in Loop: Header=BB75_8 Depth=1
	ds_load_b32 v0, v6
	s_bcnt1_i32_b32 s3, s5
	s_add_nc_u64 s[24:25], s[20:21], s[24:25]
	s_wait_alu 0xfffe
	v_cvt_f32_ubyte0_e32 v1, s3
	s_wait_dscnt 0x0
	v_mul_f32_e32 v0, s16, v0
	s_delay_alu instid0(VALU_DEP_1)
	v_mul_f32_e32 v0, v0, v1
	global_atomic_add_f32 v6, v0, s[24:25] scope:SCOPE_DEV
	s_branch .LBB75_7
.LBB75_23:
	s_ashr_i32 s1, s18, 31
	s_mov_b32 s0, s18
	s_ashr_i32 s3, s19, 31
	s_lshl_b64 s[0:1], s[0:1], 2
	s_mov_b32 s2, s19
	s_add_nc_u64 s[0:1], s[8:9], s[0:1]
	s_wait_alu 0xfffe
	s_lshl_b64 s[2:3], s[2:3], 2
	s_load_b32 s4, s[0:1], 0x0
	s_add_nc_u64 s[0:1], s[8:9], s[2:3]
	s_load_b32 s0, s[0:1], 0x0
	s_wait_kmcnt 0x0
	v_add_nc_u32_e32 v0, s4, v7
	s_sub_co_i32 s1, s0, s6
	s_mov_b32 s0, exec_lo
	s_delay_alu instid0(VALU_DEP_1)
	v_cmpx_gt_i32_e64 s1, v0
	s_cbranch_execz .LBB75_32
; %bb.24:
	s_add_co_i32 s2, s19, -1
	s_mov_b32 s4, 0
	s_wait_alu 0xfffe
	s_cmp_lt_i32 s18, s2
	s_cselect_b32 s0, -1, 0
	s_add_co_i32 s3, s19, -2
	s_wait_alu 0xfffe
	s_cmp_lg_u32 s18, s3
	s_cselect_b32 s3, -1, 0
	s_wait_alu 0xfffe
	s_and_b32 s3, s0, s3
	s_branch .LBB75_26
.LBB75_25:                              ;   in Loop: Header=BB75_26 Depth=1
	s_wait_alu 0xfffe
	s_or_b32 exec_lo, exec_lo, s0
	v_add_nc_u32_e32 v0, 0x100, v0
	s_delay_alu instid0(VALU_DEP_1)
	v_cmp_le_i32_e32 vcc_lo, s1, v0
	s_or_b32 s4, vcc_lo, s4
	s_wait_alu 0xfffe
	s_and_not1_b32 exec_lo, exec_lo, s4
	s_cbranch_execz .LBB75_32
.LBB75_26:                              ; =>This Loop Header: Depth=1
                                        ;     Child Loop BB75_28 Depth 2
	v_mov_b32_e32 v4, s18
	v_mov_b32_e32 v2, s2
	s_wait_alu 0xfffe
	s_and_not1_b32 vcc_lo, exec_lo, s3
	s_wait_alu 0xfffe
	s_cbranch_vccnz .LBB75_30
; %bb.27:                               ;   in Loop: Header=BB75_26 Depth=1
	v_mov_b32_e32 v4, s18
	v_mov_b32_e32 v2, s2
	s_mov_b32 s5, 0
.LBB75_28:                              ;   Parent Loop BB75_26 Depth=1
                                        ; =>  This Inner Loop Header: Depth=2
	s_delay_alu instid0(VALU_DEP_1) | instskip(NEXT) | instid1(VALU_DEP_1)
	v_add_nc_u32_e32 v1, v2, v4
	v_lshrrev_b32_e32 v3, 31, v1
	s_delay_alu instid0(VALU_DEP_1) | instskip(NEXT) | instid1(VALU_DEP_1)
	v_add_nc_u32_e32 v1, v1, v3
	v_ashrrev_i32_e32 v5, 1, v1
	s_delay_alu instid0(VALU_DEP_1) | instskip(NEXT) | instid1(VALU_DEP_1)
	v_ashrrev_i32_e32 v6, 31, v5
	v_lshlrev_b64_e32 v[6:7], 2, v[5:6]
	s_delay_alu instid0(VALU_DEP_1) | instskip(SKIP_1) | instid1(VALU_DEP_2)
	v_add_co_u32 v6, vcc_lo, s8, v6
	s_wait_alu 0xfffd
	v_add_co_ci_u32_e64 v7, null, s9, v7, vcc_lo
	global_load_b32 v1, v[6:7], off
	s_wait_loadcnt 0x0
	v_subrev_nc_u32_e32 v1, s6, v1
	s_delay_alu instid0(VALU_DEP_1) | instskip(SKIP_2) | instid1(VALU_DEP_1)
	v_cmp_lt_i32_e32 vcc_lo, v0, v1
	s_wait_alu 0xfffd
	v_cndmask_b32_e32 v2, v2, v5, vcc_lo
	v_dual_cndmask_b32 v4, v5, v4 :: v_dual_add_nc_u32 v1, -1, v2
	s_delay_alu instid0(VALU_DEP_1) | instskip(NEXT) | instid1(VALU_DEP_2)
	v_cmp_ge_i32_e32 vcc_lo, v4, v2
	v_cmp_eq_u32_e64 s0, v4, v1
	s_or_b32 s0, vcc_lo, s0
	s_wait_alu 0xfffe
	s_and_b32 s0, exec_lo, s0
	s_wait_alu 0xfffe
	s_or_b32 s5, s0, s5
	s_wait_alu 0xfffe
	s_and_not1_b32 exec_lo, exec_lo, s5
	s_cbranch_execnz .LBB75_28
; %bb.29:                               ;   in Loop: Header=BB75_26 Depth=1
	s_or_b32 exec_lo, exec_lo, s5
.LBB75_30:                              ;   in Loop: Header=BB75_26 Depth=1
	v_ashrrev_i32_e32 v3, 31, v2
	v_ashrrev_i32_e32 v1, 31, v0
	s_mov_b32 s0, exec_lo
	s_delay_alu instid0(VALU_DEP_2) | instskip(NEXT) | instid1(VALU_DEP_2)
	v_lshlrev_b64_e32 v[5:6], 2, v[2:3]
	v_lshlrev_b64_e32 v[7:8], 2, v[0:1]
	s_delay_alu instid0(VALU_DEP_2) | instskip(SKIP_1) | instid1(VALU_DEP_3)
	v_add_co_u32 v5, vcc_lo, s8, v5
	s_wait_alu 0xfffd
	v_add_co_ci_u32_e64 v6, null, s9, v6, vcc_lo
	global_load_b32 v3, v[5:6], off
	v_add_co_u32 v5, vcc_lo, s10, v7
	s_wait_alu 0xfffd
	v_add_co_ci_u32_e64 v6, null, s11, v8, vcc_lo
	global_load_b32 v5, v[5:6], off
	s_wait_loadcnt 0x1
	v_subrev_nc_u32_e32 v3, s6, v3
	s_delay_alu instid0(VALU_DEP_1) | instskip(SKIP_4) | instid1(VALU_DEP_1)
	v_cmp_lt_i32_e32 vcc_lo, v0, v3
	s_wait_alu 0xfffd
	v_cndmask_b32_e32 v3, v2, v4, vcc_lo
	s_wait_loadcnt 0x0
	v_subrev_nc_u32_e32 v2, s6, v5
	v_cmpx_ne_u32_e64 v2, v3
	s_cbranch_execz .LBB75_25
; %bb.31:                               ;   in Loop: Header=BB75_26 Depth=1
	v_lshlrev_b64_e32 v[5:6], 1, v[0:1]
	v_ashrrev_i32_e32 v4, 31, v3
	s_delay_alu instid0(VALU_DEP_1) | instskip(NEXT) | instid1(VALU_DEP_3)
	v_lshlrev_b64_e32 v[3:4], 1, v[3:4]
	v_add_co_u32 v5, vcc_lo, s12, v5
	s_wait_alu 0xfffd
	s_delay_alu instid0(VALU_DEP_4) | instskip(NEXT) | instid1(VALU_DEP_3)
	v_add_co_ci_u32_e64 v6, null, s13, v6, vcc_lo
	v_add_co_u32 v3, vcc_lo, s14, v3
	global_load_u16 v1, v[5:6], off
	s_wait_alu 0xfffd
	v_add_co_ci_u32_e64 v4, null, s15, v4, vcc_lo
	global_load_u16 v4, v[3:4], off
	v_ashrrev_i32_e32 v3, 31, v2
	s_wait_loadcnt 0x1
	v_lshlrev_b32_e32 v5, 16, v1
	s_delay_alu instid0(VALU_DEP_2) | instskip(SKIP_1) | instid1(VALU_DEP_2)
	v_lshlrev_b64_e32 v[1:2], 2, v[2:3]
	s_wait_loadcnt 0x0
	v_dual_mul_f32 v3, s16, v5 :: v_dual_lshlrev_b32 v4, 16, v4
	s_delay_alu instid0(VALU_DEP_2) | instskip(SKIP_1) | instid1(VALU_DEP_3)
	v_add_co_u32 v1, vcc_lo, s20, v1
	s_wait_alu 0xfffd
	v_add_co_ci_u32_e64 v2, null, s21, v2, vcc_lo
	s_delay_alu instid0(VALU_DEP_3)
	v_mul_f32_e32 v3, v3, v4
	global_atomic_add_f32 v[1:2], v3, off scope:SCOPE_DEV
	s_branch .LBB75_25
.LBB75_32:
	s_endpgm
	.section	.rodata,"a",@progbits
	.p2align	6, 0x0
	.amdhsa_kernel _ZL33csrmvn_symm_large_adaptive_kernelIii18rocsparse_bfloat16S0_ffEvbT_PKS1_N9rocsparse24const_host_device_scalarIT4_EES3_PKT0_PKT1_PKT2_S7_PT3_21rocsparse_index_base_b
		.amdhsa_group_segment_fixed_size 4096
		.amdhsa_private_segment_fixed_size 0
		.amdhsa_kernarg_size 80
		.amdhsa_user_sgpr_count 2
		.amdhsa_user_sgpr_dispatch_ptr 0
		.amdhsa_user_sgpr_queue_ptr 0
		.amdhsa_user_sgpr_kernarg_segment_ptr 1
		.amdhsa_user_sgpr_dispatch_id 0
		.amdhsa_user_sgpr_private_segment_size 0
		.amdhsa_wavefront_size32 1
		.amdhsa_uses_dynamic_stack 0
		.amdhsa_enable_private_segment 0
		.amdhsa_system_sgpr_workgroup_id_x 1
		.amdhsa_system_sgpr_workgroup_id_y 0
		.amdhsa_system_sgpr_workgroup_id_z 0
		.amdhsa_system_sgpr_workgroup_info 0
		.amdhsa_system_vgpr_workitem_id 0
		.amdhsa_next_free_vgpr 12
		.amdhsa_next_free_sgpr 26
		.amdhsa_reserve_vcc 1
		.amdhsa_float_round_mode_32 0
		.amdhsa_float_round_mode_16_64 0
		.amdhsa_float_denorm_mode_32 3
		.amdhsa_float_denorm_mode_16_64 3
		.amdhsa_fp16_overflow 0
		.amdhsa_workgroup_processor_mode 1
		.amdhsa_memory_ordered 1
		.amdhsa_forward_progress 1
		.amdhsa_inst_pref_size 15
		.amdhsa_round_robin_scheduling 0
		.amdhsa_exception_fp_ieee_invalid_op 0
		.amdhsa_exception_fp_denorm_src 0
		.amdhsa_exception_fp_ieee_div_zero 0
		.amdhsa_exception_fp_ieee_overflow 0
		.amdhsa_exception_fp_ieee_underflow 0
		.amdhsa_exception_fp_ieee_inexact 0
		.amdhsa_exception_int_div_zero 0
	.end_amdhsa_kernel
	.section	.text._ZL33csrmvn_symm_large_adaptive_kernelIii18rocsparse_bfloat16S0_ffEvbT_PKS1_N9rocsparse24const_host_device_scalarIT4_EES3_PKT0_PKT1_PKT2_S7_PT3_21rocsparse_index_base_b,"axG",@progbits,_ZL33csrmvn_symm_large_adaptive_kernelIii18rocsparse_bfloat16S0_ffEvbT_PKS1_N9rocsparse24const_host_device_scalarIT4_EES3_PKT0_PKT1_PKT2_S7_PT3_21rocsparse_index_base_b,comdat
.Lfunc_end75:
	.size	_ZL33csrmvn_symm_large_adaptive_kernelIii18rocsparse_bfloat16S0_ffEvbT_PKS1_N9rocsparse24const_host_device_scalarIT4_EES3_PKT0_PKT1_PKT2_S7_PT3_21rocsparse_index_base_b, .Lfunc_end75-_ZL33csrmvn_symm_large_adaptive_kernelIii18rocsparse_bfloat16S0_ffEvbT_PKS1_N9rocsparse24const_host_device_scalarIT4_EES3_PKT0_PKT1_PKT2_S7_PT3_21rocsparse_index_base_b
                                        ; -- End function
	.set _ZL33csrmvn_symm_large_adaptive_kernelIii18rocsparse_bfloat16S0_ffEvbT_PKS1_N9rocsparse24const_host_device_scalarIT4_EES3_PKT0_PKT1_PKT2_S7_PT3_21rocsparse_index_base_b.num_vgpr, 12
	.set _ZL33csrmvn_symm_large_adaptive_kernelIii18rocsparse_bfloat16S0_ffEvbT_PKS1_N9rocsparse24const_host_device_scalarIT4_EES3_PKT0_PKT1_PKT2_S7_PT3_21rocsparse_index_base_b.num_agpr, 0
	.set _ZL33csrmvn_symm_large_adaptive_kernelIii18rocsparse_bfloat16S0_ffEvbT_PKS1_N9rocsparse24const_host_device_scalarIT4_EES3_PKT0_PKT1_PKT2_S7_PT3_21rocsparse_index_base_b.numbered_sgpr, 26
	.set _ZL33csrmvn_symm_large_adaptive_kernelIii18rocsparse_bfloat16S0_ffEvbT_PKS1_N9rocsparse24const_host_device_scalarIT4_EES3_PKT0_PKT1_PKT2_S7_PT3_21rocsparse_index_base_b.num_named_barrier, 0
	.set _ZL33csrmvn_symm_large_adaptive_kernelIii18rocsparse_bfloat16S0_ffEvbT_PKS1_N9rocsparse24const_host_device_scalarIT4_EES3_PKT0_PKT1_PKT2_S7_PT3_21rocsparse_index_base_b.private_seg_size, 0
	.set _ZL33csrmvn_symm_large_adaptive_kernelIii18rocsparse_bfloat16S0_ffEvbT_PKS1_N9rocsparse24const_host_device_scalarIT4_EES3_PKT0_PKT1_PKT2_S7_PT3_21rocsparse_index_base_b.uses_vcc, 1
	.set _ZL33csrmvn_symm_large_adaptive_kernelIii18rocsparse_bfloat16S0_ffEvbT_PKS1_N9rocsparse24const_host_device_scalarIT4_EES3_PKT0_PKT1_PKT2_S7_PT3_21rocsparse_index_base_b.uses_flat_scratch, 0
	.set _ZL33csrmvn_symm_large_adaptive_kernelIii18rocsparse_bfloat16S0_ffEvbT_PKS1_N9rocsparse24const_host_device_scalarIT4_EES3_PKT0_PKT1_PKT2_S7_PT3_21rocsparse_index_base_b.has_dyn_sized_stack, 0
	.set _ZL33csrmvn_symm_large_adaptive_kernelIii18rocsparse_bfloat16S0_ffEvbT_PKS1_N9rocsparse24const_host_device_scalarIT4_EES3_PKT0_PKT1_PKT2_S7_PT3_21rocsparse_index_base_b.has_recursion, 0
	.set _ZL33csrmvn_symm_large_adaptive_kernelIii18rocsparse_bfloat16S0_ffEvbT_PKS1_N9rocsparse24const_host_device_scalarIT4_EES3_PKT0_PKT1_PKT2_S7_PT3_21rocsparse_index_base_b.has_indirect_call, 0
	.section	.AMDGPU.csdata,"",@progbits
; Kernel info:
; codeLenInByte = 1860
; TotalNumSgprs: 28
; NumVgprs: 12
; ScratchSize: 0
; MemoryBound: 0
; FloatMode: 240
; IeeeMode: 1
; LDSByteSize: 4096 bytes/workgroup (compile time only)
; SGPRBlocks: 0
; VGPRBlocks: 1
; NumSGPRsForWavesPerEU: 28
; NumVGPRsForWavesPerEU: 12
; Occupancy: 16
; WaveLimiterHint : 1
; COMPUTE_PGM_RSRC2:SCRATCH_EN: 0
; COMPUTE_PGM_RSRC2:USER_SGPR: 2
; COMPUTE_PGM_RSRC2:TRAP_HANDLER: 0
; COMPUTE_PGM_RSRC2:TGID_X_EN: 1
; COMPUTE_PGM_RSRC2:TGID_Y_EN: 0
; COMPUTE_PGM_RSRC2:TGID_Z_EN: 0
; COMPUTE_PGM_RSRC2:TIDIG_COMP_CNT: 0
	.section	.text._ZN9rocsparseL22csrmvn_adaptive_kernelIli18rocsparse_bfloat16S1_ffEEvbT_PKS2_PjPKT0_NS_24const_host_device_scalarIT4_EES4_S8_PKT1_PKT2_SB_PT3_21rocsparse_index_base_b,"axG",@progbits,_ZN9rocsparseL22csrmvn_adaptive_kernelIli18rocsparse_bfloat16S1_ffEEvbT_PKS2_PjPKT0_NS_24const_host_device_scalarIT4_EES4_S8_PKT1_PKT2_SB_PT3_21rocsparse_index_base_b,comdat
	.globl	_ZN9rocsparseL22csrmvn_adaptive_kernelIli18rocsparse_bfloat16S1_ffEEvbT_PKS2_PjPKT0_NS_24const_host_device_scalarIT4_EES4_S8_PKT1_PKT2_SB_PT3_21rocsparse_index_base_b ; -- Begin function _ZN9rocsparseL22csrmvn_adaptive_kernelIli18rocsparse_bfloat16S1_ffEEvbT_PKS2_PjPKT0_NS_24const_host_device_scalarIT4_EES4_S8_PKT1_PKT2_SB_PT3_21rocsparse_index_base_b
	.p2align	8
	.type	_ZN9rocsparseL22csrmvn_adaptive_kernelIli18rocsparse_bfloat16S1_ffEEvbT_PKS2_PjPKT0_NS_24const_host_device_scalarIT4_EES4_S8_PKT1_PKT2_SB_PT3_21rocsparse_index_base_b,@function
_ZN9rocsparseL22csrmvn_adaptive_kernelIli18rocsparse_bfloat16S1_ffEEvbT_PKS2_PjPKT0_NS_24const_host_device_scalarIT4_EES4_S8_PKT1_PKT2_SB_PT3_21rocsparse_index_base_b: ; @_ZN9rocsparseL22csrmvn_adaptive_kernelIli18rocsparse_bfloat16S1_ffEEvbT_PKS2_PjPKT0_NS_24const_host_device_scalarIT4_EES4_S8_PKT1_PKT2_SB_PT3_21rocsparse_index_base_b
; %bb.0:
	s_clause 0x2
	s_load_b64 s[38:39], s[0:1], 0x60
	s_load_b64 s[36:37], s[0:1], 0x28
	;; [unrolled: 1-line block ×3, first 2 shown]
	s_wait_kmcnt 0x0
	s_bitcmp1_b32 s39, 0
	s_cselect_b32 s2, -1, 0
	s_delay_alu instid0(SALU_CYCLE_1)
	s_and_b32 vcc_lo, exec_lo, s2
	s_xor_b32 s2, s2, -1
	s_cbranch_vccnz .LBB76_2
; %bb.1:
	s_load_b32 s36, s[36:37], 0x0
.LBB76_2:
	s_and_not1_b32 vcc_lo, exec_lo, s2
	s_cbranch_vccnz .LBB76_4
; %bb.3:
	s_load_b32 s24, s[24:25], 0x0
.LBB76_4:
	s_wait_kmcnt 0x0
	s_cmp_neq_f32 s36, 0
	s_cselect_b32 s2, -1, 0
	s_cmp_neq_f32 s24, 1.0
	s_cselect_b32 s3, -1, 0
	s_delay_alu instid0(SALU_CYCLE_1) | instskip(NEXT) | instid1(SALU_CYCLE_1)
	s_or_b32 s2, s2, s3
	s_and_not1_b32 vcc_lo, exec_lo, s2
	s_cbranch_vccnz .LBB76_115
; %bb.5:
	s_clause 0x1
	s_load_b64 s[2:3], s[0:1], 0x10
	s_load_b64 s[6:7], s[0:1], 0x20
	s_mov_b32 s40, ttmp9
	s_ashr_i32 s41, ttmp9, 31
	s_delay_alu instid0(SALU_CYCLE_1)
	s_lshl_b64 s[4:5], s[40:41], 3
	s_lshl_b64 s[42:43], s[40:41], 2
	s_wait_kmcnt 0x0
	s_add_nc_u64 s[2:3], s[2:3], s[4:5]
	s_add_nc_u64 s[4:5], s[6:7], s[42:43]
	s_load_b128 s[20:23], s[2:3], 0x0
	s_clause 0x1
	s_load_b256 s[12:19], s[0:1], 0x30
	s_load_b64 s[26:27], s[0:1], 0x58
	s_wait_kmcnt 0x0
	s_lshl_b64 s[2:3], s[20:21], 3
	s_delay_alu instid0(SALU_CYCLE_1)
	s_add_nc_u64 s[30:31], s[12:13], s[2:3]
	s_load_b32 s28, s[4:5], 0x0
	s_load_b64 s[34:35], s[30:31], 0x0
	s_sub_co_i32 s3, s22, s20
	s_mov_b32 s2, -1
	s_cmp_lt_i32 s3, 2
	s_cbranch_scc0 .LBB76_71
; %bb.6:
	s_cmp_lg_u32 s3, 1
	s_cselect_b32 s2, -1, 0
	s_wait_kmcnt 0x0
	s_cmp_lg_u32 s28, 0
	s_cselect_b32 s3, -1, 0
	s_delay_alu instid0(SALU_CYCLE_1) | instskip(NEXT) | instid1(SALU_CYCLE_1)
	s_or_b32 s2, s2, s3
	s_and_b32 vcc_lo, exec_lo, s2
	s_mov_b32 s2, -1
	s_cbranch_vccnz .LBB76_35
; %bb.7:
	v_cmp_le_i64_e64 s2, s[22:23], s[20:21]
	s_and_b32 vcc_lo, exec_lo, s2
	s_cbranch_vccnz .LBB76_34
; %bb.8:
	v_sub_co_u32 v8, s2, v0, s38
	s_cmp_neq_f32 s24, 0
	v_dual_mov_b32 v7, 0 :: v_dual_lshlrev_b32 v10, 2, v0
	v_sub_co_ci_u32_e64 v9, null, 0, 0, s2
	v_cmp_gt_u32_e64 s2, 0x80, v0
	v_cmp_gt_u32_e64 s3, 64, v0
	;; [unrolled: 1-line block ×7, first 2 shown]
	v_cmp_eq_u32_e64 s9, 0, v0
	s_cselect_b32 s11, -1, 0
	s_mov_b32 s39, 0
	s_mov_b64 s[44:45], s[20:21]
	s_branch .LBB76_11
.LBB76_9:                               ;   in Loop: Header=BB76_11 Depth=1
	s_lshl_b64 s[46:47], s[44:45], 2
	s_wait_alu 0xfffe
	s_add_nc_u64 s[46:47], s[26:27], s[46:47]
	s_wait_dscnt 0x0
	global_store_b32 v7, v1, s[46:47]
.LBB76_10:                              ;   in Loop: Header=BB76_11 Depth=1
	s_wait_alu 0xfffe
	s_or_b32 exec_lo, exec_lo, s10
	s_add_nc_u64 s[44:45], s[44:45], 1
	s_wait_alu 0xfffe
	v_cmp_ge_i64_e64 s10, s[44:45], s[22:23]
	s_and_b32 vcc_lo, exec_lo, s10
	s_wait_alu 0xfffe
	s_cbranch_vccnz .LBB76_34
.LBB76_11:                              ; =>This Loop Header: Depth=1
                                        ;     Child Loop BB76_13 Depth 2
	s_lshl_b64 s[46:47], s[44:45], 3
	v_mov_b32_e32 v11, 0
	s_wait_alu 0xfffe
	s_add_nc_u64 s[46:47], s[12:13], s[46:47]
	s_mov_b32 s25, exec_lo
	s_load_b128 s[48:51], s[46:47], 0x0
	s_wait_kmcnt 0x0
	v_add_co_u32 v1, vcc_lo, s48, v8
	s_wait_alu 0xfffd
	v_add_co_ci_u32_e64 v2, null, s49, v9, vcc_lo
	s_sub_nc_u64 s[46:47], s[50:51], s[38:39]
	s_wait_alu 0xfffe
	v_cmpx_gt_i64_e64 s[46:47], v[1:2]
	s_cbranch_execz .LBB76_15
; %bb.12:                               ;   in Loop: Header=BB76_11 Depth=1
	v_lshlrev_b64_e32 v[3:4], 1, v[1:2]
	v_lshlrev_b64_e32 v[5:6], 2, v[1:2]
	v_mov_b32_e32 v11, 0
	s_mov_b32 s29, 0
	s_delay_alu instid0(VALU_DEP_3)
	v_add_co_u32 v3, vcc_lo, s16, v3
	s_wait_alu 0xfffd
	v_add_co_ci_u32_e64 v4, null, s17, v4, vcc_lo
	v_add_co_u32 v5, vcc_lo, s14, v5
	s_wait_alu 0xfffd
	v_add_co_ci_u32_e64 v6, null, s15, v6, vcc_lo
.LBB76_13:                              ;   Parent Loop BB76_11 Depth=1
                                        ; =>  This Inner Loop Header: Depth=2
	global_load_b32 v12, v[5:6], off
	global_load_u16 v14, v[3:4], off
	v_add_co_u32 v5, s10, 0x400, v5
	s_wait_alu 0xf1ff
	v_add_co_ci_u32_e64 v6, null, 0, v6, s10
	s_wait_loadcnt 0x1
	v_subrev_nc_u32_e32 v12, s38, v12
	s_delay_alu instid0(VALU_DEP_1) | instskip(NEXT) | instid1(VALU_DEP_1)
	v_ashrrev_i32_e32 v13, 31, v12
	v_lshlrev_b64_e32 v[12:13], 1, v[12:13]
	s_delay_alu instid0(VALU_DEP_1) | instskip(SKIP_1) | instid1(VALU_DEP_2)
	v_add_co_u32 v12, vcc_lo, s18, v12
	s_wait_alu 0xfffd
	v_add_co_ci_u32_e64 v13, null, s19, v13, vcc_lo
	v_add_co_u32 v1, vcc_lo, 0x100, v1
	s_wait_alu 0xfffd
	v_add_co_ci_u32_e64 v2, null, 0, v2, vcc_lo
	global_load_u16 v12, v[12:13], off
	s_wait_loadcnt 0x1
	v_lshlrev_b32_e32 v13, 16, v14
	v_add_co_u32 v3, vcc_lo, 0x200, v3
	s_wait_alu 0xfffd
	v_add_co_ci_u32_e64 v4, null, 0, v4, vcc_lo
	s_delay_alu instid0(VALU_DEP_3) | instskip(SKIP_4) | instid1(VALU_DEP_1)
	v_mul_f32_e32 v13, s36, v13
	v_cmp_le_i64_e32 vcc_lo, s[46:47], v[1:2]
	s_or_b32 s29, vcc_lo, s29
	s_wait_loadcnt 0x0
	v_lshlrev_b32_e32 v12, 16, v12
	v_fmac_f32_e32 v11, v13, v12
	s_and_not1_b32 exec_lo, exec_lo, s29
	s_cbranch_execnz .LBB76_13
; %bb.14:                               ;   in Loop: Header=BB76_11 Depth=1
	s_or_b32 exec_lo, exec_lo, s29
.LBB76_15:                              ;   in Loop: Header=BB76_11 Depth=1
	s_delay_alu instid0(SALU_CYCLE_1)
	s_or_b32 exec_lo, exec_lo, s25
	ds_store_b32 v10, v11
	s_wait_dscnt 0x0
	s_barrier_signal -1
	s_barrier_wait -1
	global_inv scope:SCOPE_SE
	s_and_saveexec_b32 s10, s2
	s_cbranch_execz .LBB76_17
; %bb.16:                               ;   in Loop: Header=BB76_11 Depth=1
	ds_load_2addr_stride64_b32 v[1:2], v10 offset1:2
	s_wait_dscnt 0x0
	v_add_f32_e32 v1, v1, v2
	ds_store_b32 v10, v1
.LBB76_17:                              ;   in Loop: Header=BB76_11 Depth=1
	s_wait_alu 0xfffe
	s_or_b32 exec_lo, exec_lo, s10
	s_wait_loadcnt_dscnt 0x0
	s_barrier_signal -1
	s_barrier_wait -1
	global_inv scope:SCOPE_SE
	s_and_saveexec_b32 s10, s3
	s_cbranch_execz .LBB76_19
; %bb.18:                               ;   in Loop: Header=BB76_11 Depth=1
	ds_load_2addr_stride64_b32 v[1:2], v10 offset1:1
	s_wait_dscnt 0x0
	v_add_f32_e32 v1, v1, v2
	ds_store_b32 v10, v1
.LBB76_19:                              ;   in Loop: Header=BB76_11 Depth=1
	s_wait_alu 0xfffe
	s_or_b32 exec_lo, exec_lo, s10
	s_wait_loadcnt_dscnt 0x0
	s_barrier_signal -1
	s_barrier_wait -1
	global_inv scope:SCOPE_SE
	s_and_saveexec_b32 s10, s4
	s_cbranch_execz .LBB76_21
; %bb.20:                               ;   in Loop: Header=BB76_11 Depth=1
	ds_load_2addr_b32 v[1:2], v10 offset1:32
	s_wait_dscnt 0x0
	v_add_f32_e32 v1, v1, v2
	ds_store_b32 v10, v1
.LBB76_21:                              ;   in Loop: Header=BB76_11 Depth=1
	s_wait_alu 0xfffe
	s_or_b32 exec_lo, exec_lo, s10
	s_wait_loadcnt_dscnt 0x0
	s_barrier_signal -1
	s_barrier_wait -1
	global_inv scope:SCOPE_SE
	s_and_saveexec_b32 s10, s5
	s_cbranch_execz .LBB76_23
; %bb.22:                               ;   in Loop: Header=BB76_11 Depth=1
	ds_load_2addr_b32 v[1:2], v10 offset1:16
	s_wait_dscnt 0x0
	v_add_f32_e32 v1, v1, v2
	ds_store_b32 v10, v1
.LBB76_23:                              ;   in Loop: Header=BB76_11 Depth=1
	;; [unrolled: 14-line block ×5, first 2 shown]
	s_wait_alu 0xfffe
	s_or_b32 exec_lo, exec_lo, s10
	s_wait_loadcnt_dscnt 0x0
	s_barrier_signal -1
	s_barrier_wait -1
	global_inv scope:SCOPE_SE
	s_and_saveexec_b32 s10, s9
	s_cbranch_execz .LBB76_31
; %bb.30:                               ;   in Loop: Header=BB76_11 Depth=1
	ds_load_b64 v[1:2], v7
	s_wait_dscnt 0x0
	v_add_f32_e32 v1, v1, v2
	ds_store_b32 v7, v1
.LBB76_31:                              ;   in Loop: Header=BB76_11 Depth=1
	s_wait_alu 0xfffe
	s_or_b32 exec_lo, exec_lo, s10
	s_wait_loadcnt_dscnt 0x0
	s_barrier_signal -1
	s_barrier_wait -1
	global_inv scope:SCOPE_SE
	s_and_saveexec_b32 s10, s9
	s_cbranch_execz .LBB76_10
; %bb.32:                               ;   in Loop: Header=BB76_11 Depth=1
	ds_load_b32 v1, v7
	s_and_not1_b32 vcc_lo, exec_lo, s11
	s_wait_alu 0xfffe
	s_cbranch_vccnz .LBB76_9
; %bb.33:                               ;   in Loop: Header=BB76_11 Depth=1
	s_lshl_b64 s[46:47], s[44:45], 2
	s_wait_alu 0xfffe
	s_add_nc_u64 s[46:47], s[26:27], s[46:47]
	global_load_b32 v2, v7, s[46:47]
	s_wait_loadcnt_dscnt 0x0
	v_fmac_f32_e32 v1, s24, v2
	s_branch .LBB76_9
.LBB76_34:
	s_mov_b32 s2, 0
.LBB76_35:
	s_wait_alu 0xfffe
	s_and_not1_b32 vcc_lo, exec_lo, s2
	s_wait_alu 0xfffe
	s_cbranch_vccnz .LBB76_70
; %bb.36:
	s_load_b64 s[6:7], s[0:1], 0x18
	v_mov_b32_e32 v8, 0
	v_or_b32_e32 v1, s28, v0
	s_sub_co_i32 s8, s40, s28
	s_mov_b32 s39, 0
	s_mov_b32 s2, exec_lo
	s_wait_kmcnt 0x0
	s_add_nc_u64 s[4:5], s[6:7], s[42:43]
	global_load_b32 v7, v8, s[4:5]
	v_cmpx_eq_u32_e32 0, v1
	s_cbranch_execz .LBB76_40
; %bb.37:
	v_mov_b32_e32 v1, 0
	s_lshl_b64 s[10:11], s[20:21], 2
	s_mov_b32 s3, exec_lo
	s_wait_alu 0xfffe
	s_add_nc_u64 s[10:11], s[26:27], s[10:11]
	v_mbcnt_lo_u32_b32 v3, s3, 0
	global_load_b32 v2, v1, s[10:11]
	s_add_f32 s10, s24, -1.0
	s_mov_b32 s11, exec_lo
	s_wait_loadcnt 0x0
	s_wait_storecnt 0x0
	global_inv scope:SCOPE_DEV
	v_cmpx_eq_u32_e32 0, v3
	s_cbranch_execz .LBB76_39
; %bb.38:
	s_bcnt1_i32_b32 s3, s3
	s_ashr_i32 s9, s8, 31
	s_wait_alu 0xfffe
	s_and_b32 s3, s3, 1
	s_lshl_b64 s[40:41], s[8:9], 2
	s_wait_alu 0xfffe
	v_mov_b32_e32 v3, s3
	s_add_nc_u64 s[40:41], s[6:7], s[40:41]
	global_atomic_xor_b32 v1, v3, s[40:41] scope:SCOPE_DEV
.LBB76_39:
	s_wait_alu 0xfffe
	s_or_b32 exec_lo, exec_lo, s11
	v_mul_f32_e32 v8, s10, v2
.LBB76_40:
	s_wait_alu 0xfffe
	s_or_b32 exec_lo, exec_lo, s2
	s_load_b64 s[2:3], s[30:31], 0x8
	s_ashr_i32 s29, s28, 31
	s_sub_nc_u64 s[40:41], s[34:35], s[38:39]
	s_wait_alu 0xfffe
	s_mul_u64 s[10:11], s[28:29], 0xc00
	s_wait_alu 0xfffe
	s_add_nc_u64 s[10:11], s[40:41], s[10:11]
	s_wait_alu 0xfffe
	v_add_co_u32 v1, s9, s10, v0
	s_delay_alu instid0(VALU_DEP_1)
	v_add_co_ci_u32_e64 v2, null, s11, 0, s9
	s_mov_b32 s9, exec_lo
	s_wait_kmcnt 0x0
	s_sub_nc_u64 s[2:3], s[2:3], s[38:39]
	s_wait_alu 0xfffe
	v_cmpx_gt_i64_e64 s[2:3], v[1:2]
	s_cbranch_execz .LBB76_44
; %bb.41:
	v_lshlrev_b64_e32 v[3:4], 1, v[1:2]
	v_lshlrev_b64_e32 v[5:6], 2, v[1:2]
	s_add_nc_u64 s[10:11], s[10:11], 0xc00
	s_wait_alu 0xfffe
	v_cmp_lt_i64_e64 s25, s[10:11], s[2:3]
	s_delay_alu instid0(VALU_DEP_3)
	v_add_co_u32 v3, vcc_lo, s16, v3
	s_wait_alu 0xfffd
	v_add_co_ci_u32_e64 v4, null, s17, v4, vcc_lo
	v_add_co_u32 v5, vcc_lo, s14, v5
	s_wait_alu 0xfffd
	v_add_co_ci_u32_e64 v6, null, s15, v6, vcc_lo
	s_and_b32 s25, s25, exec_lo
	s_cselect_b32 s11, s11, s3
	s_cselect_b32 s10, s10, s2
	s_mov_b32 s3, 0
.LBB76_42:                              ; =>This Inner Loop Header: Depth=1
	global_load_b32 v9, v[5:6], off
	global_load_u16 v11, v[3:4], off
	v_add_co_u32 v5, s2, 0x400, v5
	s_wait_alu 0xf1ff
	v_add_co_ci_u32_e64 v6, null, 0, v6, s2
	s_wait_loadcnt 0x1
	v_subrev_nc_u32_e32 v9, s38, v9
	s_delay_alu instid0(VALU_DEP_1) | instskip(NEXT) | instid1(VALU_DEP_1)
	v_ashrrev_i32_e32 v10, 31, v9
	v_lshlrev_b64_e32 v[9:10], 1, v[9:10]
	s_delay_alu instid0(VALU_DEP_1) | instskip(SKIP_1) | instid1(VALU_DEP_2)
	v_add_co_u32 v9, vcc_lo, s18, v9
	s_wait_alu 0xfffd
	v_add_co_ci_u32_e64 v10, null, s19, v10, vcc_lo
	v_add_co_u32 v1, vcc_lo, 0x100, v1
	s_wait_alu 0xfffd
	v_add_co_ci_u32_e64 v2, null, 0, v2, vcc_lo
	global_load_u16 v9, v[9:10], off
	s_wait_loadcnt 0x1
	v_lshlrev_b32_e32 v10, 16, v11
	v_add_co_u32 v3, vcc_lo, 0x200, v3
	s_wait_alu 0xfffd
	v_add_co_ci_u32_e64 v4, null, 0, v4, vcc_lo
	s_delay_alu instid0(VALU_DEP_3)
	v_mul_f32_e32 v10, s36, v10
	s_wait_alu 0xfffe
	v_cmp_le_i64_e32 vcc_lo, s[10:11], v[1:2]
	s_or_b32 s3, vcc_lo, s3
	s_wait_loadcnt 0x0
	v_lshlrev_b32_e32 v9, 16, v9
	s_delay_alu instid0(VALU_DEP_1)
	v_fmac_f32_e32 v8, v10, v9
	s_wait_alu 0xfffe
	s_and_not1_b32 exec_lo, exec_lo, s3
	s_cbranch_execnz .LBB76_42
; %bb.43:
	s_or_b32 exec_lo, exec_lo, s3
.LBB76_44:
	s_delay_alu instid0(SALU_CYCLE_1)
	s_or_b32 exec_lo, exec_lo, s9
	v_lshlrev_b32_e32 v1, 2, v0
	s_mov_b32 s2, exec_lo
	ds_store_b32 v1, v8
	s_wait_storecnt 0x0
	s_wait_loadcnt_dscnt 0x0
	s_barrier_signal -1
	s_barrier_wait -1
	global_inv scope:SCOPE_SE
	v_cmpx_gt_u32_e32 0x80, v0
	s_cbranch_execz .LBB76_46
; %bb.45:
	ds_load_2addr_stride64_b32 v[2:3], v1 offset1:2
	s_wait_dscnt 0x0
	v_add_f32_e32 v2, v2, v3
	ds_store_b32 v1, v2
.LBB76_46:
	s_wait_alu 0xfffe
	s_or_b32 exec_lo, exec_lo, s2
	s_delay_alu instid0(SALU_CYCLE_1)
	s_mov_b32 s2, exec_lo
	s_wait_loadcnt_dscnt 0x0
	s_barrier_signal -1
	s_barrier_wait -1
	global_inv scope:SCOPE_SE
	v_cmpx_gt_u32_e32 64, v0
	s_cbranch_execz .LBB76_48
; %bb.47:
	ds_load_2addr_stride64_b32 v[2:3], v1 offset1:1
	s_wait_dscnt 0x0
	v_add_f32_e32 v2, v2, v3
	ds_store_b32 v1, v2
.LBB76_48:
	s_wait_alu 0xfffe
	s_or_b32 exec_lo, exec_lo, s2
	s_delay_alu instid0(SALU_CYCLE_1)
	s_mov_b32 s2, exec_lo
	s_wait_loadcnt_dscnt 0x0
	s_barrier_signal -1
	s_barrier_wait -1
	global_inv scope:SCOPE_SE
	v_cmpx_gt_u32_e32 32, v0
	s_cbranch_execz .LBB76_50
; %bb.49:
	ds_load_2addr_b32 v[2:3], v1 offset1:32
	s_wait_dscnt 0x0
	v_add_f32_e32 v2, v2, v3
	ds_store_b32 v1, v2
.LBB76_50:
	s_wait_alu 0xfffe
	s_or_b32 exec_lo, exec_lo, s2
	s_delay_alu instid0(SALU_CYCLE_1)
	s_mov_b32 s2, exec_lo
	s_wait_loadcnt_dscnt 0x0
	s_barrier_signal -1
	s_barrier_wait -1
	global_inv scope:SCOPE_SE
	v_cmpx_gt_u32_e32 16, v0
	s_cbranch_execz .LBB76_52
; %bb.51:
	ds_load_2addr_b32 v[2:3], v1 offset1:16
	s_wait_dscnt 0x0
	v_add_f32_e32 v2, v2, v3
	ds_store_b32 v1, v2
.LBB76_52:
	s_wait_alu 0xfffe
	s_or_b32 exec_lo, exec_lo, s2
	s_delay_alu instid0(SALU_CYCLE_1)
	s_mov_b32 s2, exec_lo
	s_wait_loadcnt_dscnt 0x0
	s_barrier_signal -1
	s_barrier_wait -1
	global_inv scope:SCOPE_SE
	v_cmpx_gt_u32_e32 8, v0
	s_cbranch_execz .LBB76_54
; %bb.53:
	ds_load_2addr_b32 v[2:3], v1 offset1:8
	s_wait_dscnt 0x0
	v_add_f32_e32 v2, v2, v3
	ds_store_b32 v1, v2
.LBB76_54:
	s_wait_alu 0xfffe
	s_or_b32 exec_lo, exec_lo, s2
	s_delay_alu instid0(SALU_CYCLE_1)
	s_mov_b32 s2, exec_lo
	s_wait_loadcnt_dscnt 0x0
	s_barrier_signal -1
	s_barrier_wait -1
	global_inv scope:SCOPE_SE
	v_cmpx_gt_u32_e32 4, v0
	s_cbranch_execz .LBB76_56
; %bb.55:
	ds_load_2addr_b32 v[2:3], v1 offset1:4
	s_wait_dscnt 0x0
	v_add_f32_e32 v2, v2, v3
	ds_store_b32 v1, v2
.LBB76_56:
	s_wait_alu 0xfffe
	s_or_b32 exec_lo, exec_lo, s2
	s_delay_alu instid0(SALU_CYCLE_1)
	s_mov_b32 s2, exec_lo
	s_wait_loadcnt_dscnt 0x0
	s_barrier_signal -1
	s_barrier_wait -1
	global_inv scope:SCOPE_SE
	v_cmpx_gt_u32_e32 2, v0
	s_cbranch_execz .LBB76_58
; %bb.57:
	ds_load_2addr_b32 v[2:3], v1 offset1:2
	s_wait_dscnt 0x0
	v_add_f32_e32 v2, v2, v3
	ds_store_b32 v1, v2
.LBB76_58:
	s_wait_alu 0xfffe
	s_or_b32 exec_lo, exec_lo, s2
	v_cmp_eq_u32_e32 vcc_lo, 0, v0
	s_wait_loadcnt_dscnt 0x0
	s_barrier_signal -1
	s_barrier_wait -1
	global_inv scope:SCOPE_SE
	s_and_saveexec_b32 s2, vcc_lo
	s_cbranch_execz .LBB76_60
; %bb.59:
	v_mov_b32_e32 v3, 0
	ds_load_b64 v[1:2], v3
	s_wait_dscnt 0x0
	v_add_f32_e32 v1, v1, v2
	ds_store_b32 v3, v1
.LBB76_60:
	s_wait_alu 0xfffe
	s_or_b32 exec_lo, exec_lo, s2
	s_wait_loadcnt_dscnt 0x0
	s_barrier_signal -1
	s_barrier_wait -1
	global_inv scope:SCOPE_SE
	s_and_saveexec_b32 s10, vcc_lo
	s_cbranch_execz .LBB76_69
; %bb.61:
	s_cmp_eq_u32 s28, 0
	s_cbranch_scc1 .LBB76_67
; %bb.62:
	s_ashr_i32 s9, s8, 31
	v_mov_b32_e32 v1, 0
	s_wait_alu 0xfffe
	s_lshl_b64 s[2:3], s[8:9], 2
	s_wait_alu 0xfffe
	s_add_nc_u64 s[2:3], s[6:7], s[2:3]
	s_branch .LBB76_64
.LBB76_63:                              ;   in Loop: Header=BB76_64 Depth=1
	s_wait_alu 0xfffe
	s_or_b32 exec_lo, exec_lo, s6
	s_wait_loadcnt 0x0
	v_readfirstlane_b32 s6, v2
	s_wait_alu 0xf1ff
	s_delay_alu instid0(VALU_DEP_1)
	v_cmp_eq_u32_e32 vcc_lo, s6, v7
	s_cbranch_vccz .LBB76_66
.LBB76_64:                              ; =>This Inner Loop Header: Depth=1
	v_mbcnt_lo_u32_b32 v2, exec_lo, 0
	s_delay_alu instid0(VALU_DEP_1)
	v_cmp_eq_u32_e32 vcc_lo, 0, v2
                                        ; implicit-def: $vgpr2
	s_and_saveexec_b32 s6, vcc_lo
	s_cbranch_execz .LBB76_63
; %bb.65:                               ;   in Loop: Header=BB76_64 Depth=1
	global_load_b32 v2, v1, s[2:3] scope:SCOPE_DEV
	s_branch .LBB76_63
.LBB76_66:
	v_mov_b32_e32 v1, 0
	global_load_u16 v2, v1, s[4:5]
	s_wait_loadcnt 0x0
	v_xor_b32_e32 v2, 1, v2
	global_store_b16 v1, v2, s[4:5]
.LBB76_67:
	s_mov_b32 s2, exec_lo
	s_wait_alu 0xfffe
	v_mbcnt_lo_u32_b32 v1, s2, 0
	s_delay_alu instid0(VALU_DEP_1)
	v_cmp_eq_u32_e32 vcc_lo, 0, v1
	s_and_b32 s3, exec_lo, vcc_lo
	s_wait_alu 0xfffe
	s_mov_b32 exec_lo, s3
	s_cbranch_execz .LBB76_69
; %bb.68:
	s_bcnt1_i32_b32 s2, s2
	s_wait_alu 0xfffe
	v_cvt_f32_ubyte0_e32 v3, s2
	v_mov_b32_e32 v1, 0
	s_lshl_b64 s[2:3], s[20:21], 2
	s_wait_alu 0xfffe
	s_add_nc_u64 s[2:3], s[26:27], s[2:3]
	ds_load_b32 v2, v1
	s_wait_dscnt 0x0
	v_mul_f32_e32 v2, v2, v3
	global_atomic_add_f32 v1, v2, s[2:3] scope:SCOPE_DEV
.LBB76_69:
	s_wait_alu 0xfffe
	s_or_b32 exec_lo, exec_lo, s10
.LBB76_70:
	s_mov_b32 s2, 0
.LBB76_71:
	s_wait_alu 0xfffe
	s_and_not1_b32 vcc_lo, exec_lo, s2
	s_wait_alu 0xfffe
	s_cbranch_vccnz .LBB76_115
; %bb.72:
	s_load_b64 s[0:1], s[0:1], 0x8
	v_sub_co_u32 v1, s2, v0, s38
	s_wait_alu 0xf1ff
	v_sub_co_ci_u32_e64 v2, null, 0, 0, s2
	s_mov_b32 s39, 0
	s_wait_kmcnt 0x0
	v_add_co_u32 v1, vcc_lo, s34, v1
	s_wait_alu 0xfffd
	v_add_co_ci_u32_e64 v2, null, s35, v2, vcc_lo
	s_delay_alu instid0(VALU_DEP_2) | instskip(SKIP_1) | instid1(VALU_DEP_2)
	v_add_co_u32 v3, vcc_lo, 0x300, v1
	s_wait_alu 0xfffd
	v_add_co_ci_u32_e64 v4, null, 0, v2, vcc_lo
	s_delay_alu instid0(VALU_DEP_1)
	v_cmp_le_i64_e32 vcc_lo, s[0:1], v[3:4]
	s_and_saveexec_b32 s0, vcc_lo
	s_wait_alu 0xfffe
	s_xor_b32 s1, exec_lo, s0
	s_cbranch_execz .LBB76_77
; %bb.73:
	s_lshl_b64 s[2:3], s[22:23], 3
	s_mov_b32 s4, exec_lo
	s_wait_alu 0xfffe
	s_add_nc_u64 s[2:3], s[12:13], s[2:3]
	s_load_b64 s[2:3], s[2:3], 0x0
	s_wait_kmcnt 0x0
	s_sub_nc_u64 s[2:3], s[2:3], s[38:39]
	s_wait_alu 0xfffe
	v_cmpx_gt_i64_e64 s[2:3], v[1:2]
	s_cbranch_execz .LBB76_76
; %bb.74:
	v_lshlrev_b64_e32 v[3:4], 1, v[1:2]
	v_lshlrev_b64_e32 v[5:6], 2, v[1:2]
	v_lshlrev_b32_e32 v7, 2, v0
	s_mov_b32 s5, 0
	s_delay_alu instid0(VALU_DEP_3)
	v_add_co_u32 v3, vcc_lo, s16, v3
	s_wait_alu 0xfffd
	v_add_co_ci_u32_e64 v4, null, s17, v4, vcc_lo
	v_add_co_u32 v5, vcc_lo, s14, v5
	s_wait_alu 0xfffd
	v_add_co_ci_u32_e64 v6, null, s15, v6, vcc_lo
.LBB76_75:                              ; =>This Inner Loop Header: Depth=1
	global_load_b32 v8, v[5:6], off
	global_load_u16 v10, v[3:4], off
	s_wait_loadcnt 0x1
	v_subrev_nc_u32_e32 v8, s38, v8
	s_delay_alu instid0(VALU_DEP_1) | instskip(NEXT) | instid1(VALU_DEP_1)
	v_ashrrev_i32_e32 v9, 31, v8
	v_lshlrev_b64_e32 v[8:9], 1, v[8:9]
	s_delay_alu instid0(VALU_DEP_1) | instskip(SKIP_1) | instid1(VALU_DEP_2)
	v_add_co_u32 v8, vcc_lo, s18, v8
	s_wait_alu 0xfffd
	v_add_co_ci_u32_e64 v9, null, s19, v9, vcc_lo
	v_add_co_u32 v1, vcc_lo, 0x100, v1
	s_wait_alu 0xfffd
	v_add_co_ci_u32_e64 v2, null, 0, v2, vcc_lo
	global_load_u16 v8, v[8:9], off
	s_wait_loadcnt 0x1
	v_lshlrev_b32_e32 v9, 16, v10
	v_add_co_u32 v3, vcc_lo, 0x200, v3
	v_cmp_le_i64_e64 s0, s[2:3], v[1:2]
	s_wait_alu 0xfffd
	v_add_co_ci_u32_e64 v4, null, 0, v4, vcc_lo
	v_mul_f32_e32 v9, s36, v9
	v_add_co_u32 v5, vcc_lo, 0x400, v5
	s_wait_alu 0xfffd
	v_add_co_ci_u32_e64 v6, null, 0, v6, vcc_lo
	s_or_b32 s5, s0, s5
	s_wait_loadcnt 0x0
	v_lshlrev_b32_e32 v8, 16, v8
	s_delay_alu instid0(VALU_DEP_1)
	v_mul_f32_e32 v8, v9, v8
	ds_store_b32 v7, v8
	v_add_nc_u32_e32 v7, 0x400, v7
	s_and_not1_b32 exec_lo, exec_lo, s5
	s_cbranch_execnz .LBB76_75
.LBB76_76:
	s_or_b32 exec_lo, exec_lo, s4
                                        ; implicit-def: $vgpr1_vgpr2
.LBB76_77:
	s_wait_alu 0xfffe
	s_or_saveexec_b32 s0, s1
	v_lshlrev_b32_e32 v7, 2, v0
	s_wait_alu 0xfffe
	s_xor_b32 exec_lo, exec_lo, s0
	s_cbranch_execz .LBB76_79
; %bb.78:
	v_lshlrev_b64_e32 v[3:4], 2, v[1:2]
	v_lshlrev_b64_e32 v[1:2], 1, v[1:2]
	s_delay_alu instid0(VALU_DEP_2) | instskip(SKIP_1) | instid1(VALU_DEP_3)
	v_add_co_u32 v3, vcc_lo, s14, v3
	s_wait_alu 0xfffd
	v_add_co_ci_u32_e64 v4, null, s15, v4, vcc_lo
	s_delay_alu instid0(VALU_DEP_3)
	v_add_co_u32 v1, vcc_lo, s16, v1
	s_wait_alu 0xfffd
	v_add_co_ci_u32_e64 v2, null, s17, v2, vcc_lo
	s_clause 0x3
	global_load_b32 v5, v[3:4], off
	global_load_b32 v6, v[3:4], off offset:1024
	global_load_b32 v8, v[3:4], off offset:2048
	global_load_b32 v4, v[3:4], off offset:3072
	s_clause 0x3
	global_load_u16 v12, v[1:2], off
	global_load_u16 v13, v[1:2], off offset:512
	global_load_u16 v14, v[1:2], off offset:1024
	;; [unrolled: 1-line block ×3, first 2 shown]
	s_wait_loadcnt 0x7
	v_subrev_nc_u32_e32 v3, s38, v5
	s_wait_loadcnt 0x6
	v_subrev_nc_u32_e32 v5, s38, v6
	;; [unrolled: 2-line block ×4, first 2 shown]
	v_ashrrev_i32_e32 v4, 31, v3
	v_ashrrev_i32_e32 v6, 31, v5
	;; [unrolled: 1-line block ×3, first 2 shown]
	s_delay_alu instid0(VALU_DEP_4) | instskip(NEXT) | instid1(VALU_DEP_4)
	v_ashrrev_i32_e32 v11, 31, v10
	v_lshlrev_b64_e32 v[3:4], 1, v[3:4]
	s_delay_alu instid0(VALU_DEP_4) | instskip(NEXT) | instid1(VALU_DEP_4)
	v_lshlrev_b64_e32 v[1:2], 1, v[5:6]
	v_lshlrev_b64_e32 v[5:6], 1, v[8:9]
	s_delay_alu instid0(VALU_DEP_4) | instskip(NEXT) | instid1(VALU_DEP_4)
	v_lshlrev_b64_e32 v[8:9], 1, v[10:11]
	v_add_co_u32 v3, vcc_lo, s18, v3
	s_wait_alu 0xfffd
	v_add_co_ci_u32_e64 v4, null, s19, v4, vcc_lo
	v_add_co_u32 v1, vcc_lo, s18, v1
	s_wait_alu 0xfffd
	v_add_co_ci_u32_e64 v2, null, s19, v2, vcc_lo
	;; [unrolled: 3-line block ×4, first 2 shown]
	s_clause 0x3
	global_load_u16 v3, v[3:4], off
	global_load_u16 v1, v[1:2], off
	;; [unrolled: 1-line block ×4, first 2 shown]
	s_wait_loadcnt 0x3
	v_lshlrev_b32_e32 v3, 16, v3
	v_lshlrev_b32_e32 v6, 16, v13
	;; [unrolled: 1-line block ×3, first 2 shown]
	s_wait_loadcnt 0x1
	v_lshlrev_b32_e32 v2, 16, v2
	s_delay_alu instid0(VALU_DEP_3) | instskip(NEXT) | instid1(VALU_DEP_3)
	v_mul_f32_e32 v6, s36, v6
	v_dual_mul_f32 v5, s36, v5 :: v_dual_lshlrev_b32 v8, 16, v14
	v_lshlrev_b32_e32 v9, 16, v15
	s_wait_loadcnt 0x0
	v_lshlrev_b32_e32 v4, 16, v4
	s_delay_alu instid0(VALU_DEP_2) | instskip(NEXT) | instid1(VALU_DEP_1)
	v_dual_mul_f32 v8, s36, v8 :: v_dual_mul_f32 v9, s36, v9
	v_dual_mul_f32 v2, v8, v2 :: v_dual_lshlrev_b32 v1, 16, v1
	v_mul_f32_e32 v3, v5, v3
	s_delay_alu instid0(VALU_DEP_2)
	v_dual_mul_f32 v4, v9, v4 :: v_dual_mul_f32 v1, v6, v1
	ds_store_2addr_stride64_b32 v7, v3, v1 offset1:4
	ds_store_2addr_stride64_b32 v7, v2, v4 offset0:8 offset1:12
.LBB76_79:
	s_or_b32 exec_lo, exec_lo, s0
	s_cmp_lt_i32 s28, 2
	s_mov_b32 s0, -1
	s_wait_storecnt 0x0
	s_wait_loadcnt_dscnt 0x0
	s_barrier_signal -1
	s_barrier_wait -1
	global_inv scope:SCOPE_SE
	s_cbranch_scc0 .LBB76_90
; %bb.80:
	v_add_co_u32 v5, s0, s20, v0
	s_wait_alu 0xf1fe
	v_add_co_ci_u32_e64 v6, null, s21, 0, s0
	s_mov_b32 s1, exec_lo
	v_cmpx_gt_i64_e64 s[22:23], v[5:6]
	s_cbranch_execz .LBB76_89
; %bb.81:
	s_cmp_neq_f32 s24, 0
	s_mov_b32 s3, 0
	s_cselect_b32 s2, -1, 0
	s_lshl_b32 s0, s34, 2
	s_wait_alu 0xfffe
	s_sub_co_i32 s4, 0, s0
	s_branch .LBB76_83
.LBB76_82:                              ;   in Loop: Header=BB76_83 Depth=1
	v_add_co_u32 v5, vcc_lo, 0x100, v5
	s_wait_alu 0xfffd
	v_add_co_ci_u32_e64 v6, null, 0, v6, vcc_lo
	v_add_co_u32 v1, s0, s26, v1
	s_wait_alu 0xf1ff
	v_add_co_ci_u32_e64 v2, null, s27, v2, s0
	s_delay_alu instid0(VALU_DEP_3)
	v_cmp_le_i64_e32 vcc_lo, s[22:23], v[5:6]
	global_store_b32 v[1:2], v3, off
	s_or_b32 s3, vcc_lo, s3
	s_wait_alu 0xfffe
	s_and_not1_b32 exec_lo, exec_lo, s3
	s_cbranch_execz .LBB76_89
.LBB76_83:                              ; =>This Loop Header: Depth=1
                                        ;     Child Loop BB76_85 Depth 2
	v_lshlrev_b64_e32 v[1:2], 3, v[5:6]
	s_mov_b32 s0, exec_lo
	s_delay_alu instid0(VALU_DEP_1) | instskip(SKIP_1) | instid1(VALU_DEP_2)
	v_add_co_u32 v1, vcc_lo, s12, v1
	s_wait_alu 0xfffd
	v_add_co_ci_u32_e64 v2, null, s13, v2, vcc_lo
	global_load_b128 v[1:4], v[1:2], off
	s_wait_loadcnt 0x0
	v_subrev_nc_u32_e32 v2, s34, v1
	v_subrev_nc_u32_e32 v4, s34, v3
	v_mov_b32_e32 v3, 0
	s_delay_alu instid0(VALU_DEP_2)
	v_cmpx_lt_i32_e64 v2, v4
	s_cbranch_execz .LBB76_87
; %bb.84:                               ;   in Loop: Header=BB76_83 Depth=1
	v_lshl_add_u32 v1, v1, 2, s4
	v_mov_b32_e32 v3, 0
	s_mov_b32 s5, 0
.LBB76_85:                              ;   Parent Loop BB76_83 Depth=1
                                        ; =>  This Inner Loop Header: Depth=2
	ds_load_b32 v8, v1
	v_add_nc_u32_e32 v2, 1, v2
	v_add_nc_u32_e32 v1, 4, v1
	s_wait_dscnt 0x0
	v_add_f32_e32 v3, v3, v8
	s_delay_alu instid0(VALU_DEP_3)
	v_cmp_ge_i32_e32 vcc_lo, v2, v4
	s_wait_alu 0xfffe
	s_or_b32 s5, vcc_lo, s5
	s_wait_alu 0xfffe
	s_and_not1_b32 exec_lo, exec_lo, s5
	s_cbranch_execnz .LBB76_85
; %bb.86:                               ;   in Loop: Header=BB76_83 Depth=1
	s_or_b32 exec_lo, exec_lo, s5
.LBB76_87:                              ;   in Loop: Header=BB76_83 Depth=1
	s_wait_alu 0xfffe
	s_or_b32 exec_lo, exec_lo, s0
	v_lshlrev_b64_e32 v[1:2], 2, v[5:6]
	s_and_b32 vcc_lo, exec_lo, s2
	s_wait_alu 0xfffe
	s_cbranch_vccz .LBB76_82
; %bb.88:                               ;   in Loop: Header=BB76_83 Depth=1
	s_delay_alu instid0(VALU_DEP_1)
	v_add_co_u32 v8, vcc_lo, s26, v1
	s_wait_alu 0xfffd
	v_add_co_ci_u32_e64 v9, null, s27, v2, vcc_lo
	global_load_b32 v4, v[8:9], off
	s_wait_loadcnt 0x0
	v_fmac_f32_e32 v3, s24, v4
	s_branch .LBB76_82
.LBB76_89:
	s_wait_alu 0xfffe
	s_or_b32 exec_lo, exec_lo, s1
	s_mov_b32 s0, 0
.LBB76_90:
	s_wait_alu 0xfffe
	s_and_not1_b32 vcc_lo, exec_lo, s0
	s_wait_alu 0xfffe
	s_cbranch_vccnz .LBB76_115
; %bb.91:
	s_clz_i32_u32 s0, s28
	s_add_co_i32 s1, s28, -1
	s_wait_alu 0xfffe
	s_xor_b32 s0, s0, 31
	v_mov_b32_e32 v3, 0
	s_wait_alu 0xfffe
	v_lshrrev_b32_e32 v4, s0, v0
	v_and_b32_e32 v0, s1, v0
	s_mov_b32 s1, exec_lo
	s_delay_alu instid0(VALU_DEP_2) | instskip(SKIP_2) | instid1(VALU_DEP_1)
	v_add_co_u32 v1, s0, s20, v4
	s_wait_alu 0xf1ff
	v_add_co_ci_u32_e64 v2, null, s21, 0, s0
	v_cmp_le_i64_e32 vcc_lo, s[22:23], v[1:2]
	v_cmpx_gt_i64_e64 s[22:23], v[1:2]
	s_cbranch_execz .LBB76_97
; %bb.92:
	v_lshlrev_b32_e32 v3, 3, v4
	s_mov_b32 s2, exec_lo
	s_clause 0x1
	global_load_b32 v4, v3, s[30:31]
	global_load_b32 v3, v3, s[30:31] offset:8
	s_wait_loadcnt 0x1
	v_subrev_nc_u32_e32 v5, s34, v4
	s_wait_loadcnt 0x0
	v_subrev_nc_u32_e32 v4, s34, v3
	v_mov_b32_e32 v3, 0
	s_delay_alu instid0(VALU_DEP_3) | instskip(NEXT) | instid1(VALU_DEP_1)
	v_add_nc_u32_e32 v5, v0, v5
	v_cmpx_lt_i32_e64 v5, v4
	s_cbranch_execz .LBB76_96
; %bb.93:
	v_dual_mov_b32 v3, 0 :: v_dual_lshlrev_b32 v6, 2, v5
	s_lshl_b32 s4, s28, 2
	s_mov_b32 s3, 0
.LBB76_94:                              ; =>This Inner Loop Header: Depth=1
	ds_load_b32 v8, v6
	v_add_nc_u32_e32 v5, s28, v5
	s_wait_alu 0xfffe
	v_add_nc_u32_e32 v6, s4, v6
	s_delay_alu instid0(VALU_DEP_2)
	v_cmp_ge_i32_e64 s0, v5, v4
	s_or_b32 s3, s0, s3
	s_wait_dscnt 0x0
	v_add_f32_e32 v3, v3, v8
	s_wait_alu 0xfffe
	s_and_not1_b32 exec_lo, exec_lo, s3
	s_cbranch_execnz .LBB76_94
; %bb.95:
	s_or_b32 exec_lo, exec_lo, s3
.LBB76_96:
	s_wait_alu 0xfffe
	s_or_b32 exec_lo, exec_lo, s2
.LBB76_97:
	s_wait_alu 0xfffe
	s_or_b32 exec_lo, exec_lo, s1
	s_cmp_lt_u32 s28, 0x81
	s_wait_loadcnt 0x0
	s_wait_storecnt 0x0
	s_barrier_signal -1
	s_barrier_wait -1
	global_inv scope:SCOPE_SE
	ds_store_b32 v7, v3
	s_wait_loadcnt_dscnt 0x0
	s_barrier_signal -1
	s_barrier_wait -1
	global_inv scope:SCOPE_SE
	s_cbranch_scc1 .LBB76_99
; %bb.98:
	ds_load_b32 v4, v7 offset:512
	s_wait_loadcnt_dscnt 0x0
	s_barrier_signal -1
	s_barrier_wait -1
	global_inv scope:SCOPE_SE
	v_add_f32_e32 v3, v3, v4
	ds_store_b32 v7, v3
.LBB76_99:
	s_cmp_lt_u32 s28, 0x41
	s_wait_loadcnt_dscnt 0x0
	s_barrier_signal -1
	s_barrier_wait -1
	global_inv scope:SCOPE_SE
	s_cbranch_scc1 .LBB76_101
; %bb.100:
	ds_load_b32 v4, v7 offset:256
	s_wait_loadcnt_dscnt 0x0
	s_barrier_signal -1
	s_barrier_wait -1
	global_inv scope:SCOPE_SE
	v_add_f32_e32 v3, v3, v4
	ds_store_b32 v7, v3
.LBB76_101:
	s_cmp_lt_u32 s28, 33
	;; [unrolled: 15-line block ×5, first 2 shown]
	s_wait_loadcnt_dscnt 0x0
	s_barrier_signal -1
	s_barrier_wait -1
	global_inv scope:SCOPE_SE
	s_cbranch_scc1 .LBB76_109
; %bb.108:
	ds_load_b32 v4, v7 offset:16
	s_wait_loadcnt_dscnt 0x0
	s_barrier_signal -1
	s_barrier_wait -1
	global_inv scope:SCOPE_SE
	v_add_f32_e32 v3, v3, v4
	ds_store_b32 v7, v3
.LBB76_109:
	s_cmp_eq_u32 s28, 2
	s_wait_loadcnt_dscnt 0x0
	s_barrier_signal -1
	s_barrier_wait -1
	global_inv scope:SCOPE_SE
	s_cbranch_scc1 .LBB76_111
; %bb.110:
	ds_load_b32 v4, v7 offset:8
	s_wait_loadcnt_dscnt 0x0
	s_barrier_signal -1
	s_barrier_wait -1
	global_inv scope:SCOPE_SE
	v_add_f32_e32 v3, v3, v4
	ds_store_b32 v7, v3
.LBB76_111:
	s_wait_loadcnt_dscnt 0x0
	s_barrier_signal -1
	s_barrier_wait -1
	global_inv scope:SCOPE_SE
	ds_load_b32 v4, v7 offset:4
	v_cmp_eq_u32_e64 s0, 0, v0
	s_xor_b32 s1, vcc_lo, -1
	s_wait_loadcnt_dscnt 0x0
	s_barrier_signal -1
	s_barrier_wait -1
	s_wait_alu 0xfffe
	s_and_b32 s0, s0, s1
	global_inv scope:SCOPE_SE
	v_add_f32_e32 v3, v3, v4
	ds_store_b32 v7, v3
	s_wait_alu 0xfffe
	s_and_saveexec_b32 s1, s0
	s_cbranch_execz .LBB76_115
; %bb.112:
	v_lshlrev_b64_e32 v[0:1], 2, v[1:2]
	s_cmp_eq_f32 s24, 0
	s_cbranch_scc1 .LBB76_114
; %bb.113:
	s_delay_alu instid0(VALU_DEP_1) | instskip(SKIP_1) | instid1(VALU_DEP_2)
	v_add_co_u32 v4, vcc_lo, s26, v0
	s_wait_alu 0xfffd
	v_add_co_ci_u32_e64 v5, null, s27, v1, vcc_lo
	global_load_b32 v2, v[4:5], off
	s_wait_loadcnt 0x0
	v_fmac_f32_e32 v3, s24, v2
.LBB76_114:
	s_delay_alu instid0(VALU_DEP_1) | instskip(SKIP_1) | instid1(VALU_DEP_2)
	v_add_co_u32 v0, vcc_lo, s26, v0
	s_wait_alu 0xfffd
	v_add_co_ci_u32_e64 v1, null, s27, v1, vcc_lo
	global_store_b32 v[0:1], v3, off
.LBB76_115:
	s_endpgm
	.section	.rodata,"a",@progbits
	.p2align	6, 0x0
	.amdhsa_kernel _ZN9rocsparseL22csrmvn_adaptive_kernelIli18rocsparse_bfloat16S1_ffEEvbT_PKS2_PjPKT0_NS_24const_host_device_scalarIT4_EES4_S8_PKT1_PKT2_SB_PT3_21rocsparse_index_base_b
		.amdhsa_group_segment_fixed_size 4096
		.amdhsa_private_segment_fixed_size 0
		.amdhsa_kernarg_size 104
		.amdhsa_user_sgpr_count 2
		.amdhsa_user_sgpr_dispatch_ptr 0
		.amdhsa_user_sgpr_queue_ptr 0
		.amdhsa_user_sgpr_kernarg_segment_ptr 1
		.amdhsa_user_sgpr_dispatch_id 0
		.amdhsa_user_sgpr_private_segment_size 0
		.amdhsa_wavefront_size32 1
		.amdhsa_uses_dynamic_stack 0
		.amdhsa_enable_private_segment 0
		.amdhsa_system_sgpr_workgroup_id_x 1
		.amdhsa_system_sgpr_workgroup_id_y 0
		.amdhsa_system_sgpr_workgroup_id_z 0
		.amdhsa_system_sgpr_workgroup_info 0
		.amdhsa_system_vgpr_workitem_id 0
		.amdhsa_next_free_vgpr 16
		.amdhsa_next_free_sgpr 52
		.amdhsa_reserve_vcc 1
		.amdhsa_float_round_mode_32 0
		.amdhsa_float_round_mode_16_64 0
		.amdhsa_float_denorm_mode_32 3
		.amdhsa_float_denorm_mode_16_64 3
		.amdhsa_fp16_overflow 0
		.amdhsa_workgroup_processor_mode 1
		.amdhsa_memory_ordered 1
		.amdhsa_forward_progress 1
		.amdhsa_inst_pref_size 42
		.amdhsa_round_robin_scheduling 0
		.amdhsa_exception_fp_ieee_invalid_op 0
		.amdhsa_exception_fp_denorm_src 0
		.amdhsa_exception_fp_ieee_div_zero 0
		.amdhsa_exception_fp_ieee_overflow 0
		.amdhsa_exception_fp_ieee_underflow 0
		.amdhsa_exception_fp_ieee_inexact 0
		.amdhsa_exception_int_div_zero 0
	.end_amdhsa_kernel
	.section	.text._ZN9rocsparseL22csrmvn_adaptive_kernelIli18rocsparse_bfloat16S1_ffEEvbT_PKS2_PjPKT0_NS_24const_host_device_scalarIT4_EES4_S8_PKT1_PKT2_SB_PT3_21rocsparse_index_base_b,"axG",@progbits,_ZN9rocsparseL22csrmvn_adaptive_kernelIli18rocsparse_bfloat16S1_ffEEvbT_PKS2_PjPKT0_NS_24const_host_device_scalarIT4_EES4_S8_PKT1_PKT2_SB_PT3_21rocsparse_index_base_b,comdat
.Lfunc_end76:
	.size	_ZN9rocsparseL22csrmvn_adaptive_kernelIli18rocsparse_bfloat16S1_ffEEvbT_PKS2_PjPKT0_NS_24const_host_device_scalarIT4_EES4_S8_PKT1_PKT2_SB_PT3_21rocsparse_index_base_b, .Lfunc_end76-_ZN9rocsparseL22csrmvn_adaptive_kernelIli18rocsparse_bfloat16S1_ffEEvbT_PKS2_PjPKT0_NS_24const_host_device_scalarIT4_EES4_S8_PKT1_PKT2_SB_PT3_21rocsparse_index_base_b
                                        ; -- End function
	.set _ZN9rocsparseL22csrmvn_adaptive_kernelIli18rocsparse_bfloat16S1_ffEEvbT_PKS2_PjPKT0_NS_24const_host_device_scalarIT4_EES4_S8_PKT1_PKT2_SB_PT3_21rocsparse_index_base_b.num_vgpr, 16
	.set _ZN9rocsparseL22csrmvn_adaptive_kernelIli18rocsparse_bfloat16S1_ffEEvbT_PKS2_PjPKT0_NS_24const_host_device_scalarIT4_EES4_S8_PKT1_PKT2_SB_PT3_21rocsparse_index_base_b.num_agpr, 0
	.set _ZN9rocsparseL22csrmvn_adaptive_kernelIli18rocsparse_bfloat16S1_ffEEvbT_PKS2_PjPKT0_NS_24const_host_device_scalarIT4_EES4_S8_PKT1_PKT2_SB_PT3_21rocsparse_index_base_b.numbered_sgpr, 52
	.set _ZN9rocsparseL22csrmvn_adaptive_kernelIli18rocsparse_bfloat16S1_ffEEvbT_PKS2_PjPKT0_NS_24const_host_device_scalarIT4_EES4_S8_PKT1_PKT2_SB_PT3_21rocsparse_index_base_b.num_named_barrier, 0
	.set _ZN9rocsparseL22csrmvn_adaptive_kernelIli18rocsparse_bfloat16S1_ffEEvbT_PKS2_PjPKT0_NS_24const_host_device_scalarIT4_EES4_S8_PKT1_PKT2_SB_PT3_21rocsparse_index_base_b.private_seg_size, 0
	.set _ZN9rocsparseL22csrmvn_adaptive_kernelIli18rocsparse_bfloat16S1_ffEEvbT_PKS2_PjPKT0_NS_24const_host_device_scalarIT4_EES4_S8_PKT1_PKT2_SB_PT3_21rocsparse_index_base_b.uses_vcc, 1
	.set _ZN9rocsparseL22csrmvn_adaptive_kernelIli18rocsparse_bfloat16S1_ffEEvbT_PKS2_PjPKT0_NS_24const_host_device_scalarIT4_EES4_S8_PKT1_PKT2_SB_PT3_21rocsparse_index_base_b.uses_flat_scratch, 0
	.set _ZN9rocsparseL22csrmvn_adaptive_kernelIli18rocsparse_bfloat16S1_ffEEvbT_PKS2_PjPKT0_NS_24const_host_device_scalarIT4_EES4_S8_PKT1_PKT2_SB_PT3_21rocsparse_index_base_b.has_dyn_sized_stack, 0
	.set _ZN9rocsparseL22csrmvn_adaptive_kernelIli18rocsparse_bfloat16S1_ffEEvbT_PKS2_PjPKT0_NS_24const_host_device_scalarIT4_EES4_S8_PKT1_PKT2_SB_PT3_21rocsparse_index_base_b.has_recursion, 0
	.set _ZN9rocsparseL22csrmvn_adaptive_kernelIli18rocsparse_bfloat16S1_ffEEvbT_PKS2_PjPKT0_NS_24const_host_device_scalarIT4_EES4_S8_PKT1_PKT2_SB_PT3_21rocsparse_index_base_b.has_indirect_call, 0
	.section	.AMDGPU.csdata,"",@progbits
; Kernel info:
; codeLenInByte = 5312
; TotalNumSgprs: 54
; NumVgprs: 16
; ScratchSize: 0
; MemoryBound: 0
; FloatMode: 240
; IeeeMode: 1
; LDSByteSize: 4096 bytes/workgroup (compile time only)
; SGPRBlocks: 0
; VGPRBlocks: 1
; NumSGPRsForWavesPerEU: 54
; NumVGPRsForWavesPerEU: 16
; Occupancy: 16
; WaveLimiterHint : 1
; COMPUTE_PGM_RSRC2:SCRATCH_EN: 0
; COMPUTE_PGM_RSRC2:USER_SGPR: 2
; COMPUTE_PGM_RSRC2:TRAP_HANDLER: 0
; COMPUTE_PGM_RSRC2:TGID_X_EN: 1
; COMPUTE_PGM_RSRC2:TGID_Y_EN: 0
; COMPUTE_PGM_RSRC2:TGID_Z_EN: 0
; COMPUTE_PGM_RSRC2:TIDIG_COMP_CNT: 0
	.section	.text._ZN9rocsparseL27csrmvn_symm_adaptive_kernelIli18rocsparse_bfloat16S1_ffEEvbT_S2_PKS2_NS_24const_host_device_scalarIT4_EES4_PKT0_PKT1_PKT2_S7_PT3_21rocsparse_index_base_b,"axG",@progbits,_ZN9rocsparseL27csrmvn_symm_adaptive_kernelIli18rocsparse_bfloat16S1_ffEEvbT_S2_PKS2_NS_24const_host_device_scalarIT4_EES4_PKT0_PKT1_PKT2_S7_PT3_21rocsparse_index_base_b,comdat
	.globl	_ZN9rocsparseL27csrmvn_symm_adaptive_kernelIli18rocsparse_bfloat16S1_ffEEvbT_S2_PKS2_NS_24const_host_device_scalarIT4_EES4_PKT0_PKT1_PKT2_S7_PT3_21rocsparse_index_base_b ; -- Begin function _ZN9rocsparseL27csrmvn_symm_adaptive_kernelIli18rocsparse_bfloat16S1_ffEEvbT_S2_PKS2_NS_24const_host_device_scalarIT4_EES4_PKT0_PKT1_PKT2_S7_PT3_21rocsparse_index_base_b
	.p2align	8
	.type	_ZN9rocsparseL27csrmvn_symm_adaptive_kernelIli18rocsparse_bfloat16S1_ffEEvbT_S2_PKS2_NS_24const_host_device_scalarIT4_EES4_PKT0_PKT1_PKT2_S7_PT3_21rocsparse_index_base_b,@function
_ZN9rocsparseL27csrmvn_symm_adaptive_kernelIli18rocsparse_bfloat16S1_ffEEvbT_S2_PKS2_NS_24const_host_device_scalarIT4_EES4_PKT0_PKT1_PKT2_S7_PT3_21rocsparse_index_base_b: ; @_ZN9rocsparseL27csrmvn_symm_adaptive_kernelIli18rocsparse_bfloat16S1_ffEEvbT_S2_PKS2_NS_24const_host_device_scalarIT4_EES4_PKT0_PKT1_PKT2_S7_PT3_21rocsparse_index_base_b
; %bb.0:
	s_clause 0x2
	s_load_b64 s[24:25], s[0:1], 0x58
	s_load_b64 s[30:31], s[0:1], 0x20
	;; [unrolled: 1-line block ×3, first 2 shown]
	s_wait_kmcnt 0x0
	s_bitcmp1_b32 s25, 0
	s_cselect_b32 s4, -1, 0
	s_delay_alu instid0(SALU_CYCLE_1)
	s_and_b32 vcc_lo, exec_lo, s4
	s_xor_b32 s4, s4, -1
	s_cbranch_vccnz .LBB77_2
; %bb.1:
	s_load_b32 s30, s[30:31], 0x0
.LBB77_2:
	s_and_not1_b32 vcc_lo, exec_lo, s4
	s_cbranch_vccnz .LBB77_4
; %bb.3:
	s_load_b32 s2, s[2:3], 0x0
.LBB77_4:
	s_wait_kmcnt 0x0
	s_cmp_neq_f32 s30, 0
	s_cselect_b32 s3, -1, 0
	s_cmp_neq_f32 s2, 1.0
	s_cselect_b32 s2, -1, 0
	s_delay_alu instid0(SALU_CYCLE_1) | instskip(NEXT) | instid1(SALU_CYCLE_1)
	s_or_b32 s2, s3, s2
	s_and_not1_b32 vcc_lo, exec_lo, s2
	s_cbranch_vccnz .LBB77_134
; %bb.5:
	s_load_b64 s[4:5], s[0:1], 0x18
	s_mov_b32 s2, ttmp9
	s_ashr_i32 s3, ttmp9, 31
	v_dual_mov_b32 v1, 0 :: v_dual_lshlrev_b32 v16, 2, v0
	s_lshl_b64 s[2:3], s[2:3], 3
	ds_store_2addr_stride64_b32 v16, v1, v1 offset1:4
	ds_store_2addr_stride64_b32 v16, v1, v1 offset0:8 offset1:12
	s_wait_dscnt 0x0
	s_barrier_signal -1
	s_barrier_wait -1
	global_inv scope:SCOPE_SE
	s_wait_kmcnt 0x0
	s_add_nc_u64 s[2:3], s[4:5], s[2:3]
	s_load_b128 s[16:19], s[2:3], 0x0
	s_clause 0x1
	s_load_b256 s[8:15], s[0:1], 0x28
	s_load_b64 s[20:21], s[0:1], 0x50
	s_wait_kmcnt 0x0
	s_sub_nc_u64 s[22:23], s[18:19], s[16:17]
	s_delay_alu instid0(SALU_CYCLE_1)
	v_cmp_gt_i64_e64 s2, s[22:23], 2
	s_and_b32 vcc_lo, exec_lo, s2
	s_mov_b32 s2, -1
	s_cbranch_vccnz .LBB77_36
; %bb.6:
	v_cmp_le_i64_e64 s2, s[18:19], s[16:17]
	v_sub_co_u32 v7, s3, v0, s24
	s_delay_alu instid0(VALU_DEP_1)
	v_sub_co_ci_u32_e64 v8, null, 0, 0, s3
	s_mov_b32 s25, 0
	s_and_b32 vcc_lo, exec_lo, s2
	s_cbranch_vccnz .LBB77_26
; %bb.7:
	v_cmp_gt_u32_e64 s2, 0x100, v0
	v_cmp_gt_u32_e64 s3, 64, v0
	;; [unrolled: 1-line block ×4, first 2 shown]
	v_cmp_eq_u32_e64 s6, 0, v0
	v_mov_b32_e32 v9, 0
	s_mov_b64 s[26:27], s[16:17]
	s_branch .LBB77_9
.LBB77_8:                               ;   in Loop: Header=BB77_9 Depth=1
	s_wait_alu 0xfffe
	s_or_b32 exec_lo, exec_lo, s7
	s_add_nc_u64 s[26:27], s[26:27], 1
	s_wait_alu 0xfffe
	v_cmp_ge_i64_e64 s7, s[26:27], s[18:19]
	s_and_b32 vcc_lo, exec_lo, s7
	s_wait_alu 0xfffe
	s_cbranch_vccnz .LBB77_26
.LBB77_9:                               ; =>This Loop Header: Depth=1
                                        ;     Child Loop BB77_11 Depth 2
	s_lshl_b64 s[28:29], s[26:27], 3
	v_mov_b32_e32 v10, 0
	s_wait_alu 0xfffe
	s_add_nc_u64 s[28:29], s[8:9], s[28:29]
	s_mov_b32 s31, exec_lo
	s_load_b128 s[36:39], s[28:29], 0x0
	s_wait_kmcnt 0x0
	v_add_co_u32 v1, vcc_lo, s36, v7
	s_wait_alu 0xfffd
	v_add_co_ci_u32_e64 v2, null, s37, v8, vcc_lo
	s_sub_nc_u64 s[28:29], s[38:39], s[24:25]
	s_wait_alu 0xfffe
	v_cmpx_gt_i64_e64 s[28:29], v[1:2]
	s_cbranch_execz .LBB77_13
; %bb.10:                               ;   in Loop: Header=BB77_9 Depth=1
	v_lshlrev_b64_e32 v[3:4], 2, v[1:2]
	v_lshlrev_b64_e32 v[5:6], 1, v[1:2]
	v_mov_b32_e32 v10, 0
	s_mov_b32 s33, 0
	s_delay_alu instid0(VALU_DEP_3)
	v_add_co_u32 v3, vcc_lo, s10, v3
	s_wait_alu 0xfffd
	v_add_co_ci_u32_e64 v4, null, s11, v4, vcc_lo
	v_add_co_u32 v5, vcc_lo, s12, v5
	s_wait_alu 0xfffd
	v_add_co_ci_u32_e64 v6, null, s13, v6, vcc_lo
.LBB77_11:                              ;   Parent Loop BB77_9 Depth=1
                                        ; =>  This Inner Loop Header: Depth=2
	global_load_b32 v11, v[3:4], off
	s_wait_loadcnt 0x0
	v_subrev_nc_u32_e32 v11, s24, v11
	s_delay_alu instid0(VALU_DEP_1) | instskip(NEXT) | instid1(VALU_DEP_1)
	v_ashrrev_i32_e32 v12, 31, v11
	v_lshlrev_b64_e32 v[11:12], 1, v[11:12]
	s_delay_alu instid0(VALU_DEP_1) | instskip(SKIP_1) | instid1(VALU_DEP_2)
	v_add_co_u32 v11, vcc_lo, s14, v11
	s_wait_alu 0xfffd
	v_add_co_ci_u32_e64 v12, null, s15, v12, vcc_lo
	v_add_co_u32 v1, vcc_lo, 0x100, v1
	global_load_u16 v13, v[5:6], off
	global_load_u16 v11, v[11:12], off
	s_wait_alu 0xfffd
	v_add_co_ci_u32_e64 v2, null, 0, v2, vcc_lo
	v_add_co_u32 v3, vcc_lo, 0x400, v3
	s_wait_alu 0xfffd
	v_add_co_ci_u32_e64 v4, null, 0, v4, vcc_lo
	s_delay_alu instid0(VALU_DEP_3)
	v_cmp_le_i64_e32 vcc_lo, s[28:29], v[1:2]
	v_add_co_u32 v5, s7, 0x200, v5
	s_wait_alu 0xf1ff
	v_add_co_ci_u32_e64 v6, null, 0, v6, s7
	s_or_b32 s33, vcc_lo, s33
	s_wait_loadcnt 0x1
	v_lshlrev_b32_e32 v12, 16, v13
	s_wait_loadcnt 0x0
	v_lshlrev_b32_e32 v11, 16, v11
	s_delay_alu instid0(VALU_DEP_1)
	v_fmac_f32_e32 v10, v12, v11
	s_and_not1_b32 exec_lo, exec_lo, s33
	s_cbranch_execnz .LBB77_11
; %bb.12:                               ;   in Loop: Header=BB77_9 Depth=1
	s_or_b32 exec_lo, exec_lo, s33
.LBB77_13:                              ;   in Loop: Header=BB77_9 Depth=1
	s_delay_alu instid0(SALU_CYCLE_1)
	s_or_b32 exec_lo, exec_lo, s31
	ds_store_b32 v16, v10
	s_wait_loadcnt_dscnt 0x0
	s_barrier_signal -1
	s_barrier_wait -1
	global_inv scope:SCOPE_SE
	s_and_saveexec_b32 s7, s2
	s_cbranch_execz .LBB77_15
; %bb.14:                               ;   in Loop: Header=BB77_9 Depth=1
	ds_load_2addr_stride64_b32 v[1:2], v16 offset1:4
	ds_load_2addr_stride64_b32 v[3:4], v16 offset0:8 offset1:12
	s_wait_dscnt 0x0
	v_add_f32_e32 v2, v2, v3
	s_delay_alu instid0(VALU_DEP_1) | instskip(NEXT) | instid1(VALU_DEP_1)
	v_add_f32_e32 v2, v2, v4
	v_add_f32_e32 v1, v1, v2
	ds_store_b32 v16, v1
.LBB77_15:                              ;   in Loop: Header=BB77_9 Depth=1
	s_wait_alu 0xfffe
	s_or_b32 exec_lo, exec_lo, s7
	s_wait_loadcnt_dscnt 0x0
	s_barrier_signal -1
	s_barrier_wait -1
	global_inv scope:SCOPE_SE
	s_and_saveexec_b32 s7, s3
	s_cbranch_execz .LBB77_17
; %bb.16:                               ;   in Loop: Header=BB77_9 Depth=1
	ds_load_2addr_stride64_b32 v[1:2], v16 offset1:1
	ds_load_2addr_stride64_b32 v[3:4], v16 offset0:2 offset1:3
	s_wait_dscnt 0x0
	v_add_f32_e32 v2, v2, v3
	s_delay_alu instid0(VALU_DEP_1) | instskip(NEXT) | instid1(VALU_DEP_1)
	v_add_f32_e32 v2, v2, v4
	v_add_f32_e32 v1, v1, v2
	ds_store_b32 v16, v1
.LBB77_17:                              ;   in Loop: Header=BB77_9 Depth=1
	s_wait_alu 0xfffe
	s_or_b32 exec_lo, exec_lo, s7
	s_wait_loadcnt_dscnt 0x0
	s_barrier_signal -1
	s_barrier_wait -1
	global_inv scope:SCOPE_SE
	s_and_saveexec_b32 s7, s4
	s_cbranch_execz .LBB77_19
; %bb.18:                               ;   in Loop: Header=BB77_9 Depth=1
	ds_load_2addr_b32 v[1:2], v16 offset1:16
	ds_load_2addr_b32 v[3:4], v16 offset0:32 offset1:48
	s_wait_dscnt 0x0
	v_add_f32_e32 v2, v2, v3
	s_delay_alu instid0(VALU_DEP_1) | instskip(NEXT) | instid1(VALU_DEP_1)
	v_add_f32_e32 v2, v2, v4
	v_add_f32_e32 v1, v1, v2
	ds_store_b32 v16, v1
.LBB77_19:                              ;   in Loop: Header=BB77_9 Depth=1
	s_wait_alu 0xfffe
	s_or_b32 exec_lo, exec_lo, s7
	s_wait_loadcnt_dscnt 0x0
	s_barrier_signal -1
	s_barrier_wait -1
	global_inv scope:SCOPE_SE
	s_and_saveexec_b32 s7, s5
	s_cbranch_execz .LBB77_21
; %bb.20:                               ;   in Loop: Header=BB77_9 Depth=1
	ds_load_2addr_b32 v[1:2], v16 offset1:4
	ds_load_2addr_b32 v[3:4], v16 offset0:8 offset1:12
	s_wait_dscnt 0x0
	v_add_f32_e32 v2, v2, v3
	s_delay_alu instid0(VALU_DEP_1) | instskip(NEXT) | instid1(VALU_DEP_1)
	v_add_f32_e32 v2, v2, v4
	v_add_f32_e32 v1, v1, v2
	ds_store_b32 v16, v1
.LBB77_21:                              ;   in Loop: Header=BB77_9 Depth=1
	s_wait_alu 0xfffe
	s_or_b32 exec_lo, exec_lo, s7
	s_wait_loadcnt_dscnt 0x0
	s_barrier_signal -1
	s_barrier_wait -1
	global_inv scope:SCOPE_SE
	s_and_saveexec_b32 s7, s6
	s_cbranch_execz .LBB77_23
; %bb.22:                               ;   in Loop: Header=BB77_9 Depth=1
	ds_load_2addr_b32 v[1:2], v9 offset0:1 offset1:2
	ds_load_b32 v3, v9 offset:12
	ds_load_b32 v4, v16
	s_wait_dscnt 0x2
	v_add_f32_e32 v1, v1, v2
	s_wait_dscnt 0x1
	s_delay_alu instid0(VALU_DEP_1) | instskip(SKIP_1) | instid1(VALU_DEP_1)
	v_add_f32_e32 v1, v1, v3
	s_wait_dscnt 0x0
	v_add_f32_e32 v1, v4, v1
	ds_store_b32 v16, v1
.LBB77_23:                              ;   in Loop: Header=BB77_9 Depth=1
	s_wait_alu 0xfffe
	s_or_b32 exec_lo, exec_lo, s7
	s_wait_loadcnt_dscnt 0x0
	s_barrier_signal -1
	s_barrier_wait -1
	global_inv scope:SCOPE_SE
	s_and_saveexec_b32 s7, s6
	s_cbranch_execz .LBB77_8
; %bb.24:                               ;   in Loop: Header=BB77_9 Depth=1
	s_mov_b32 s28, exec_lo
	s_wait_alu 0xfffe
	v_mbcnt_lo_u32_b32 v1, s28, 0
	s_delay_alu instid0(VALU_DEP_1)
	v_cmp_eq_u32_e32 vcc_lo, 0, v1
	s_and_b32 s29, exec_lo, vcc_lo
	s_wait_alu 0xfffe
	s_mov_b32 exec_lo, s29
	s_cbranch_execz .LBB77_8
; %bb.25:                               ;   in Loop: Header=BB77_9 Depth=1
	ds_load_b32 v1, v9
	s_bcnt1_i32_b32 s28, s28
	s_wait_alu 0xfffe
	v_cvt_f32_ubyte0_e32 v2, s28
	s_lshl_b64 s[28:29], s[26:27], 2
	s_wait_alu 0xfffe
	s_add_nc_u64 s[28:29], s[20:21], s[28:29]
	s_wait_dscnt 0x0
	v_mul_f32_e32 v1, s30, v1
	s_delay_alu instid0(VALU_DEP_1)
	v_mul_f32_e32 v1, v1, v2
	global_atomic_add_f32 v9, v1, s[28:29] scope:SCOPE_DEV
	s_branch .LBB77_8
.LBB77_26:
	s_lshl_b64 s[2:3], s[16:17], 3
	s_lshl_b64 s[4:5], s[18:19], 3
	s_wait_alu 0xfffe
	s_add_nc_u64 s[2:3], s[8:9], s[2:3]
	s_add_nc_u64 s[4:5], s[8:9], s[4:5]
	s_clause 0x1
	s_load_b64 s[2:3], s[2:3], 0x0
	s_load_b64 s[4:5], s[4:5], 0x0
	s_wait_kmcnt 0x0
	v_add_co_u32 v1, vcc_lo, s2, v7
	s_wait_alu 0xfffd
	v_add_co_ci_u32_e64 v2, null, s3, v8, vcc_lo
	s_sub_nc_u64 s[4:5], s[4:5], s[24:25]
	s_mov_b32 s3, exec_lo
	v_cmpx_gt_i64_e64 s[4:5], v[1:2]
	s_cbranch_execz .LBB77_35
; %bb.27:
	s_add_nc_u64 s[6:7], s[18:19], -1
	s_add_nc_u64 s[26:27], s[18:19], -2
	s_wait_alu 0xfffe
	v_cmp_lt_i64_e64 s2, s[16:17], s[6:7]
	s_cmp_lg_u64 s[16:17], s[26:27]
	s_mov_b32 s26, 0
	s_cselect_b32 s25, -1, 0
	s_wait_alu 0xfffe
	s_and_b32 s25, s2, s25
	s_branch .LBB77_29
.LBB77_28:                              ;   in Loop: Header=BB77_29 Depth=1
	s_wait_alu 0xfffe
	s_or_b32 exec_lo, exec_lo, s2
	v_add_co_u32 v1, vcc_lo, 0x100, v1
	s_wait_alu 0xfffd
	v_add_co_ci_u32_e64 v2, null, 0, v2, vcc_lo
	s_delay_alu instid0(VALU_DEP_1)
	v_cmp_le_i64_e32 vcc_lo, s[4:5], v[1:2]
	s_or_b32 s26, vcc_lo, s26
	s_wait_alu 0xfffe
	s_and_not1_b32 exec_lo, exec_lo, s26
	s_cbranch_execz .LBB77_35
.LBB77_29:                              ; =>This Loop Header: Depth=1
                                        ;     Child Loop BB77_31 Depth 2
	v_dual_mov_b32 v3, s16 :: v_dual_mov_b32 v4, s17
	v_dual_mov_b32 v5, s6 :: v_dual_mov_b32 v6, s7
	s_wait_alu 0xfffe
	s_and_not1_b32 vcc_lo, exec_lo, s25
	s_wait_alu 0xfffe
	s_cbranch_vccnz .LBB77_33
; %bb.30:                               ;   in Loop: Header=BB77_29 Depth=1
	v_dual_mov_b32 v3, s16 :: v_dual_mov_b32 v4, s17
	v_dual_mov_b32 v5, s6 :: v_dual_mov_b32 v6, s7
	s_mov_b32 s27, 0
.LBB77_31:                              ;   Parent Loop BB77_29 Depth=1
                                        ; =>  This Inner Loop Header: Depth=2
	s_delay_alu instid0(VALU_DEP_1) | instskip(SKIP_1) | instid1(VALU_DEP_2)
	v_add_co_u32 v7, vcc_lo, v5, v3
	s_wait_alu 0xfffd
	v_add_co_ci_u32_e64 v8, null, v6, v4, vcc_lo
	s_delay_alu instid0(VALU_DEP_1) | instskip(NEXT) | instid1(VALU_DEP_1)
	v_lshrrev_b32_e32 v9, 31, v8
	v_add_co_u32 v7, vcc_lo, v7, v9
	s_wait_alu 0xfffd
	v_add_co_ci_u32_e64 v8, null, 0, v8, vcc_lo
	s_delay_alu instid0(VALU_DEP_1) | instskip(NEXT) | instid1(VALU_DEP_1)
	v_ashrrev_i64 v[7:8], 1, v[7:8]
	v_lshlrev_b64_e32 v[9:10], 3, v[7:8]
	s_delay_alu instid0(VALU_DEP_1) | instskip(SKIP_1) | instid1(VALU_DEP_2)
	v_add_co_u32 v9, vcc_lo, s8, v9
	s_wait_alu 0xfffd
	v_add_co_ci_u32_e64 v10, null, s9, v10, vcc_lo
	global_load_b64 v[9:10], v[9:10], off
	s_wait_loadcnt 0x0
	v_sub_co_u32 v9, vcc_lo, v9, s24
	s_wait_alu 0xfffd
	v_subrev_co_ci_u32_e64 v10, null, 0, v10, vcc_lo
	s_delay_alu instid0(VALU_DEP_1) | instskip(SKIP_3) | instid1(VALU_DEP_2)
	v_cmp_lt_i64_e32 vcc_lo, v[1:2], v[9:10]
	s_wait_alu 0xfffd
	v_dual_cndmask_b32 v6, v6, v8 :: v_dual_cndmask_b32 v5, v5, v7
	v_dual_cndmask_b32 v4, v8, v4 :: v_dual_cndmask_b32 v3, v7, v3
	v_add_co_u32 v7, vcc_lo, v5, -1
	s_wait_alu 0xfffd
	s_delay_alu instid0(VALU_DEP_3) | instskip(NEXT) | instid1(VALU_DEP_3)
	v_add_co_ci_u32_e64 v8, null, -1, v6, vcc_lo
	v_cmp_ge_i64_e32 vcc_lo, v[3:4], v[5:6]
	s_delay_alu instid0(VALU_DEP_2)
	v_cmp_eq_u64_e64 s2, v[3:4], v[7:8]
	s_or_b32 s2, vcc_lo, s2
	s_wait_alu 0xfffe
	s_and_b32 s2, exec_lo, s2
	s_wait_alu 0xfffe
	s_or_b32 s27, s2, s27
	s_wait_alu 0xfffe
	s_and_not1_b32 exec_lo, exec_lo, s27
	s_cbranch_execnz .LBB77_31
; %bb.32:                               ;   in Loop: Header=BB77_29 Depth=1
	s_or_b32 exec_lo, exec_lo, s27
.LBB77_33:                              ;   in Loop: Header=BB77_29 Depth=1
	v_lshlrev_b64_e32 v[7:8], 3, v[5:6]
	v_lshlrev_b64_e32 v[9:10], 2, v[1:2]
	s_mov_b32 s2, exec_lo
	s_delay_alu instid0(VALU_DEP_2) | instskip(SKIP_1) | instid1(VALU_DEP_3)
	v_add_co_u32 v7, vcc_lo, s8, v7
	s_wait_alu 0xfffd
	v_add_co_ci_u32_e64 v8, null, s9, v8, vcc_lo
	s_delay_alu instid0(VALU_DEP_3)
	v_add_co_u32 v9, vcc_lo, s10, v9
	s_wait_alu 0xfffd
	v_add_co_ci_u32_e64 v10, null, s11, v10, vcc_lo
	global_load_b64 v[7:8], v[7:8], off
	global_load_b32 v9, v[9:10], off
	s_wait_loadcnt 0x1
	v_sub_co_u32 v7, vcc_lo, v7, s24
	s_wait_alu 0xfffd
	v_subrev_co_ci_u32_e64 v8, null, 0, v8, vcc_lo
	s_delay_alu instid0(VALU_DEP_1) | instskip(SKIP_2) | instid1(VALU_DEP_1)
	v_cmp_lt_i64_e32 vcc_lo, v[1:2], v[7:8]
	s_wait_loadcnt 0x0
	v_subrev_nc_u32_e32 v7, s24, v9
	v_ashrrev_i32_e32 v8, 31, v7
	s_wait_alu 0xfffd
	v_dual_cndmask_b32 v4, v6, v4 :: v_dual_cndmask_b32 v3, v5, v3
	s_delay_alu instid0(VALU_DEP_1)
	v_cmpx_ne_u64_e64 v[3:4], v[7:8]
	s_cbranch_execz .LBB77_28
; %bb.34:                               ;   in Loop: Header=BB77_29 Depth=1
	v_lshlrev_b64_e32 v[5:6], 1, v[1:2]
	v_lshlrev_b64_e32 v[3:4], 1, v[3:4]
	s_delay_alu instid0(VALU_DEP_2) | instskip(SKIP_1) | instid1(VALU_DEP_3)
	v_add_co_u32 v5, vcc_lo, s12, v5
	s_wait_alu 0xfffd
	v_add_co_ci_u32_e64 v6, null, s13, v6, vcc_lo
	s_delay_alu instid0(VALU_DEP_3)
	v_add_co_u32 v3, vcc_lo, s14, v3
	s_wait_alu 0xfffd
	v_add_co_ci_u32_e64 v4, null, s15, v4, vcc_lo
	global_load_u16 v5, v[5:6], off
	global_load_u16 v6, v[3:4], off
	v_lshlrev_b64_e32 v[3:4], 2, v[7:8]
	s_delay_alu instid0(VALU_DEP_1) | instskip(SKIP_1) | instid1(VALU_DEP_2)
	v_add_co_u32 v3, vcc_lo, s20, v3
	s_wait_alu 0xfffd
	v_add_co_ci_u32_e64 v4, null, s21, v4, vcc_lo
	s_wait_loadcnt 0x1
	v_lshlrev_b32_e32 v5, 16, v5
	s_wait_loadcnt 0x0
	s_delay_alu instid0(VALU_DEP_1) | instskip(NEXT) | instid1(VALU_DEP_1)
	v_dual_mul_f32 v5, s30, v5 :: v_dual_lshlrev_b32 v6, 16, v6
	v_mul_f32_e32 v5, v5, v6
	global_atomic_add_f32 v[3:4], v5, off scope:SCOPE_DEV
	s_branch .LBB77_28
.LBB77_35:
	s_wait_alu 0xfffe
	s_or_b32 exec_lo, exec_lo, s3
	s_mov_b32 s2, 0
.LBB77_36:
	s_wait_alu 0xfffe
	s_and_b32 vcc_lo, exec_lo, s2
	s_wait_alu 0xfffe
	s_cbranch_vccz .LBB77_134
; %bb.37:
	s_load_b32 s2, s[0:1], 0x6c
	s_mov_b32 s25, 0
	s_mov_b64 s[28:29], 0
	s_wait_alu 0xfffe
	s_mov_b32 s7, s25
	s_wait_kmcnt 0x0
	s_and_b32 s6, s2, 0xffff
	s_wait_alu 0xfffe
	v_cmp_lt_u64_e64 s2, s[6:7], s[22:23]
	s_and_b32 vcc_lo, exec_lo, s2
	s_wait_alu 0xfffe
	s_cbranch_vccnz .LBB77_39
; %bb.38:
	v_cvt_f32_u32_e32 v1, s22
	s_sub_co_i32 s3, 0, s22
	s_delay_alu instid0(VALU_DEP_1) | instskip(NEXT) | instid1(TRANS32_DEP_1)
	v_rcp_iflag_f32_e32 v1, v1
	v_mul_f32_e32 v1, 0x4f7ffffe, v1
	s_delay_alu instid0(VALU_DEP_1) | instskip(NEXT) | instid1(VALU_DEP_1)
	v_cvt_u32_f32_e32 v1, v1
	v_readfirstlane_b32 s2, v1
	s_wait_alu 0xfffe
	s_mul_i32 s3, s3, s2
	s_wait_alu 0xfffe
	s_mul_hi_u32 s3, s2, s3
	s_wait_alu 0xfffe
	s_add_co_i32 s2, s2, s3
	s_wait_alu 0xfffe
	s_mul_hi_u32 s2, s6, s2
	s_wait_alu 0xfffe
	s_mul_i32 s3, s2, s22
	s_add_co_i32 s4, s2, 1
	s_wait_alu 0xfffe
	s_sub_co_i32 s3, s6, s3
	s_wait_alu 0xfffe
	s_sub_co_i32 s5, s3, s22
	s_cmp_ge_u32 s3, s22
	s_cselect_b32 s2, s4, s2
	s_wait_alu 0xfffe
	s_cselect_b32 s3, s5, s3
	s_add_co_i32 s4, s2, 1
	s_wait_alu 0xfffe
	s_cmp_ge_u32 s3, s22
	s_cselect_b32 s28, s4, s2
.LBB77_39:
	s_lshl_b64 s[2:3], s[16:17], 3
	v_sub_co_u32 v1, s7, v0, s24
	s_wait_alu 0xfffe
	s_add_nc_u64 s[26:27], s[8:9], s[2:3]
	s_load_b64 s[4:5], s[26:27], 0x0
	s_load_b128 s[0:3], s[0:1], 0x8
	v_sub_co_ci_u32_e64 v2, null, 0, 0, s7
	s_wait_kmcnt 0x0
	v_add_co_u32 v4, vcc_lo, s4, v1
	s_wait_alu 0xfffd
	s_delay_alu instid0(VALU_DEP_2) | instskip(SKIP_1) | instid1(VALU_DEP_3)
	v_add_co_ci_u32_e64 v5, null, s5, v2, vcc_lo
	v_mov_b32_e32 v1, 0
	v_add_co_u32 v2, vcc_lo, 0x300, v4
	s_wait_alu 0xfffd
	s_delay_alu instid0(VALU_DEP_3) | instskip(NEXT) | instid1(VALU_DEP_1)
	v_add_co_ci_u32_e64 v3, null, 0, v5, vcc_lo
	v_cmp_le_i64_e32 vcc_lo, s[0:1], v[2:3]
	s_and_saveexec_b32 s0, vcc_lo
	s_wait_alu 0xfffe
	s_xor_b32 s7, exec_lo, s0
	s_cbranch_execz .LBB77_44
; %bb.40:
	s_lshl_b64 s[0:1], s[18:19], 3
	s_mov_b32 s29, exec_lo
	s_wait_alu 0xfffe
	s_add_nc_u64 s[0:1], s[8:9], s[0:1]
	s_load_b64 s[0:1], s[0:1], 0x0
	s_wait_kmcnt 0x0
	s_sub_nc_u64 s[34:35], s[0:1], s[4:5]
	s_delay_alu instid0(SALU_CYCLE_1)
	v_cmpx_gt_i64_e64 s[34:35], v[0:1]
	s_cbranch_execz .LBB77_43
; %bb.41:
	v_lshlrev_b64_e32 v[6:7], 1, v[4:5]
	v_dual_mov_b32 v10, v16 :: v_dual_mov_b32 v9, v1
	v_mov_b32_e32 v8, v0
	s_mov_b32 s31, 0
	s_delay_alu instid0(VALU_DEP_3)
	v_add_co_u32 v6, s0, s12, v6
	s_wait_alu 0xf1ff
	v_add_co_ci_u32_e64 v7, null, s13, v7, s0
.LBB77_42:                              ; =>This Inner Loop Header: Depth=1
	global_load_u16 v11, v[6:7], off
	v_add_co_u32 v8, s0, 0x100, v8
	s_wait_alu 0xf1ff
	v_add_co_ci_u32_e64 v9, null, 0, v9, s0
	v_add_co_u32 v6, s0, 0x200, v6
	s_wait_alu 0xf1ff
	v_add_co_ci_u32_e64 v7, null, 0, v7, s0
	s_delay_alu instid0(VALU_DEP_3) | instskip(SKIP_4) | instid1(VALU_DEP_1)
	v_cmp_le_i64_e64 s1, s[34:35], v[8:9]
	s_wait_alu 0xfffe
	s_or_b32 s31, s1, s31
	s_wait_loadcnt 0x0
	v_lshlrev_b32_e32 v11, 16, v11
	v_mul_f32_e32 v11, s30, v11
	ds_store_b32 v10, v11
	v_add_nc_u32_e32 v10, 0x400, v10
	s_wait_alu 0xfffe
	s_and_not1_b32 exec_lo, exec_lo, s31
	s_cbranch_execnz .LBB77_42
.LBB77_43:
	s_or_b32 exec_lo, exec_lo, s29
.LBB77_44:
	s_wait_alu 0xfffe
	s_and_not1_saveexec_b32 s1, s7
	s_cbranch_execz .LBB77_46
; %bb.45:
	v_lshlrev_b64_e32 v[6:7], 1, v[4:5]
	s_delay_alu instid0(VALU_DEP_1) | instskip(SKIP_1) | instid1(VALU_DEP_2)
	v_add_co_u32 v6, s0, s12, v6
	s_wait_alu 0xf1ff
	v_add_co_ci_u32_e64 v7, null, s13, v7, s0
	s_clause 0x3
	global_load_u16 v8, v[6:7], off
	global_load_u16 v9, v[6:7], off offset:512
	global_load_u16 v10, v[6:7], off offset:1024
	;; [unrolled: 1-line block ×3, first 2 shown]
	s_wait_loadcnt 0x0
	v_lshlrev_b32_e32 v6, 16, v6
	s_delay_alu instid0(VALU_DEP_1) | instskip(NEXT) | instid1(VALU_DEP_1)
	v_dual_mul_f32 v6, s30, v6 :: v_dual_lshlrev_b32 v7, 16, v8
	v_dual_mul_f32 v7, s30, v7 :: v_dual_lshlrev_b32 v8, 16, v9
	s_delay_alu instid0(VALU_DEP_1) | instskip(NEXT) | instid1(VALU_DEP_1)
	v_dual_mul_f32 v8, s30, v8 :: v_dual_lshlrev_b32 v9, 16, v10
	v_mul_f32_e32 v9, s30, v9
	ds_store_2addr_stride64_b32 v16, v7, v8 offset1:4
	ds_store_2addr_stride64_b32 v16, v9, v6 offset0:8 offset1:12
.LBB77_46:
	s_wait_alu 0xfffe
	s_or_b32 exec_lo, exec_lo, s1
	v_lshl_add_u32 v17, v0, 2, 0x1000
	s_mov_b32 s1, exec_lo
	v_cmpx_gt_i64_e64 s[2:3], v[0:1]
	s_cbranch_execz .LBB77_49
; %bb.47:
	v_mov_b32_e32 v7, v1
	v_lshl_add_u32 v8, v0, 2, 0x1000
	v_dual_mov_b32 v9, 0 :: v_dual_mov_b32 v6, v0
	s_mov_b32 s7, 0
.LBB77_48:                              ; =>This Inner Loop Header: Depth=1
	s_delay_alu instid0(VALU_DEP_1)
	v_add_co_u32 v6, s0, 0x100, v6
	s_wait_alu 0xf1ff
	v_add_co_ci_u32_e64 v7, null, 0, v7, s0
	ds_store_b32 v8, v9
	v_add_nc_u32_e32 v8, 0x400, v8
	v_cmp_le_i64_e64 s0, s[2:3], v[6:7]
	s_wait_alu 0xfffe
	s_or_b32 s7, s0, s7
	s_wait_alu 0xfffe
	s_and_not1_b32 exec_lo, exec_lo, s7
	s_cbranch_execnz .LBB77_48
.LBB77_49:
	s_wait_alu 0xfffe
	s_or_b32 exec_lo, exec_lo, s1
	v_cmp_ge_i64_e64 s7, s[18:19], s[2:3]
	s_sub_nc_u64 s[0:1], s[18:19], s[2:3]
	s_wait_storecnt 0x0
	s_wait_loadcnt_dscnt 0x0
	s_barrier_signal -1
	s_barrier_wait -1
	global_inv scope:SCOPE_SE
	s_and_b32 s7, s7, exec_lo
	s_wait_alu 0xfffe
	s_cselect_b32 s13, s1, 0
	s_cselect_b32 s12, s0, 0
	s_and_saveexec_b32 s0, vcc_lo
	s_wait_alu 0xfffe
	s_xor_b32 s7, exec_lo, s0
	s_cbranch_execz .LBB77_63
; %bb.50:
	s_lshl_b64 s[0:1], s[18:19], 3
	s_mov_b32 s29, exec_lo
	s_wait_alu 0xfffe
	s_add_nc_u64 s[0:1], s[8:9], s[0:1]
	s_load_b64 s[0:1], s[0:1], 0x0
	s_wait_kmcnt 0x0
	s_sub_nc_u64 s[30:31], s[0:1], s[4:5]
	s_wait_alu 0xfffe
	v_cmpx_gt_i64_e64 s[30:31], v[0:1]
	s_cbranch_execz .LBB77_62
; %bb.51:
	s_add_nc_u64 s[34:35], s[18:19], -2
	s_sub_nc_u64 s[36:37], s[0:1], s[24:25]
	s_wait_alu 0xfffe
	s_cmp_lg_u64 s[16:17], s[34:35]
	s_add_nc_u64 s[34:35], s[18:19], -1
	s_cselect_b32 s33, -1, 0
	s_mov_b64 s[38:39], 0
	s_mov_b32 s1, 0
	s_branch .LBB77_53
.LBB77_52:                              ;   in Loop: Header=BB77_53 Depth=1
	s_or_b32 exec_lo, exec_lo, s40
	s_add_nc_u64 s[38:39], s[38:39], 0x100
	s_wait_alu 0xfffe
	v_add_co_u32 v2, s0, s38, v0
	s_wait_alu 0xf1ff
	v_add_co_ci_u32_e64 v3, null, s39, 0, s0
	s_delay_alu instid0(VALU_DEP_1)
	v_cmp_le_i64_e32 vcc_lo, s[30:31], v[2:3]
	s_or_b32 s1, vcc_lo, s1
	s_wait_alu 0xfffe
	s_and_not1_b32 exec_lo, exec_lo, s1
	s_cbranch_execz .LBB77_62
.LBB77_53:                              ; =>This Loop Header: Depth=1
                                        ;     Child Loop BB77_55 Depth 2
	v_add_co_u32 v2, vcc_lo, s38, v4
	s_wait_alu 0xfffd
	v_add_co_ci_u32_e64 v3, null, s39, v5, vcc_lo
	v_dual_mov_b32 v6, s16 :: v_dual_mov_b32 v7, s17
	s_wait_alu 0xfffe
	v_dual_mov_b32 v8, s34 :: v_dual_mov_b32 v9, s35
	s_and_not1_b32 vcc_lo, exec_lo, s33
	s_wait_alu 0xfffe
	s_cbranch_vccnz .LBB77_57
; %bb.54:                               ;   in Loop: Header=BB77_53 Depth=1
	v_dual_mov_b32 v6, s16 :: v_dual_mov_b32 v7, s17
	v_dual_mov_b32 v8, s34 :: v_dual_mov_b32 v9, s35
	s_mov_b32 s40, 0
.LBB77_55:                              ;   Parent Loop BB77_53 Depth=1
                                        ; =>  This Inner Loop Header: Depth=2
	s_delay_alu instid0(VALU_DEP_1) | instskip(SKIP_1) | instid1(VALU_DEP_2)
	v_add_co_u32 v10, vcc_lo, v8, v6
	s_wait_alu 0xfffd
	v_add_co_ci_u32_e64 v11, null, v9, v7, vcc_lo
	s_delay_alu instid0(VALU_DEP_1) | instskip(NEXT) | instid1(VALU_DEP_1)
	v_lshrrev_b32_e32 v12, 31, v11
	v_add_co_u32 v10, vcc_lo, v10, v12
	s_wait_alu 0xfffd
	v_add_co_ci_u32_e64 v11, null, 0, v11, vcc_lo
	s_delay_alu instid0(VALU_DEP_1) | instskip(NEXT) | instid1(VALU_DEP_1)
	v_ashrrev_i64 v[10:11], 1, v[10:11]
	v_lshlrev_b64_e32 v[12:13], 3, v[10:11]
	s_delay_alu instid0(VALU_DEP_1) | instskip(SKIP_1) | instid1(VALU_DEP_2)
	v_add_co_u32 v12, vcc_lo, s8, v12
	s_wait_alu 0xfffd
	v_add_co_ci_u32_e64 v13, null, s9, v13, vcc_lo
	global_load_b64 v[12:13], v[12:13], off
	s_wait_loadcnt 0x0
	v_sub_co_u32 v12, vcc_lo, v12, s24
	s_wait_alu 0xfffd
	v_subrev_co_ci_u32_e64 v13, null, 0, v13, vcc_lo
	s_delay_alu instid0(VALU_DEP_1) | instskip(SKIP_3) | instid1(VALU_DEP_2)
	v_cmp_lt_i64_e32 vcc_lo, v[2:3], v[12:13]
	s_wait_alu 0xfffd
	v_dual_cndmask_b32 v9, v9, v11 :: v_dual_cndmask_b32 v8, v8, v10
	v_dual_cndmask_b32 v7, v11, v7 :: v_dual_cndmask_b32 v6, v10, v6
	v_add_co_u32 v10, vcc_lo, v8, -1
	s_wait_alu 0xfffd
	s_delay_alu instid0(VALU_DEP_3) | instskip(NEXT) | instid1(VALU_DEP_3)
	v_add_co_ci_u32_e64 v11, null, -1, v9, vcc_lo
	v_cmp_ge_i64_e32 vcc_lo, v[6:7], v[8:9]
	s_delay_alu instid0(VALU_DEP_2)
	v_cmp_eq_u64_e64 s0, v[6:7], v[10:11]
	s_or_b32 s0, vcc_lo, s0
	s_wait_alu 0xfffe
	s_and_b32 s0, exec_lo, s0
	s_wait_alu 0xfffe
	s_or_b32 s40, s0, s40
	s_delay_alu instid0(SALU_CYCLE_1)
	s_and_not1_b32 exec_lo, exec_lo, s40
	s_cbranch_execnz .LBB77_55
; %bb.56:                               ;   in Loop: Header=BB77_53 Depth=1
	s_or_b32 exec_lo, exec_lo, s40
.LBB77_57:                              ;   in Loop: Header=BB77_53 Depth=1
	s_delay_alu instid0(VALU_DEP_1) | instskip(SKIP_2) | instid1(VALU_DEP_3)
	v_lshlrev_b64_e32 v[10:11], 3, v[8:9]
	v_lshlrev_b64_e32 v[12:13], 2, v[2:3]
	v_cmp_gt_i64_e64 s0, s[36:37], v[2:3]
	v_add_co_u32 v10, vcc_lo, s8, v10
	s_wait_alu 0xfffd
	s_delay_alu instid0(VALU_DEP_4) | instskip(NEXT) | instid1(VALU_DEP_4)
	v_add_co_ci_u32_e64 v11, null, s9, v11, vcc_lo
	v_add_co_u32 v12, vcc_lo, s10, v12
	s_wait_alu 0xfffd
	v_add_co_ci_u32_e64 v13, null, s11, v13, vcc_lo
	global_load_b64 v[10:11], v[10:11], off
	global_load_b32 v14, v[12:13], off
	s_wait_loadcnt 0x1
	v_sub_co_u32 v12, vcc_lo, v10, s24
	s_wait_alu 0xfffd
	v_subrev_co_ci_u32_e64 v13, null, 0, v11, vcc_lo
	s_wait_loadcnt 0x0
	v_subrev_nc_u32_e32 v10, s24, v14
	s_delay_alu instid0(VALU_DEP_2) | instskip(NEXT) | instid1(VALU_DEP_2)
	v_cmp_lt_i64_e32 vcc_lo, v[2:3], v[12:13]
	v_ashrrev_i32_e32 v11, 31, v10
	s_wait_alu 0xfffd
	v_dual_cndmask_b32 v7, v9, v7 :: v_dual_cndmask_b32 v6, v8, v6
	s_delay_alu instid0(VALU_DEP_1)
	v_cmp_ne_u64_e32 vcc_lo, v[6:7], v[10:11]
	s_and_b32 s0, vcc_lo, s0
	s_wait_alu 0xfffe
	s_and_saveexec_b32 s40, s0
	s_cbranch_execz .LBB77_52
; %bb.58:                               ;   in Loop: Header=BB77_53 Depth=1
	v_add_co_u32 v8, null, s38, v0
	v_cmp_gt_i64_e32 vcc_lo, s[12:13], v[10:11]
	v_cmp_le_i64_e64 s0, s[18:19], v[10:11]
	v_lshlrev_b64_e32 v[2:3], 1, v[6:7]
	s_delay_alu instid0(VALU_DEP_4) | instskip(SKIP_3) | instid1(SALU_CYCLE_1)
	v_lshlrev_b32_e32 v6, 2, v8
	s_or_b32 s0, vcc_lo, s0
	s_wait_alu 0xfffe
	s_and_saveexec_b32 s41, s0
	s_xor_b32 s0, exec_lo, s41
	s_cbranch_execz .LBB77_60
; %bb.59:                               ;   in Loop: Header=BB77_53 Depth=1
	v_add_co_u32 v2, vcc_lo, s14, v2
	s_wait_alu 0xfffd
	v_add_co_ci_u32_e64 v3, null, s15, v3, vcc_lo
	ds_load_b32 v6, v6
	global_load_u16 v7, v[2:3], off
	v_lshlrev_b64_e32 v[2:3], 2, v[10:11]
                                        ; implicit-def: $vgpr10_vgpr11
	s_delay_alu instid0(VALU_DEP_1) | instskip(SKIP_1) | instid1(VALU_DEP_2)
	v_add_co_u32 v2, vcc_lo, s20, v2
	s_wait_alu 0xfffd
	v_add_co_ci_u32_e64 v3, null, s21, v3, vcc_lo
	s_wait_loadcnt 0x0
	v_lshlrev_b32_e32 v7, 16, v7
	s_wait_dscnt 0x0
	s_delay_alu instid0(VALU_DEP_1)
	v_mul_f32_e32 v6, v6, v7
	global_atomic_add_f32 v[2:3], v6, off scope:SCOPE_DEV
                                        ; implicit-def: $vgpr6
                                        ; implicit-def: $vgpr2_vgpr3
.LBB77_60:                              ;   in Loop: Header=BB77_53 Depth=1
	s_wait_alu 0xfffe
	s_and_not1_saveexec_b32 s0, s0
	s_cbranch_execz .LBB77_52
; %bb.61:                               ;   in Loop: Header=BB77_53 Depth=1
	v_add_co_u32 v2, vcc_lo, s14, v2
	s_wait_alu 0xfffd
	v_add_co_ci_u32_e64 v3, null, s15, v3, vcc_lo
	global_load_u16 v2, v[2:3], off
	ds_load_b32 v3, v6
	v_subrev_nc_u32_e32 v6, s12, v10
	s_delay_alu instid0(VALU_DEP_1) | instskip(SKIP_3) | instid1(VALU_DEP_1)
	v_lshl_add_u32 v6, v6, 2, 0x1000
	s_wait_loadcnt 0x0
	v_lshlrev_b32_e32 v2, 16, v2
	s_wait_dscnt 0x0
	v_mul_f32_e32 v2, v3, v2
	ds_add_f32 v6, v2
	s_branch .LBB77_52
.LBB77_62:
	s_or_b32 exec_lo, exec_lo, s29
                                        ; implicit-def: $vgpr2_vgpr3
                                        ; implicit-def: $vgpr4
.LBB77_63:
	s_wait_alu 0xfffe
	s_and_not1_saveexec_b32 s1, s7
	s_cbranch_execz .LBB77_105
; %bb.64:
	s_add_nc_u64 s[30:31], s[18:19], -1
	s_add_nc_u64 s[34:35], s[18:19], -2
	v_dual_mov_b32 v8, s16 :: v_dual_mov_b32 v9, s17
	s_wait_alu 0xfffe
	v_dual_mov_b32 v10, s30 :: v_dual_mov_b32 v11, s31
	s_cmp_lg_u64 s[16:17], s[34:35]
	s_cselect_b32 s7, -1, 0
	s_cmp_eq_u64 s[16:17], s[34:35]
	s_cbranch_scc1 .LBB77_68
; %bb.65:
	v_dual_mov_b32 v8, s16 :: v_dual_mov_b32 v9, s17
	v_dual_mov_b32 v10, s30 :: v_dual_mov_b32 v11, s31
	s_mov_b32 s29, 0
.LBB77_66:                              ; =>This Inner Loop Header: Depth=1
	s_delay_alu instid0(VALU_DEP_1) | instskip(SKIP_1) | instid1(VALU_DEP_2)
	v_add_co_u32 v6, vcc_lo, v10, v8
	s_wait_alu 0xfffd
	v_add_co_ci_u32_e64 v7, null, v11, v9, vcc_lo
	s_delay_alu instid0(VALU_DEP_1) | instskip(NEXT) | instid1(VALU_DEP_1)
	v_lshrrev_b32_e32 v12, 31, v7
	v_add_co_u32 v6, vcc_lo, v6, v12
	s_wait_alu 0xfffd
	v_add_co_ci_u32_e64 v7, null, 0, v7, vcc_lo
	s_delay_alu instid0(VALU_DEP_1) | instskip(NEXT) | instid1(VALU_DEP_1)
	v_ashrrev_i64 v[6:7], 1, v[6:7]
	v_lshlrev_b64_e32 v[12:13], 3, v[6:7]
	s_delay_alu instid0(VALU_DEP_1) | instskip(SKIP_1) | instid1(VALU_DEP_2)
	v_add_co_u32 v12, vcc_lo, s8, v12
	s_wait_alu 0xfffd
	v_add_co_ci_u32_e64 v13, null, s9, v13, vcc_lo
	global_load_b64 v[12:13], v[12:13], off
	s_wait_loadcnt 0x0
	v_sub_co_u32 v12, vcc_lo, v12, s24
	s_wait_alu 0xfffd
	v_subrev_co_ci_u32_e64 v13, null, 0, v13, vcc_lo
	s_delay_alu instid0(VALU_DEP_1) | instskip(SKIP_3) | instid1(VALU_DEP_2)
	v_cmp_lt_i64_e32 vcc_lo, v[4:5], v[12:13]
	s_wait_alu 0xfffd
	v_dual_cndmask_b32 v11, v11, v7 :: v_dual_cndmask_b32 v10, v10, v6
	v_dual_cndmask_b32 v9, v7, v9 :: v_dual_cndmask_b32 v8, v6, v8
	v_add_co_u32 v6, vcc_lo, v10, -1
	s_wait_alu 0xfffd
	s_delay_alu instid0(VALU_DEP_3) | instskip(NEXT) | instid1(VALU_DEP_3)
	v_add_co_ci_u32_e64 v7, null, -1, v11, vcc_lo
	v_cmp_ge_i64_e32 vcc_lo, v[8:9], v[10:11]
	s_delay_alu instid0(VALU_DEP_2)
	v_cmp_eq_u64_e64 s0, v[8:9], v[6:7]
	s_or_b32 s0, vcc_lo, s0
	s_wait_alu 0xfffe
	s_and_b32 s0, exec_lo, s0
	s_wait_alu 0xfffe
	s_or_b32 s29, s0, s29
	s_wait_alu 0xfffe
	s_and_not1_b32 exec_lo, exec_lo, s29
	s_cbranch_execnz .LBB77_66
; %bb.67:
	s_or_b32 exec_lo, exec_lo, s29
.LBB77_68:
	v_lshlrev_b64_e32 v[6:7], 3, v[10:11]
	v_lshlrev_b64_e32 v[12:13], 2, v[4:5]
	s_mov_b32 s29, exec_lo
	s_delay_alu instid0(VALU_DEP_2) | instskip(SKIP_1) | instid1(VALU_DEP_3)
	v_add_co_u32 v6, vcc_lo, s8, v6
	s_wait_alu 0xfffd
	v_add_co_ci_u32_e64 v7, null, s9, v7, vcc_lo
	global_load_b64 v[14:15], v[6:7], off
	v_add_co_u32 v6, vcc_lo, s10, v12
	s_wait_alu 0xfffd
	v_add_co_ci_u32_e64 v7, null, s11, v13, vcc_lo
	s_lshl_b64 s[10:11], s[18:19], 3
	s_wait_alu 0xfffe
	s_add_nc_u64 s[10:11], s[8:9], s[10:11]
	global_load_b32 v18, v[6:7], off
	s_wait_loadcnt 0x1
	v_sub_co_u32 v12, vcc_lo, v14, s24
	s_wait_alu 0xfffd
	v_subrev_co_ci_u32_e64 v13, null, 0, v15, vcc_lo
	s_delay_alu instid0(VALU_DEP_1) | instskip(SKIP_2) | instid1(VALU_DEP_1)
	v_cmp_lt_i64_e32 vcc_lo, v[4:5], v[12:13]
	s_wait_loadcnt 0x0
	v_subrev_nc_u32_e32 v12, s24, v18
	v_ashrrev_i32_e32 v13, 31, v12
	s_wait_alu 0xfffd
	v_dual_cndmask_b32 v9, v11, v9 :: v_dual_cndmask_b32 v8, v10, v8
	s_delay_alu instid0(VALU_DEP_1)
	v_cmpx_ne_u64_e64 v[8:9], v[12:13]
	s_cbranch_execz .LBB77_74
; %bb.69:
	s_load_b64 s[34:35], s[10:11], 0x0
	s_wait_kmcnt 0x0
	s_sub_nc_u64 s[34:35], s[34:35], s[24:25]
	s_wait_alu 0xfffe
	v_cmp_gt_i64_e32 vcc_lo, s[34:35], v[4:5]
	s_and_b32 exec_lo, exec_lo, vcc_lo
	s_cbranch_execz .LBB77_74
; %bb.70:
	v_cmp_gt_i64_e32 vcc_lo, s[12:13], v[12:13]
	v_cmp_le_i64_e64 s0, s[18:19], v[12:13]
	v_lshlrev_b64_e32 v[8:9], 1, v[8:9]
	s_or_b32 s0, vcc_lo, s0
	s_wait_alu 0xfffe
	s_and_saveexec_b32 s33, s0
	s_delay_alu instid0(SALU_CYCLE_1)
	s_xor_b32 s0, exec_lo, s33
	s_cbranch_execz .LBB77_72
; %bb.71:
	v_add_co_u32 v8, vcc_lo, s14, v8
	s_wait_alu 0xfffd
	v_add_co_ci_u32_e64 v9, null, s15, v9, vcc_lo
	ds_load_b32 v11, v16
	global_load_u16 v10, v[8:9], off
	v_lshlrev_b64_e32 v[8:9], 2, v[12:13]
                                        ; implicit-def: $vgpr12_vgpr13
	s_delay_alu instid0(VALU_DEP_1) | instskip(SKIP_1) | instid1(VALU_DEP_2)
	v_add_co_u32 v8, vcc_lo, s20, v8
	s_wait_alu 0xfffd
	v_add_co_ci_u32_e64 v9, null, s21, v9, vcc_lo
	s_wait_loadcnt 0x0
	v_lshlrev_b32_e32 v10, 16, v10
	s_wait_dscnt 0x0
	s_delay_alu instid0(VALU_DEP_1)
	v_mul_f32_e32 v10, v11, v10
	global_atomic_add_f32 v[8:9], v10, off scope:SCOPE_DEV
                                        ; implicit-def: $vgpr8_vgpr9
.LBB77_72:
	s_wait_alu 0xfffe
	s_and_not1_saveexec_b32 s0, s0
	s_cbranch_execz .LBB77_74
; %bb.73:
	v_add_co_u32 v8, vcc_lo, s14, v8
	s_wait_alu 0xfffd
	v_add_co_ci_u32_e64 v9, null, s15, v9, vcc_lo
	v_subrev_nc_u32_e32 v10, s12, v12
	global_load_u16 v8, v[8:9], off
	ds_load_b32 v9, v16
	v_lshl_add_u32 v10, v10, 2, 0x1000
	s_wait_loadcnt 0x0
	v_lshlrev_b32_e32 v8, 16, v8
	s_wait_dscnt 0x0
	s_delay_alu instid0(VALU_DEP_1)
	v_mul_f32_e32 v8, v9, v8
	ds_add_f32 v10, v8
.LBB77_74:
	s_or_b32 exec_lo, exec_lo, s29
	v_add_co_u32 v8, vcc_lo, 0x100, v4
	v_cndmask_b32_e64 v18, 0, 1, s7
	s_wait_alu 0xfffd
	v_add_co_ci_u32_e64 v9, null, 0, v5, vcc_lo
	v_dual_mov_b32 v10, s16 :: v_dual_mov_b32 v11, s17
	v_dual_mov_b32 v12, s30 :: v_dual_mov_b32 v13, s31
	s_and_not1_b32 vcc_lo, exec_lo, s7
	s_wait_alu 0xfffe
	s_cbranch_vccnz .LBB77_78
; %bb.75:
	v_dual_mov_b32 v10, s16 :: v_dual_mov_b32 v11, s17
	v_dual_mov_b32 v12, s30 :: v_dual_mov_b32 v13, s31
	s_mov_b32 s7, 0
.LBB77_76:                              ; =>This Inner Loop Header: Depth=1
	s_delay_alu instid0(VALU_DEP_1) | instskip(SKIP_1) | instid1(VALU_DEP_2)
	v_add_co_u32 v14, vcc_lo, v12, v10
	s_wait_alu 0xfffd
	v_add_co_ci_u32_e64 v15, null, v13, v11, vcc_lo
	s_delay_alu instid0(VALU_DEP_1) | instskip(NEXT) | instid1(VALU_DEP_1)
	v_lshrrev_b32_e32 v19, 31, v15
	v_add_co_u32 v14, vcc_lo, v14, v19
	s_wait_alu 0xfffd
	v_add_co_ci_u32_e64 v15, null, 0, v15, vcc_lo
	s_delay_alu instid0(VALU_DEP_1) | instskip(NEXT) | instid1(VALU_DEP_1)
	v_ashrrev_i64 v[14:15], 1, v[14:15]
	v_lshlrev_b64_e32 v[19:20], 3, v[14:15]
	s_delay_alu instid0(VALU_DEP_1) | instskip(SKIP_1) | instid1(VALU_DEP_2)
	v_add_co_u32 v19, vcc_lo, s8, v19
	s_wait_alu 0xfffd
	v_add_co_ci_u32_e64 v20, null, s9, v20, vcc_lo
	global_load_b64 v[19:20], v[19:20], off
	s_wait_loadcnt 0x0
	v_sub_co_u32 v19, vcc_lo, v19, s24
	s_wait_alu 0xfffd
	v_subrev_co_ci_u32_e64 v20, null, 0, v20, vcc_lo
	s_delay_alu instid0(VALU_DEP_1) | instskip(SKIP_3) | instid1(VALU_DEP_2)
	v_cmp_lt_i64_e32 vcc_lo, v[8:9], v[19:20]
	s_wait_alu 0xfffd
	v_dual_cndmask_b32 v13, v13, v15 :: v_dual_cndmask_b32 v12, v12, v14
	v_dual_cndmask_b32 v11, v15, v11 :: v_dual_cndmask_b32 v10, v14, v10
	v_add_co_u32 v14, vcc_lo, v12, -1
	s_wait_alu 0xfffd
	s_delay_alu instid0(VALU_DEP_3) | instskip(NEXT) | instid1(VALU_DEP_3)
	v_add_co_ci_u32_e64 v15, null, -1, v13, vcc_lo
	v_cmp_ge_i64_e32 vcc_lo, v[10:11], v[12:13]
	s_delay_alu instid0(VALU_DEP_2)
	v_cmp_eq_u64_e64 s0, v[10:11], v[14:15]
	s_or_b32 s0, vcc_lo, s0
	s_wait_alu 0xfffe
	s_and_b32 s0, exec_lo, s0
	s_wait_alu 0xfffe
	s_or_b32 s7, s0, s7
	s_wait_alu 0xfffe
	s_and_not1_b32 exec_lo, exec_lo, s7
	s_cbranch_execnz .LBB77_76
; %bb.77:
	s_or_b32 exec_lo, exec_lo, s7
.LBB77_78:
	s_delay_alu instid0(VALU_DEP_1) | instskip(SKIP_1) | instid1(VALU_DEP_1)
	v_lshlrev_b64_e32 v[14:15], 3, v[12:13]
	s_mov_b32 s7, exec_lo
	v_add_co_u32 v14, vcc_lo, s8, v14
	s_wait_alu 0xfffd
	s_delay_alu instid0(VALU_DEP_2)
	v_add_co_ci_u32_e64 v15, null, s9, v15, vcc_lo
	global_load_b64 v[14:15], v[14:15], off
	global_load_b32 v19, v[6:7], off offset:1024
	s_wait_loadcnt 0x1
	v_sub_co_u32 v14, vcc_lo, v14, s24
	s_wait_alu 0xfffd
	v_subrev_co_ci_u32_e64 v15, null, 0, v15, vcc_lo
	s_delay_alu instid0(VALU_DEP_1) | instskip(SKIP_2) | instid1(VALU_DEP_1)
	v_cmp_lt_i64_e32 vcc_lo, v[8:9], v[14:15]
	s_wait_loadcnt 0x0
	v_subrev_nc_u32_e32 v14, s24, v19
	v_ashrrev_i32_e32 v15, 31, v14
	s_wait_alu 0xfffd
	v_dual_cndmask_b32 v11, v13, v11 :: v_dual_cndmask_b32 v10, v12, v10
	s_delay_alu instid0(VALU_DEP_1)
	v_cmpx_ne_u64_e64 v[10:11], v[14:15]
	s_cbranch_execz .LBB77_84
; %bb.79:
	s_load_b64 s[34:35], s[10:11], 0x0
	s_wait_kmcnt 0x0
	s_sub_nc_u64 s[34:35], s[34:35], s[24:25]
	s_wait_alu 0xfffe
	v_cmp_gt_i64_e32 vcc_lo, s[34:35], v[8:9]
	s_and_b32 exec_lo, exec_lo, vcc_lo
	s_cbranch_execz .LBB77_84
; %bb.80:
	v_cmp_gt_i64_e32 vcc_lo, s[12:13], v[14:15]
	v_cmp_le_i64_e64 s0, s[18:19], v[14:15]
	v_lshlrev_b64_e32 v[8:9], 1, v[10:11]
	s_or_b32 s0, vcc_lo, s0
	s_wait_alu 0xfffe
	s_and_saveexec_b32 s29, s0
	s_wait_alu 0xfffe
	s_xor_b32 s0, exec_lo, s29
	s_cbranch_execz .LBB77_82
; %bb.81:
	v_add_co_u32 v8, vcc_lo, s14, v8
	s_wait_alu 0xfffd
	v_add_co_ci_u32_e64 v9, null, s15, v9, vcc_lo
	ds_load_b32 v11, v16 offset:1024
	global_load_u16 v10, v[8:9], off
	v_lshlrev_b64_e32 v[8:9], 2, v[14:15]
                                        ; implicit-def: $vgpr14_vgpr15
	s_delay_alu instid0(VALU_DEP_1) | instskip(SKIP_1) | instid1(VALU_DEP_2)
	v_add_co_u32 v8, vcc_lo, s20, v8
	s_wait_alu 0xfffd
	v_add_co_ci_u32_e64 v9, null, s21, v9, vcc_lo
	s_wait_loadcnt 0x0
	v_lshlrev_b32_e32 v10, 16, v10
	s_wait_dscnt 0x0
	s_delay_alu instid0(VALU_DEP_1)
	v_mul_f32_e32 v10, v11, v10
	global_atomic_add_f32 v[8:9], v10, off scope:SCOPE_DEV
                                        ; implicit-def: $vgpr8_vgpr9
.LBB77_82:
	s_wait_alu 0xfffe
	s_and_not1_saveexec_b32 s0, s0
	s_cbranch_execz .LBB77_84
; %bb.83:
	v_add_co_u32 v8, vcc_lo, s14, v8
	s_wait_alu 0xfffd
	v_add_co_ci_u32_e64 v9, null, s15, v9, vcc_lo
	v_subrev_nc_u32_e32 v10, s12, v14
	global_load_u16 v8, v[8:9], off
	ds_load_b32 v9, v16 offset:1024
	v_lshl_add_u32 v10, v10, 2, 0x1000
	s_wait_loadcnt 0x0
	v_lshlrev_b32_e32 v8, 16, v8
	s_wait_dscnt 0x0
	s_delay_alu instid0(VALU_DEP_1)
	v_mul_f32_e32 v8, v9, v8
	ds_add_f32 v10, v8
.LBB77_84:
	s_wait_alu 0xfffe
	s_or_b32 exec_lo, exec_lo, s7
	v_cmp_ne_u32_e32 vcc_lo, 1, v18
	v_add_co_u32 v4, s0, 0x200, v4
	s_wait_alu 0xf1ff
	v_add_co_ci_u32_e64 v5, null, 0, v5, s0
	v_dual_mov_b32 v8, s16 :: v_dual_mov_b32 v9, s17
	v_dual_mov_b32 v10, s30 :: v_dual_mov_b32 v11, s31
	s_cbranch_vccnz .LBB77_88
; %bb.85:
	v_dual_mov_b32 v8, s16 :: v_dual_mov_b32 v9, s17
	v_dual_mov_b32 v10, s30 :: v_dual_mov_b32 v11, s31
	s_mov_b32 s7, 0
.LBB77_86:                              ; =>This Inner Loop Header: Depth=1
	s_delay_alu instid0(VALU_DEP_1) | instskip(SKIP_1) | instid1(VALU_DEP_2)
	v_add_co_u32 v12, vcc_lo, v10, v8
	s_wait_alu 0xfffd
	v_add_co_ci_u32_e64 v13, null, v11, v9, vcc_lo
	s_delay_alu instid0(VALU_DEP_1) | instskip(NEXT) | instid1(VALU_DEP_1)
	v_lshrrev_b32_e32 v14, 31, v13
	v_add_co_u32 v12, vcc_lo, v12, v14
	s_wait_alu 0xfffd
	v_add_co_ci_u32_e64 v13, null, 0, v13, vcc_lo
	s_delay_alu instid0(VALU_DEP_1) | instskip(NEXT) | instid1(VALU_DEP_1)
	v_ashrrev_i64 v[12:13], 1, v[12:13]
	v_lshlrev_b64_e32 v[14:15], 3, v[12:13]
	s_delay_alu instid0(VALU_DEP_1) | instskip(SKIP_1) | instid1(VALU_DEP_2)
	v_add_co_u32 v14, vcc_lo, s8, v14
	s_wait_alu 0xfffd
	v_add_co_ci_u32_e64 v15, null, s9, v15, vcc_lo
	global_load_b64 v[14:15], v[14:15], off
	s_wait_loadcnt 0x0
	v_sub_co_u32 v14, vcc_lo, v14, s24
	s_wait_alu 0xfffd
	v_subrev_co_ci_u32_e64 v15, null, 0, v15, vcc_lo
	s_delay_alu instid0(VALU_DEP_1) | instskip(SKIP_3) | instid1(VALU_DEP_2)
	v_cmp_lt_i64_e32 vcc_lo, v[4:5], v[14:15]
	s_wait_alu 0xfffd
	v_dual_cndmask_b32 v11, v11, v13 :: v_dual_cndmask_b32 v10, v10, v12
	v_dual_cndmask_b32 v9, v13, v9 :: v_dual_cndmask_b32 v8, v12, v8
	v_add_co_u32 v12, vcc_lo, v10, -1
	s_wait_alu 0xfffd
	s_delay_alu instid0(VALU_DEP_3) | instskip(NEXT) | instid1(VALU_DEP_3)
	v_add_co_ci_u32_e64 v13, null, -1, v11, vcc_lo
	v_cmp_ge_i64_e32 vcc_lo, v[8:9], v[10:11]
	s_delay_alu instid0(VALU_DEP_2)
	v_cmp_eq_u64_e64 s0, v[8:9], v[12:13]
	s_or_b32 s0, vcc_lo, s0
	s_wait_alu 0xfffe
	s_and_b32 s0, exec_lo, s0
	s_wait_alu 0xfffe
	s_or_b32 s7, s0, s7
	s_wait_alu 0xfffe
	s_and_not1_b32 exec_lo, exec_lo, s7
	s_cbranch_execnz .LBB77_86
; %bb.87:
	s_or_b32 exec_lo, exec_lo, s7
.LBB77_88:
	s_delay_alu instid0(VALU_DEP_1) | instskip(SKIP_1) | instid1(VALU_DEP_1)
	v_lshlrev_b64_e32 v[12:13], 3, v[10:11]
	s_mov_b32 s7, exec_lo
	v_add_co_u32 v12, vcc_lo, s8, v12
	s_wait_alu 0xfffd
	s_delay_alu instid0(VALU_DEP_2)
	v_add_co_ci_u32_e64 v13, null, s9, v13, vcc_lo
	global_load_b64 v[12:13], v[12:13], off
	global_load_b32 v14, v[6:7], off offset:2048
	s_wait_loadcnt 0x1
	v_sub_co_u32 v12, vcc_lo, v12, s24
	s_wait_alu 0xfffd
	v_subrev_co_ci_u32_e64 v13, null, 0, v13, vcc_lo
	s_delay_alu instid0(VALU_DEP_1) | instskip(SKIP_2) | instid1(VALU_DEP_1)
	v_cmp_lt_i64_e32 vcc_lo, v[4:5], v[12:13]
	s_wait_loadcnt 0x0
	v_subrev_nc_u32_e32 v12, s24, v14
	v_ashrrev_i32_e32 v13, 31, v12
	s_wait_alu 0xfffd
	v_dual_cndmask_b32 v9, v11, v9 :: v_dual_cndmask_b32 v8, v10, v8
	s_delay_alu instid0(VALU_DEP_1)
	v_cmpx_ne_u64_e64 v[8:9], v[12:13]
	s_cbranch_execz .LBB77_94
; %bb.89:
	s_load_b64 s[34:35], s[10:11], 0x0
	s_wait_kmcnt 0x0
	s_sub_nc_u64 s[34:35], s[34:35], s[24:25]
	s_wait_alu 0xfffe
	v_cmp_gt_i64_e32 vcc_lo, s[34:35], v[4:5]
	s_and_b32 exec_lo, exec_lo, vcc_lo
	s_cbranch_execz .LBB77_94
; %bb.90:
	v_cmp_gt_i64_e32 vcc_lo, s[12:13], v[12:13]
	v_cmp_le_i64_e64 s0, s[18:19], v[12:13]
	v_lshlrev_b64_e32 v[4:5], 1, v[8:9]
	s_or_b32 s0, vcc_lo, s0
	s_wait_alu 0xfffe
	s_and_saveexec_b32 s29, s0
	s_wait_alu 0xfffe
	s_xor_b32 s0, exec_lo, s29
	s_cbranch_execz .LBB77_92
; %bb.91:
	v_add_co_u32 v4, vcc_lo, s14, v4
	s_wait_alu 0xfffd
	v_add_co_ci_u32_e64 v5, null, s15, v5, vcc_lo
	ds_load_b32 v9, v16 offset:2048
	global_load_u16 v8, v[4:5], off
	v_lshlrev_b64_e32 v[4:5], 2, v[12:13]
                                        ; implicit-def: $vgpr12_vgpr13
	s_delay_alu instid0(VALU_DEP_1) | instskip(SKIP_1) | instid1(VALU_DEP_2)
	v_add_co_u32 v4, vcc_lo, s20, v4
	s_wait_alu 0xfffd
	v_add_co_ci_u32_e64 v5, null, s21, v5, vcc_lo
	s_wait_loadcnt 0x0
	v_lshlrev_b32_e32 v8, 16, v8
	s_wait_dscnt 0x0
	s_delay_alu instid0(VALU_DEP_1)
	v_mul_f32_e32 v8, v9, v8
	global_atomic_add_f32 v[4:5], v8, off scope:SCOPE_DEV
                                        ; implicit-def: $vgpr4_vgpr5
.LBB77_92:
	s_wait_alu 0xfffe
	s_and_not1_saveexec_b32 s0, s0
	s_cbranch_execz .LBB77_94
; %bb.93:
	v_add_co_u32 v4, vcc_lo, s14, v4
	s_wait_alu 0xfffd
	v_add_co_ci_u32_e64 v5, null, s15, v5, vcc_lo
	v_subrev_nc_u32_e32 v8, s12, v12
	global_load_u16 v4, v[4:5], off
	ds_load_b32 v5, v16 offset:2048
	v_lshl_add_u32 v8, v8, 2, 0x1000
	s_wait_loadcnt 0x0
	v_lshlrev_b32_e32 v4, 16, v4
	s_wait_dscnt 0x0
	s_delay_alu instid0(VALU_DEP_1)
	v_mul_f32_e32 v4, v5, v4
	ds_add_f32 v8, v4
.LBB77_94:
	s_wait_alu 0xfffe
	s_or_b32 exec_lo, exec_lo, s7
	v_cmp_ne_u32_e32 vcc_lo, 1, v18
	v_dual_mov_b32 v4, s16 :: v_dual_mov_b32 v5, s17
	v_dual_mov_b32 v8, s30 :: v_dual_mov_b32 v9, s31
	s_cbranch_vccnz .LBB77_98
; %bb.95:
	v_dual_mov_b32 v4, s16 :: v_dual_mov_b32 v5, s17
	v_dual_mov_b32 v8, s30 :: v_dual_mov_b32 v9, s31
	s_mov_b32 s7, 0
.LBB77_96:                              ; =>This Inner Loop Header: Depth=1
	s_delay_alu instid0(VALU_DEP_1) | instskip(SKIP_1) | instid1(VALU_DEP_2)
	v_add_co_u32 v10, vcc_lo, v8, v4
	s_wait_alu 0xfffd
	v_add_co_ci_u32_e64 v11, null, v9, v5, vcc_lo
	s_delay_alu instid0(VALU_DEP_1) | instskip(NEXT) | instid1(VALU_DEP_1)
	v_lshrrev_b32_e32 v12, 31, v11
	v_add_co_u32 v10, vcc_lo, v10, v12
	s_wait_alu 0xfffd
	v_add_co_ci_u32_e64 v11, null, 0, v11, vcc_lo
	s_delay_alu instid0(VALU_DEP_1) | instskip(NEXT) | instid1(VALU_DEP_1)
	v_ashrrev_i64 v[10:11], 1, v[10:11]
	v_lshlrev_b64_e32 v[12:13], 3, v[10:11]
	s_delay_alu instid0(VALU_DEP_1) | instskip(SKIP_1) | instid1(VALU_DEP_2)
	v_add_co_u32 v12, vcc_lo, s8, v12
	s_wait_alu 0xfffd
	v_add_co_ci_u32_e64 v13, null, s9, v13, vcc_lo
	global_load_b64 v[12:13], v[12:13], off
	s_wait_loadcnt 0x0
	v_sub_co_u32 v12, vcc_lo, v12, s24
	s_wait_alu 0xfffd
	v_subrev_co_ci_u32_e64 v13, null, 0, v13, vcc_lo
	s_delay_alu instid0(VALU_DEP_1) | instskip(SKIP_3) | instid1(VALU_DEP_2)
	v_cmp_lt_i64_e32 vcc_lo, v[2:3], v[12:13]
	s_wait_alu 0xfffd
	v_dual_cndmask_b32 v9, v9, v11 :: v_dual_cndmask_b32 v8, v8, v10
	v_dual_cndmask_b32 v5, v11, v5 :: v_dual_cndmask_b32 v4, v10, v4
	v_add_co_u32 v10, vcc_lo, v8, -1
	s_wait_alu 0xfffd
	s_delay_alu instid0(VALU_DEP_3) | instskip(NEXT) | instid1(VALU_DEP_3)
	v_add_co_ci_u32_e64 v11, null, -1, v9, vcc_lo
	v_cmp_ge_i64_e32 vcc_lo, v[4:5], v[8:9]
	s_delay_alu instid0(VALU_DEP_2)
	v_cmp_eq_u64_e64 s0, v[4:5], v[10:11]
	s_or_b32 s0, vcc_lo, s0
	s_wait_alu 0xfffe
	s_and_b32 s0, exec_lo, s0
	s_wait_alu 0xfffe
	s_or_b32 s7, s0, s7
	s_wait_alu 0xfffe
	s_and_not1_b32 exec_lo, exec_lo, s7
	s_cbranch_execnz .LBB77_96
; %bb.97:
	s_or_b32 exec_lo, exec_lo, s7
.LBB77_98:
	s_delay_alu instid0(VALU_DEP_1) | instskip(SKIP_1) | instid1(VALU_DEP_1)
	v_lshlrev_b64_e32 v[10:11], 3, v[8:9]
	s_mov_b32 s7, exec_lo
	v_add_co_u32 v10, vcc_lo, s8, v10
	s_wait_alu 0xfffd
	s_delay_alu instid0(VALU_DEP_2)
	v_add_co_ci_u32_e64 v11, null, s9, v11, vcc_lo
	global_load_b64 v[10:11], v[10:11], off
	global_load_b32 v12, v[6:7], off offset:3072
	s_wait_loadcnt 0x1
	v_sub_co_u32 v6, vcc_lo, v10, s24
	s_wait_alu 0xfffd
	v_subrev_co_ci_u32_e64 v7, null, 0, v11, vcc_lo
	s_delay_alu instid0(VALU_DEP_1) | instskip(SKIP_2) | instid1(VALU_DEP_1)
	v_cmp_lt_i64_e32 vcc_lo, v[2:3], v[6:7]
	s_wait_loadcnt 0x0
	v_subrev_nc_u32_e32 v6, s24, v12
	v_ashrrev_i32_e32 v7, 31, v6
	s_wait_alu 0xfffd
	v_dual_cndmask_b32 v5, v9, v5 :: v_dual_cndmask_b32 v4, v8, v4
	s_delay_alu instid0(VALU_DEP_1)
	v_cmpx_ne_u64_e64 v[4:5], v[6:7]
	s_cbranch_execz .LBB77_104
; %bb.99:
	s_load_b64 s[10:11], s[10:11], 0x0
	s_wait_kmcnt 0x0
	s_sub_nc_u64 s[10:11], s[10:11], s[24:25]
	s_wait_alu 0xfffe
	v_cmp_gt_i64_e32 vcc_lo, s[10:11], v[2:3]
	s_and_b32 exec_lo, exec_lo, vcc_lo
	s_cbranch_execz .LBB77_104
; %bb.100:
	v_cmp_gt_i64_e32 vcc_lo, s[12:13], v[6:7]
	v_cmp_le_i64_e64 s0, s[18:19], v[6:7]
	v_lshlrev_b64_e32 v[2:3], 1, v[4:5]
	s_or_b32 s0, vcc_lo, s0
	s_wait_alu 0xfffe
	s_and_saveexec_b32 s10, s0
	s_wait_alu 0xfffe
	s_xor_b32 s0, exec_lo, s10
	s_cbranch_execz .LBB77_102
; %bb.101:
	v_add_co_u32 v2, vcc_lo, s14, v2
	s_wait_alu 0xfffd
	v_add_co_ci_u32_e64 v3, null, s15, v3, vcc_lo
	ds_load_b32 v5, v16 offset:3072
	global_load_u16 v4, v[2:3], off
	v_lshlrev_b64_e32 v[2:3], 2, v[6:7]
                                        ; implicit-def: $vgpr6_vgpr7
	s_delay_alu instid0(VALU_DEP_1) | instskip(SKIP_1) | instid1(VALU_DEP_2)
	v_add_co_u32 v2, vcc_lo, s20, v2
	s_wait_alu 0xfffd
	v_add_co_ci_u32_e64 v3, null, s21, v3, vcc_lo
	s_wait_loadcnt 0x0
	v_lshlrev_b32_e32 v4, 16, v4
	s_wait_dscnt 0x0
	s_delay_alu instid0(VALU_DEP_1)
	v_mul_f32_e32 v4, v5, v4
	global_atomic_add_f32 v[2:3], v4, off scope:SCOPE_DEV
                                        ; implicit-def: $vgpr2_vgpr3
.LBB77_102:
	s_wait_alu 0xfffe
	s_and_not1_saveexec_b32 s0, s0
	s_cbranch_execz .LBB77_104
; %bb.103:
	v_add_co_u32 v2, vcc_lo, s14, v2
	s_wait_alu 0xfffd
	v_add_co_ci_u32_e64 v3, null, s15, v3, vcc_lo
	v_subrev_nc_u32_e32 v4, s12, v6
	global_load_u16 v2, v[2:3], off
	ds_load_b32 v3, v16 offset:3072
	v_lshl_add_u32 v4, v4, 2, 0x1000
	s_wait_loadcnt 0x0
	v_lshlrev_b32_e32 v2, 16, v2
	s_wait_dscnt 0x0
	s_delay_alu instid0(VALU_DEP_1)
	v_mul_f32_e32 v2, v3, v2
	ds_add_f32 v4, v2
.LBB77_104:
	s_wait_alu 0xfffe
	s_or_b32 exec_lo, exec_lo, s7
.LBB77_105:
	s_wait_alu 0xfffe
	s_or_b32 exec_lo, exec_lo, s1
	v_cmp_lt_i64_e64 s0, s[18:19], s[2:3]
	s_mov_b32 s1, exec_lo
	s_wait_storecnt 0x0
	s_wait_loadcnt_dscnt 0x0
	s_barrier_signal -1
	s_barrier_wait -1
	global_inv scope:SCOPE_SE
	s_and_b32 s0, s0, exec_lo
	s_cselect_b32 s13, s19, s3
	s_cselect_b32 s12, s18, s2
	s_wait_alu 0xfffe
	s_sub_nc_u64 s[10:11], s[12:13], s[22:23]
	s_wait_alu 0xfffe
	v_cmpx_gt_i64_e64 s[10:11], v[0:1]
	s_cbranch_execz .LBB77_108
; %bb.106:
	v_cmp_gt_i64_e64 s0, s[18:19], s[2:3]
	v_dual_mov_b32 v5, v1 :: v_dual_lshlrev_b32 v2, 2, v0
	v_mov_b32_e32 v4, v0
	s_and_b32 s0, s0, exec_lo
	s_cselect_b32 s15, s19, s3
	s_cselect_b32 s14, s18, s2
	s_lshl_b64 s[2:3], s[2:3], 2
	s_wait_alu 0xfffe
	s_lshl_b64 s[14:15], s[14:15], 2
	s_wait_alu 0xfffe
	v_add_co_u32 v2, s0, s14, v2
	s_wait_alu 0xf1ff
	v_add_co_ci_u32_e64 v3, null, s15, 0, s0
	s_delay_alu instid0(VALU_DEP_2) | instskip(SKIP_1) | instid1(VALU_DEP_2)
	v_sub_co_u32 v2, vcc_lo, v2, s2
	s_wait_alu 0xfffd
	v_subrev_co_ci_u32_e64 v3, null, s3, v3, vcc_lo
	s_mov_b32 s2, 0
	v_add_co_u32 v2, vcc_lo, s20, v2
	s_wait_alu 0xfffd
	v_add_co_ci_u32_e64 v3, null, s21, v3, vcc_lo
.LBB77_107:                             ; =>This Inner Loop Header: Depth=1
	ds_load_b32 v6, v17
	v_add_co_u32 v4, vcc_lo, 0x100, v4
	s_wait_alu 0xfffd
	v_add_co_ci_u32_e64 v5, null, 0, v5, vcc_lo
	v_add_nc_u32_e32 v17, 0x400, v17
	s_delay_alu instid0(VALU_DEP_2)
	v_cmp_le_i64_e32 vcc_lo, s[10:11], v[4:5]
	s_wait_alu 0xfffe
	s_or_b32 s2, vcc_lo, s2
	s_wait_dscnt 0x0
	global_atomic_add_f32 v[2:3], v6, off scope:SCOPE_DEV
	v_add_co_u32 v2, s0, 0x400, v2
	s_wait_alu 0xf1ff
	v_add_co_ci_u32_e64 v3, null, 0, v3, s0
	s_wait_alu 0xfffe
	s_and_not1_b32 exec_lo, exec_lo, s2
	s_cbranch_execnz .LBB77_107
.LBB77_108:
	s_or_b32 exec_lo, exec_lo, s1
	s_add_co_i32 s0, s28, -1
	v_add_co_u32 v6, s2, s16, v0
	s_wait_alu 0xfffe
	s_ashr_i32 s1, s0, 1
	v_add_co_ci_u32_e64 v7, null, s17, 0, s2
	s_wait_alu 0xfffe
	s_or_b32 s0, s1, s0
	s_wait_loadcnt 0x0
	s_wait_storecnt 0x0
	s_wait_alu 0xfffe
	s_ashr_i32 s1, s0, 2
	s_barrier_signal -1
	s_wait_alu 0xfffe
	s_or_b32 s0, s1, s0
	s_barrier_wait -1
	s_wait_alu 0xfffe
	s_ashr_i32 s1, s0, 4
	global_inv scope:SCOPE_SE
	s_wait_alu 0xfffe
	s_or_b32 s0, s1, s0
	s_wait_alu 0xfffe
	s_ashr_i32 s1, s0, 8
	s_wait_alu 0xfffe
	s_or_b32 s0, s1, s0
	s_wait_alu 0xfffe
	s_ashr_i32 s1, s0, 16
	s_wait_alu 0xfffe
	s_or_b32 s1, s1, s0
	s_mov_b32 s0, -1
	s_wait_alu 0xfffe
	s_add_co_i32 s1, s1, 1
	s_wait_alu 0xfffe
	s_ashr_i32 s2, s1, 1
	s_wait_alu 0xfffe
	s_cmp_gt_i32 s2, 1
	s_cbranch_scc1 .LBB77_117
; %bb.109:
	s_mov_b32 s0, exec_lo
	v_cmpx_gt_i64_e64 s[18:19], v[6:7]
	s_cbranch_execz .LBB77_116
; %bb.110:
	s_sub_co_i32 s1, s12, s18
	v_dual_mov_b32 v9, v7 :: v_dual_mov_b32 v8, v6
	s_lshl_b32 s7, s4, 2
	s_wait_alu 0xfffe
	s_lshl_b32 s1, s1, 2
	s_mov_b32 s3, 0
	s_wait_alu 0xfffe
	s_addk_co_i32 s1, 0x1000
	s_sub_co_i32 s7, 0, s7
	s_branch .LBB77_112
.LBB77_111:                             ;   in Loop: Header=BB77_112 Depth=1
	s_wait_alu 0xfffe
	s_or_b32 exec_lo, exec_lo, s11
	v_lshl_add_u32 v2, v8, 2, s1
	ds_load_b32 v4, v2
	v_lshlrev_b64_e32 v[2:3], 2, v[8:9]
	s_delay_alu instid0(VALU_DEP_1) | instskip(SKIP_1) | instid1(VALU_DEP_2)
	v_add_co_u32 v2, vcc_lo, s20, v2
	s_wait_alu 0xfffd
	v_add_co_ci_u32_e64 v3, null, s21, v3, vcc_lo
	v_add_co_u32 v8, vcc_lo, v8, s6
	s_wait_alu 0xfffd
	v_add_co_ci_u32_e64 v9, null, 0, v9, vcc_lo
	s_delay_alu instid0(VALU_DEP_1)
	v_cmp_le_i64_e32 vcc_lo, s[18:19], v[8:9]
	s_wait_dscnt 0x0
	v_add_f32_e32 v4, v12, v4
	s_or_b32 s3, vcc_lo, s3
	global_atomic_add_f32 v[2:3], v4, off scope:SCOPE_DEV
	s_wait_alu 0xfffe
	s_and_not1_b32 exec_lo, exec_lo, s3
	s_cbranch_execz .LBB77_116
.LBB77_112:                             ; =>This Loop Header: Depth=1
                                        ;     Child Loop BB77_114 Depth 2
	v_lshlrev_b64_e32 v[2:3], 3, v[8:9]
	v_mov_b32_e32 v12, 0
	s_mov_b32 s11, exec_lo
	s_delay_alu instid0(VALU_DEP_2) | instskip(SKIP_1) | instid1(VALU_DEP_3)
	v_add_co_u32 v2, vcc_lo, s8, v2
	s_wait_alu 0xfffd
	v_add_co_ci_u32_e64 v3, null, s9, v3, vcc_lo
	global_load_b128 v[2:5], v[2:3], off
	s_wait_loadcnt 0x0
	v_cmpx_lt_i64_e64 v[2:3], v[4:5]
	s_cbranch_execz .LBB77_111
; %bb.113:                              ;   in Loop: Header=BB77_112 Depth=1
	v_sub_co_u32 v4, vcc_lo, v4, s4
	s_wait_alu 0xfffd
	v_subrev_co_ci_u32_e64 v5, null, s5, v5, vcc_lo
	v_sub_co_u32 v10, vcc_lo, v2, s4
	s_wait_alu 0xfffd
	v_subrev_co_ci_u32_e64 v11, null, s5, v3, vcc_lo
	s_wait_alu 0xfffe
	v_lshl_add_u32 v2, v2, 2, s7
	v_mov_b32_e32 v12, 0
	s_mov_b32 s12, 0
.LBB77_114:                             ;   Parent Loop BB77_112 Depth=1
                                        ; =>  This Inner Loop Header: Depth=2
	ds_load_b32 v3, v2
	v_add_co_u32 v10, vcc_lo, v10, 1
	s_wait_alu 0xfffd
	v_add_co_ci_u32_e64 v11, null, 0, v11, vcc_lo
	v_add_nc_u32_e32 v2, 4, v2
	s_delay_alu instid0(VALU_DEP_2)
	v_cmp_ge_i64_e32 vcc_lo, v[10:11], v[4:5]
	s_wait_alu 0xfffe
	s_or_b32 s12, vcc_lo, s12
	s_wait_dscnt 0x0
	v_add_f32_e32 v12, v12, v3
	s_wait_alu 0xfffe
	s_and_not1_b32 exec_lo, exec_lo, s12
	s_cbranch_execnz .LBB77_114
; %bb.115:                              ;   in Loop: Header=BB77_112 Depth=1
	s_or_b32 exec_lo, exec_lo, s12
	s_branch .LBB77_111
.LBB77_116:
	s_wait_alu 0xfffe
	s_or_b32 exec_lo, exec_lo, s0
	s_mov_b32 s0, 0
.LBB77_117:
	s_wait_alu 0xfffe
	s_and_not1_b32 vcc_lo, exec_lo, s0
	s_wait_alu 0xfffe
	s_cbranch_vccnz .LBB77_134
; %bb.118:
	s_cvt_f32_u32 s0, s2
	s_sub_co_i32 s1, 0, s2
	s_wait_alu 0xfffe
	s_delay_alu instid0(SALU_CYCLE_1) | instskip(NEXT) | instid1(TRANS32_DEP_1)
	v_rcp_iflag_f32_e32 v2, s0
	v_readfirstlane_b32 s0, v2
	s_mul_f32 s0, s0, 0x4f7ffffe
	s_wait_alu 0xfffe
	s_delay_alu instid0(SALU_CYCLE_2) | instskip(SKIP_1) | instid1(SALU_CYCLE_2)
	s_cvt_u32_f32 s0, s0
	s_wait_alu 0xfffe
	s_mul_i32 s3, s1, s0
	s_wait_alu 0xfffe
	s_mul_hi_u32 s3, s0, s3
	s_wait_alu 0xfffe
	s_add_co_i32 s0, s0, s3
	s_mov_b32 s3, 0
	s_wait_alu 0xfffe
	v_mul_hi_u32 v2, v0, s0
	s_mov_b32 s0, exec_lo
	s_delay_alu instid0(VALU_DEP_1) | instskip(NEXT) | instid1(VALU_DEP_1)
	v_mul_lo_u32 v3, v2, s2
	v_sub_nc_u32_e32 v3, v0, v3
	s_delay_alu instid0(VALU_DEP_1) | instskip(SKIP_2) | instid1(VALU_DEP_2)
	v_subrev_nc_u32_e32 v5, s2, v3
	v_cmp_le_u32_e32 vcc_lo, s2, v3
	s_wait_alu 0xfffd
	v_dual_cndmask_b32 v3, v3, v5 :: v_dual_add_nc_u32 v4, 1, v2
	s_delay_alu instid0(VALU_DEP_1) | instskip(NEXT) | instid1(VALU_DEP_2)
	v_dual_cndmask_b32 v2, v2, v4 :: v_dual_mov_b32 v5, 0
	v_cmp_le_u32_e32 vcc_lo, s2, v3
	s_delay_alu instid0(VALU_DEP_2) | instskip(SKIP_1) | instid1(VALU_DEP_1)
	v_add_nc_u32_e32 v4, 1, v2
	s_wait_alu 0xfffd
	v_cndmask_b32_e32 v4, v2, v4, vcc_lo
	s_delay_alu instid0(VALU_DEP_1) | instskip(NEXT) | instid1(VALU_DEP_1)
	v_lshlrev_b64_e32 v[2:3], 3, v[4:5]
	v_add_co_u32 v2, vcc_lo, s26, v2
	s_wait_alu 0xfffd
	s_delay_alu instid0(VALU_DEP_2)
	v_add_co_ci_u32_e64 v3, null, s27, v3, vcc_lo
	global_load_b128 v[8:11], v[2:3], off
	s_wait_loadcnt 0x0
	v_sub_co_u32 v2, vcc_lo, v8, s4
	s_wait_alu 0xfffd
	v_subrev_co_ci_u32_e64 v3, null, s5, v9, vcc_lo
	v_sub_co_u32 v12, vcc_lo, v10, s4
	s_wait_alu 0xfffd
	v_subrev_co_ci_u32_e64 v13, null, s5, v11, vcc_lo
	v_mov_b32_e32 v8, v5
	s_delay_alu instid0(VALU_DEP_3) | instskip(SKIP_1) | instid1(VALU_DEP_3)
	v_sub_co_u32 v14, vcc_lo, v12, v2
	s_wait_alu 0xfffd
	v_sub_co_ci_u32_e64 v9, null, v13, v3, vcc_lo
                                        ; implicit-def: $vgpr10_vgpr11
	s_delay_alu instid0(VALU_DEP_1)
	v_cmpx_ne_u64_e32 0, v[8:9]
	s_wait_alu 0xfffe
	s_xor_b32 s6, exec_lo, s0
	s_cbranch_execz .LBB77_120
; %bb.119:
	s_add_nc_u64 s[4:5], s[2:3], 0
	s_mov_b32 s15, s3
	s_wait_alu 0xfffe
	s_xor_b64 s[4:5], s[4:5], 0
	s_mov_b32 s19, s3
	s_wait_alu 0xfffe
	s_cvt_f32_u32 s0, s4
	s_cvt_f32_u32 s7, s5
	s_sub_nc_u64 s[12:13], 0, s[4:5]
	v_ashrrev_i32_e32 v17, 31, v9
	s_wait_alu 0xfffe
	s_fmamk_f32 s0, s7, 0x4f800000, s0
	s_delay_alu instid0(VALU_DEP_1) | instskip(SKIP_1) | instid1(SALU_CYCLE_1)
	v_add_co_u32 v8, vcc_lo, v14, v17
	s_wait_alu 0xfffe
	v_s_rcp_f32 s0, s0
	s_wait_alu 0xfffd
	v_add_co_ci_u32_e64 v9, null, v9, v17, vcc_lo
	v_xor_b32_e32 v18, v8, v17
	s_delay_alu instid0(VALU_DEP_2) | instskip(NEXT) | instid1(TRANS32_DEP_1)
	v_xor_b32_e32 v19, v9, v17
	s_mul_f32 s0, s0, 0x5f7ffffc
	s_wait_alu 0xfffe
	s_delay_alu instid0(SALU_CYCLE_2) | instskip(SKIP_1) | instid1(SALU_CYCLE_2)
	s_mul_f32 s7, s0, 0x2f800000
	s_wait_alu 0xfffe
	s_trunc_f32 s7, s7
	s_wait_alu 0xfffe
	s_delay_alu instid0(SALU_CYCLE_2) | instskip(SKIP_2) | instid1(SALU_CYCLE_1)
	s_fmamk_f32 s0, s7, 0xcf800000, s0
	s_cvt_u32_f32 s9, s7
	s_wait_alu 0xfffe
	s_cvt_u32_f32 s8, s0
	s_wait_alu 0xfffe
	s_delay_alu instid0(SALU_CYCLE_2)
	s_mul_u64 s[16:17], s[12:13], s[8:9]
	s_wait_alu 0xfffe
	s_mul_hi_u32 s25, s8, s17
	s_mul_i32 s24, s8, s17
	s_mul_hi_u32 s14, s8, s16
	s_mul_i32 s7, s9, s16
	s_wait_alu 0xfffe
	s_add_nc_u64 s[14:15], s[14:15], s[24:25]
	s_mul_hi_u32 s0, s9, s16
	s_mul_hi_u32 s11, s9, s17
	s_wait_alu 0xfffe
	s_add_co_u32 s7, s14, s7
	s_add_co_ci_u32 s18, s15, s0
	s_mul_i32 s16, s9, s17
	s_add_co_ci_u32 s17, s11, 0
	s_wait_alu 0xfffe
	s_add_nc_u64 s[14:15], s[18:19], s[16:17]
	s_mov_b32 s17, s3
	s_wait_alu 0xfffe
	s_add_co_u32 s8, s8, s14
	s_cselect_b32 s0, -1, 0
	s_wait_alu 0xfffe
	s_cmp_lg_u32 s0, 0
	s_add_co_ci_u32 s9, s9, s15
	s_mov_b32 s15, s3
	s_wait_alu 0xfffe
	s_mul_u64 s[12:13], s[12:13], s[8:9]
	s_wait_alu 0xfffe
	s_mul_hi_u32 s19, s8, s13
	s_mul_i32 s18, s8, s13
	s_mul_hi_u32 s16, s8, s12
	s_mul_i32 s3, s9, s12
	s_wait_alu 0xfffe
	s_add_nc_u64 s[16:17], s[16:17], s[18:19]
	s_mul_hi_u32 s0, s9, s12
	s_mul_hi_u32 s7, s9, s13
	s_wait_alu 0xfffe
	s_add_co_u32 s3, s16, s3
	s_add_co_ci_u32 s14, s17, s0
	s_mul_i32 s12, s9, s13
	s_add_co_ci_u32 s13, s7, 0
	s_wait_alu 0xfffe
	s_add_nc_u64 s[12:13], s[14:15], s[12:13]
	s_wait_alu 0xfffe
	s_add_co_u32 s0, s8, s12
	s_cselect_b32 s3, -1, 0
	s_wait_alu 0xfffe
	v_mul_hi_u32 v20, v18, s0
	s_cmp_lg_u32 s3, 0
	v_mad_co_u64_u32 v[10:11], null, v19, s0, 0
	s_add_co_ci_u32 s3, s9, s13
	s_wait_alu 0xfffe
	v_mad_co_u64_u32 v[8:9], null, v18, s3, 0
	v_mad_co_u64_u32 v[14:15], null, v19, s3, 0
	s_delay_alu instid0(VALU_DEP_2) | instskip(SKIP_1) | instid1(VALU_DEP_3)
	v_add_co_u32 v8, vcc_lo, v20, v8
	s_wait_alu 0xfffd
	v_add_co_ci_u32_e64 v9, null, 0, v9, vcc_lo
	s_delay_alu instid0(VALU_DEP_2) | instskip(SKIP_1) | instid1(VALU_DEP_2)
	v_add_co_u32 v8, vcc_lo, v8, v10
	s_wait_alu 0xfffd
	v_add_co_ci_u32_e32 v8, vcc_lo, v9, v11, vcc_lo
	s_wait_alu 0xfffd
	v_add_co_ci_u32_e32 v9, vcc_lo, 0, v15, vcc_lo
	s_delay_alu instid0(VALU_DEP_2) | instskip(SKIP_1) | instid1(VALU_DEP_2)
	v_add_co_u32 v10, vcc_lo, v8, v14
	s_wait_alu 0xfffd
	v_add_co_ci_u32_e64 v11, null, 0, v9, vcc_lo
	s_delay_alu instid0(VALU_DEP_2) | instskip(SKIP_1) | instid1(VALU_DEP_3)
	v_mul_lo_u32 v14, s5, v10
	v_mad_co_u64_u32 v[8:9], null, s4, v10, 0
	v_mul_lo_u32 v15, s4, v11
	s_delay_alu instid0(VALU_DEP_2) | instskip(NEXT) | instid1(VALU_DEP_2)
	v_sub_co_u32 v8, vcc_lo, v18, v8
	v_add3_u32 v9, v9, v15, v14
	v_add_co_u32 v15, s0, v10, 2
	s_wait_alu 0xf1ff
	v_add_co_ci_u32_e64 v18, null, 0, v11, s0
	s_delay_alu instid0(VALU_DEP_3) | instskip(SKIP_3) | instid1(VALU_DEP_3)
	v_sub_nc_u32_e32 v14, v19, v9
	v_sub_co_u32 v20, s0, v8, s4
	s_wait_alu 0xfffd
	v_sub_co_ci_u32_e64 v9, null, v19, v9, vcc_lo
	v_subrev_co_ci_u32_e64 v14, null, s5, v14, vcc_lo
	s_delay_alu instid0(VALU_DEP_3) | instskip(SKIP_1) | instid1(VALU_DEP_2)
	v_cmp_le_u32_e32 vcc_lo, s4, v20
	s_wait_alu 0xf1ff
	v_subrev_co_ci_u32_e64 v14, null, 0, v14, s0
	s_wait_alu 0xfffd
	v_cndmask_b32_e64 v19, 0, -1, vcc_lo
	v_cmp_eq_u32_e64 s0, s5, v9
	s_delay_alu instid0(VALU_DEP_3)
	v_cmp_le_u32_e32 vcc_lo, s5, v14
	s_wait_alu 0xfffd
	v_cndmask_b32_e64 v20, 0, -1, vcc_lo
	v_cmp_le_u32_e32 vcc_lo, s4, v8
	s_wait_alu 0xfffd
	v_cndmask_b32_e64 v8, 0, -1, vcc_lo
	;; [unrolled: 3-line block ×3, first 2 shown]
	v_cmp_eq_u32_e32 vcc_lo, s5, v14
	s_wait_alu 0xf1ff
	s_delay_alu instid0(VALU_DEP_2)
	v_cndmask_b32_e64 v8, v21, v8, s0
	s_wait_alu 0xfffd
	v_cndmask_b32_e32 v14, v20, v19, vcc_lo
	v_add_co_u32 v19, vcc_lo, v10, 1
	s_wait_alu 0xfffd
	v_add_co_ci_u32_e64 v20, null, 0, v11, vcc_lo
	s_delay_alu instid0(VALU_DEP_3) | instskip(SKIP_1) | instid1(VALU_DEP_2)
	v_cmp_ne_u32_e32 vcc_lo, 0, v14
	s_wait_alu 0xfffd
	v_dual_cndmask_b32 v9, v20, v18 :: v_dual_cndmask_b32 v14, v19, v15
	v_cmp_ne_u32_e32 vcc_lo, 0, v8
	s_wait_alu 0xfffd
	s_delay_alu instid0(VALU_DEP_2) | instskip(NEXT) | instid1(VALU_DEP_1)
	v_dual_cndmask_b32 v8, v11, v9 :: v_dual_cndmask_b32 v9, v10, v14
                                        ; implicit-def: $vgpr14
	v_xor_b32_e32 v8, v8, v17
	s_delay_alu instid0(VALU_DEP_2) | instskip(NEXT) | instid1(VALU_DEP_1)
	v_xor_b32_e32 v9, v9, v17
	v_sub_co_u32 v10, vcc_lo, v9, v17
	s_wait_alu 0xfffd
	s_delay_alu instid0(VALU_DEP_3)
	v_sub_co_ci_u32_e64 v11, null, v8, v17, vcc_lo
.LBB77_120:
	s_wait_alu 0xfffe
	s_and_not1_saveexec_b32 s0, s6
	s_cbranch_execz .LBB77_122
; %bb.121:
	v_cvt_f32_u32_e32 v8, s2
	s_delay_alu instid0(VALU_DEP_1) | instskip(NEXT) | instid1(TRANS32_DEP_1)
	v_rcp_iflag_f32_e32 v8, v8
	v_mul_f32_e32 v8, 0x4f7ffffe, v8
	s_delay_alu instid0(VALU_DEP_1) | instskip(NEXT) | instid1(VALU_DEP_1)
	v_cvt_u32_f32_e32 v8, v8
	v_mul_lo_u32 v9, s1, v8
	s_delay_alu instid0(VALU_DEP_1) | instskip(NEXT) | instid1(VALU_DEP_1)
	v_mul_hi_u32 v9, v8, v9
	v_add_nc_u32_e32 v8, v8, v9
	s_delay_alu instid0(VALU_DEP_1) | instskip(NEXT) | instid1(VALU_DEP_1)
	v_mul_hi_u32 v8, v14, v8
	v_mul_lo_u32 v9, v8, s2
	v_add_nc_u32_e32 v10, 1, v8
	s_delay_alu instid0(VALU_DEP_2) | instskip(NEXT) | instid1(VALU_DEP_1)
	v_sub_nc_u32_e32 v9, v14, v9
	v_subrev_nc_u32_e32 v11, s2, v9
	v_cmp_le_u32_e32 vcc_lo, s2, v9
	s_wait_alu 0xfffd
	s_delay_alu instid0(VALU_DEP_2) | instskip(SKIP_1) | instid1(VALU_DEP_2)
	v_dual_cndmask_b32 v9, v9, v11 :: v_dual_cndmask_b32 v8, v8, v10
	v_mov_b32_e32 v11, 0
	v_cmp_le_u32_e32 vcc_lo, s2, v9
	s_delay_alu instid0(VALU_DEP_3) | instskip(SKIP_1) | instid1(VALU_DEP_1)
	v_add_nc_u32_e32 v10, 1, v8
	s_wait_alu 0xfffd
	v_cndmask_b32_e32 v10, v8, v10, vcc_lo
.LBB77_122:
	s_wait_alu 0xfffe
	s_or_b32 exec_lo, exec_lo, s0
	v_mov_b32_e32 v14, 0
	s_mov_b32 s0, exec_lo
	v_cmpx_gt_i64_e64 s[22:23], v[4:5]
	s_cbranch_execz .LBB77_130
; %bb.123:
	s_add_co_i32 s1, s2, -1
	s_wait_alu 0xfffe
	v_and_b32_e32 v4, s1, v0
	v_mov_b32_e32 v14, 0
	s_mov_b32 s1, exec_lo
	s_delay_alu instid0(VALU_DEP_2)
	v_lshlrev_b32_e32 v15, 2, v4
	v_cmpx_lt_i64_e32 0, v[10:11]
	s_cbranch_execz .LBB77_127
; %bb.124:
	v_mov_b32_e32 v8, v10
	s_delay_alu instid0(VALU_DEP_3)
	v_lshl_add_u32 v5, v2, 2, v15
	v_dual_mov_b32 v14, 0 :: v_dual_mov_b32 v9, v11
	s_lshl_b32 s4, s2, 2
	s_mov_b32 s3, 0
.LBB77_125:                             ; =>This Inner Loop Header: Depth=1
	ds_load_b32 v17, v5
	v_add_co_u32 v8, vcc_lo, v8, -1
	s_wait_alu 0xfffd
	v_add_co_ci_u32_e64 v9, null, -1, v9, vcc_lo
	s_wait_alu 0xfffe
	v_add_nc_u32_e32 v5, s4, v5
	s_delay_alu instid0(VALU_DEP_2)
	v_cmp_eq_u64_e32 vcc_lo, 0, v[8:9]
	s_or_b32 s3, vcc_lo, s3
	s_wait_dscnt 0x0
	v_add_f32_e32 v14, v14, v17
	s_wait_alu 0xfffe
	s_and_not1_b32 exec_lo, exec_lo, s3
	s_cbranch_execnz .LBB77_125
; %bb.126:
	s_or_b32 exec_lo, exec_lo, s3
.LBB77_127:
	s_wait_alu 0xfffe
	s_or_b32 exec_lo, exec_lo, s1
	v_mad_co_u64_u32 v[2:3], null, v10, s2, v[2:3]
	v_mov_b32_e32 v5, 0
	s_mov_b32 s1, exec_lo
	s_delay_alu instid0(VALU_DEP_2) | instskip(NEXT) | instid1(VALU_DEP_3)
	v_mad_co_u64_u32 v[8:9], null, v11, s2, v[3:4]
	v_sub_co_u32 v9, vcc_lo, v12, v2
	s_wait_alu 0xfffd
	s_delay_alu instid0(VALU_DEP_2) | instskip(NEXT) | instid1(VALU_DEP_1)
	v_sub_co_ci_u32_e64 v10, null, v13, v8, vcc_lo
	v_cmpx_gt_i64_e64 v[9:10], v[4:5]
	s_cbranch_execz .LBB77_129
; %bb.128:
	v_lshl_add_u32 v2, v2, 2, v15
	ds_load_b32 v2, v2
	s_wait_dscnt 0x0
	v_add_f32_e32 v14, v14, v2
.LBB77_129:
	s_wait_alu 0xfffe
	s_or_b32 exec_lo, exec_lo, s1
.LBB77_130:
	s_wait_alu 0xfffe
	s_or_b32 exec_lo, exec_lo, s0
	s_wait_storecnt 0x0
	s_barrier_signal -1
	s_barrier_wait -1
	global_inv scope:SCOPE_SE
	ds_store_b32 v16, v14
	s_wait_loadcnt_dscnt 0x0
	s_barrier_signal -1
	s_barrier_wait -1
	global_inv scope:SCOPE_SE
	s_mov_b32 s0, exec_lo
	v_cmpx_gt_i64_e64 s[22:23], v[0:1]
	s_cbranch_execz .LBB77_134
; %bb.131:
	v_mul_lo_u32 v1, s2, v0
	s_delay_alu instid0(VALU_DEP_1)
	v_dual_mov_b32 v1, 0 :: v_dual_lshlrev_b32 v2, 2, v1
.LBB77_132:                             ; =>This Inner Loop Header: Depth=1
	ds_load_b32 v3, v2
	v_add_nc_u32_e32 v2, 4, v2
	s_add_co_i32 s2, s2, -1
	s_wait_alu 0xfffe
	s_cmp_eq_u32 s2, 0
	s_wait_dscnt 0x0
	v_add_f32_e32 v1, v1, v3
	s_cbranch_scc0 .LBB77_132
; %bb.133:
	v_lshlrev_b32_e32 v0, 2, v0
	s_lshl_b32 s0, s10, 2
	v_lshlrev_b64_e32 v[2:3], 2, v[6:7]
	s_wait_alu 0xfffe
	s_delay_alu instid0(VALU_DEP_2)
	v_add3_u32 v0, 0x1000, s0, v0
	ds_load_b32 v0, v0
	s_wait_dscnt 0x0
	v_add_f32_e32 v4, v1, v0
	v_add_co_u32 v0, vcc_lo, s20, v2
	s_wait_alu 0xfffd
	v_add_co_ci_u32_e64 v1, null, s21, v3, vcc_lo
	global_atomic_add_f32 v[0:1], v4, off scope:SCOPE_DEV
.LBB77_134:
	s_endpgm
	.section	.rodata,"a",@progbits
	.p2align	6, 0x0
	.amdhsa_kernel _ZN9rocsparseL27csrmvn_symm_adaptive_kernelIli18rocsparse_bfloat16S1_ffEEvbT_S2_PKS2_NS_24const_host_device_scalarIT4_EES4_PKT0_PKT1_PKT2_S7_PT3_21rocsparse_index_base_b
		.amdhsa_group_segment_fixed_size 4096
		.amdhsa_private_segment_fixed_size 0
		.amdhsa_kernarg_size 352
		.amdhsa_user_sgpr_count 2
		.amdhsa_user_sgpr_dispatch_ptr 0
		.amdhsa_user_sgpr_queue_ptr 0
		.amdhsa_user_sgpr_kernarg_segment_ptr 1
		.amdhsa_user_sgpr_dispatch_id 0
		.amdhsa_user_sgpr_private_segment_size 0
		.amdhsa_wavefront_size32 1
		.amdhsa_uses_dynamic_stack 0
		.amdhsa_enable_private_segment 0
		.amdhsa_system_sgpr_workgroup_id_x 1
		.amdhsa_system_sgpr_workgroup_id_y 0
		.amdhsa_system_sgpr_workgroup_id_z 0
		.amdhsa_system_sgpr_workgroup_info 0
		.amdhsa_system_vgpr_workitem_id 0
		.amdhsa_next_free_vgpr 22
		.amdhsa_next_free_sgpr 42
		.amdhsa_reserve_vcc 1
		.amdhsa_float_round_mode_32 0
		.amdhsa_float_round_mode_16_64 0
		.amdhsa_float_denorm_mode_32 3
		.amdhsa_float_denorm_mode_16_64 3
		.amdhsa_fp16_overflow 0
		.amdhsa_workgroup_processor_mode 1
		.amdhsa_memory_ordered 1
		.amdhsa_forward_progress 1
		.amdhsa_inst_pref_size 73
		.amdhsa_round_robin_scheduling 0
		.amdhsa_exception_fp_ieee_invalid_op 0
		.amdhsa_exception_fp_denorm_src 0
		.amdhsa_exception_fp_ieee_div_zero 0
		.amdhsa_exception_fp_ieee_overflow 0
		.amdhsa_exception_fp_ieee_underflow 0
		.amdhsa_exception_fp_ieee_inexact 0
		.amdhsa_exception_int_div_zero 0
	.end_amdhsa_kernel
	.section	.text._ZN9rocsparseL27csrmvn_symm_adaptive_kernelIli18rocsparse_bfloat16S1_ffEEvbT_S2_PKS2_NS_24const_host_device_scalarIT4_EES4_PKT0_PKT1_PKT2_S7_PT3_21rocsparse_index_base_b,"axG",@progbits,_ZN9rocsparseL27csrmvn_symm_adaptive_kernelIli18rocsparse_bfloat16S1_ffEEvbT_S2_PKS2_NS_24const_host_device_scalarIT4_EES4_PKT0_PKT1_PKT2_S7_PT3_21rocsparse_index_base_b,comdat
.Lfunc_end77:
	.size	_ZN9rocsparseL27csrmvn_symm_adaptive_kernelIli18rocsparse_bfloat16S1_ffEEvbT_S2_PKS2_NS_24const_host_device_scalarIT4_EES4_PKT0_PKT1_PKT2_S7_PT3_21rocsparse_index_base_b, .Lfunc_end77-_ZN9rocsparseL27csrmvn_symm_adaptive_kernelIli18rocsparse_bfloat16S1_ffEEvbT_S2_PKS2_NS_24const_host_device_scalarIT4_EES4_PKT0_PKT1_PKT2_S7_PT3_21rocsparse_index_base_b
                                        ; -- End function
	.set _ZN9rocsparseL27csrmvn_symm_adaptive_kernelIli18rocsparse_bfloat16S1_ffEEvbT_S2_PKS2_NS_24const_host_device_scalarIT4_EES4_PKT0_PKT1_PKT2_S7_PT3_21rocsparse_index_base_b.num_vgpr, 22
	.set _ZN9rocsparseL27csrmvn_symm_adaptive_kernelIli18rocsparse_bfloat16S1_ffEEvbT_S2_PKS2_NS_24const_host_device_scalarIT4_EES4_PKT0_PKT1_PKT2_S7_PT3_21rocsparse_index_base_b.num_agpr, 0
	.set _ZN9rocsparseL27csrmvn_symm_adaptive_kernelIli18rocsparse_bfloat16S1_ffEEvbT_S2_PKS2_NS_24const_host_device_scalarIT4_EES4_PKT0_PKT1_PKT2_S7_PT3_21rocsparse_index_base_b.numbered_sgpr, 42
	.set _ZN9rocsparseL27csrmvn_symm_adaptive_kernelIli18rocsparse_bfloat16S1_ffEEvbT_S2_PKS2_NS_24const_host_device_scalarIT4_EES4_PKT0_PKT1_PKT2_S7_PT3_21rocsparse_index_base_b.num_named_barrier, 0
	.set _ZN9rocsparseL27csrmvn_symm_adaptive_kernelIli18rocsparse_bfloat16S1_ffEEvbT_S2_PKS2_NS_24const_host_device_scalarIT4_EES4_PKT0_PKT1_PKT2_S7_PT3_21rocsparse_index_base_b.private_seg_size, 0
	.set _ZN9rocsparseL27csrmvn_symm_adaptive_kernelIli18rocsparse_bfloat16S1_ffEEvbT_S2_PKS2_NS_24const_host_device_scalarIT4_EES4_PKT0_PKT1_PKT2_S7_PT3_21rocsparse_index_base_b.uses_vcc, 1
	.set _ZN9rocsparseL27csrmvn_symm_adaptive_kernelIli18rocsparse_bfloat16S1_ffEEvbT_S2_PKS2_NS_24const_host_device_scalarIT4_EES4_PKT0_PKT1_PKT2_S7_PT3_21rocsparse_index_base_b.uses_flat_scratch, 0
	.set _ZN9rocsparseL27csrmvn_symm_adaptive_kernelIli18rocsparse_bfloat16S1_ffEEvbT_S2_PKS2_NS_24const_host_device_scalarIT4_EES4_PKT0_PKT1_PKT2_S7_PT3_21rocsparse_index_base_b.has_dyn_sized_stack, 0
	.set _ZN9rocsparseL27csrmvn_symm_adaptive_kernelIli18rocsparse_bfloat16S1_ffEEvbT_S2_PKS2_NS_24const_host_device_scalarIT4_EES4_PKT0_PKT1_PKT2_S7_PT3_21rocsparse_index_base_b.has_recursion, 0
	.set _ZN9rocsparseL27csrmvn_symm_adaptive_kernelIli18rocsparse_bfloat16S1_ffEEvbT_S2_PKS2_NS_24const_host_device_scalarIT4_EES4_PKT0_PKT1_PKT2_S7_PT3_21rocsparse_index_base_b.has_indirect_call, 0
	.section	.AMDGPU.csdata,"",@progbits
; Kernel info:
; codeLenInByte = 9336
; TotalNumSgprs: 44
; NumVgprs: 22
; ScratchSize: 0
; MemoryBound: 0
; FloatMode: 240
; IeeeMode: 1
; LDSByteSize: 4096 bytes/workgroup (compile time only)
; SGPRBlocks: 0
; VGPRBlocks: 2
; NumSGPRsForWavesPerEU: 44
; NumVGPRsForWavesPerEU: 22
; Occupancy: 16
; WaveLimiterHint : 1
; COMPUTE_PGM_RSRC2:SCRATCH_EN: 0
; COMPUTE_PGM_RSRC2:USER_SGPR: 2
; COMPUTE_PGM_RSRC2:TRAP_HANDLER: 0
; COMPUTE_PGM_RSRC2:TGID_X_EN: 1
; COMPUTE_PGM_RSRC2:TGID_Y_EN: 0
; COMPUTE_PGM_RSRC2:TGID_Z_EN: 0
; COMPUTE_PGM_RSRC2:TIDIG_COMP_CNT: 0
	.section	.text._ZL33csrmvn_symm_large_adaptive_kernelIli18rocsparse_bfloat16S0_ffEvbT_PKS1_N9rocsparse24const_host_device_scalarIT4_EES3_PKT0_PKT1_PKT2_S7_PT3_21rocsparse_index_base_b,"axG",@progbits,_ZL33csrmvn_symm_large_adaptive_kernelIli18rocsparse_bfloat16S0_ffEvbT_PKS1_N9rocsparse24const_host_device_scalarIT4_EES3_PKT0_PKT1_PKT2_S7_PT3_21rocsparse_index_base_b,comdat
	.globl	_ZL33csrmvn_symm_large_adaptive_kernelIli18rocsparse_bfloat16S0_ffEvbT_PKS1_N9rocsparse24const_host_device_scalarIT4_EES3_PKT0_PKT1_PKT2_S7_PT3_21rocsparse_index_base_b ; -- Begin function _ZL33csrmvn_symm_large_adaptive_kernelIli18rocsparse_bfloat16S0_ffEvbT_PKS1_N9rocsparse24const_host_device_scalarIT4_EES3_PKT0_PKT1_PKT2_S7_PT3_21rocsparse_index_base_b
	.p2align	8
	.type	_ZL33csrmvn_symm_large_adaptive_kernelIli18rocsparse_bfloat16S0_ffEvbT_PKS1_N9rocsparse24const_host_device_scalarIT4_EES3_PKT0_PKT1_PKT2_S7_PT3_21rocsparse_index_base_b,@function
_ZL33csrmvn_symm_large_adaptive_kernelIli18rocsparse_bfloat16S0_ffEvbT_PKS1_N9rocsparse24const_host_device_scalarIT4_EES3_PKT0_PKT1_PKT2_S7_PT3_21rocsparse_index_base_b: ; @_ZL33csrmvn_symm_large_adaptive_kernelIli18rocsparse_bfloat16S0_ffEvbT_PKS1_N9rocsparse24const_host_device_scalarIT4_EES3_PKT0_PKT1_PKT2_S7_PT3_21rocsparse_index_base_b
; %bb.0:
	s_clause 0x2
	s_load_b64 s[6:7], s[0:1], 0x50
	s_load_b64 s[20:21], s[0:1], 0x18
	;; [unrolled: 1-line block ×3, first 2 shown]
	s_wait_kmcnt 0x0
	s_bitcmp1_b32 s7, 0
	s_cselect_b32 s4, -1, 0
	s_delay_alu instid0(SALU_CYCLE_1)
	s_and_b32 vcc_lo, exec_lo, s4
	s_xor_b32 s4, s4, -1
	s_cbranch_vccnz .LBB78_2
; %bb.1:
	s_load_b32 s20, s[20:21], 0x0
.LBB78_2:
	s_and_not1_b32 vcc_lo, exec_lo, s4
	s_cbranch_vccnz .LBB78_4
; %bb.3:
	s_load_b32 s2, s[2:3], 0x0
.LBB78_4:
	s_wait_kmcnt 0x0
	s_cmp_neq_f32 s20, 0
	s_mov_b32 s7, 0
	s_cselect_b32 s3, -1, 0
	s_cmp_neq_f32 s2, 1.0
	s_cselect_b32 s2, -1, 0
	s_delay_alu instid0(SALU_CYCLE_1) | instskip(NEXT) | instid1(SALU_CYCLE_1)
	s_or_b32 s2, s3, s2
	s_and_not1_b32 vcc_lo, exec_lo, s2
	s_cbranch_vccnz .LBB78_32
; %bb.5:
	s_load_b64 s[4:5], s[0:1], 0x10
	s_mov_b32 s2, ttmp9
	s_ashr_i32 s3, ttmp9, 31
	v_dual_mov_b32 v7, 0 :: v_dual_lshlrev_b32 v6, 2, v0
	s_lshl_b64 s[2:3], s[2:3], 3
	ds_store_2addr_stride64_b32 v6, v7, v7 offset1:4
	ds_store_2addr_stride64_b32 v6, v7, v7 offset0:8 offset1:12
	s_wait_dscnt 0x0
	s_barrier_signal -1
	s_barrier_wait -1
	global_inv scope:SCOPE_SE
	s_wait_kmcnt 0x0
	s_add_nc_u64 s[2:3], s[4:5], s[2:3]
	s_load_b128 s[16:19], s[2:3], 0x0
	s_clause 0x1
	s_load_b256 s[8:15], s[0:1], 0x20
	s_load_b64 s[22:23], s[0:1], 0x48
	v_sub_co_u32 v8, s1, v0, s6
	s_delay_alu instid0(VALU_DEP_1)
	v_sub_co_ci_u32_e64 v9, null, 0, 0, s1
	s_wait_kmcnt 0x0
	v_cmp_ge_i64_e64 s0, s[16:17], s[18:19]
	s_and_b32 vcc_lo, exec_lo, s0
	s_cbranch_vccnz .LBB78_23
; %bb.6:
	v_cmp_gt_u32_e64 s0, 64, v0
	v_cmp_gt_u32_e64 s1, 16, v0
	;; [unrolled: 1-line block ×3, first 2 shown]
	v_cmp_eq_u32_e64 s3, 0, v0
	s_mov_b64 s[24:25], s[16:17]
	s_branch .LBB78_8
.LBB78_7:                               ;   in Loop: Header=BB78_8 Depth=1
	s_wait_alu 0xfffe
	s_or_b32 exec_lo, exec_lo, s4
	s_add_nc_u64 s[24:25], s[24:25], 1
	s_wait_alu 0xfffe
	v_cmp_ge_i64_e64 s4, s[24:25], s[18:19]
	s_and_b32 vcc_lo, exec_lo, s4
	s_wait_alu 0xfffe
	s_cbranch_vccnz .LBB78_23
.LBB78_8:                               ; =>This Loop Header: Depth=1
                                        ;     Child Loop BB78_10 Depth 2
	s_lshl_b64 s[4:5], s[24:25], 3
	v_mov_b32_e32 v10, 0
	s_wait_alu 0xfffe
	s_add_nc_u64 s[4:5], s[8:9], s[4:5]
	s_load_b128 s[28:31], s[4:5], 0x0
	s_mov_b32 s5, exec_lo
	s_wait_kmcnt 0x0
	v_add_co_u32 v0, vcc_lo, s28, v8
	s_wait_alu 0xfffd
	v_add_co_ci_u32_e64 v1, null, s29, v9, vcc_lo
	s_sub_nc_u64 s[26:27], s[30:31], s[6:7]
	s_wait_alu 0xfffe
	v_cmpx_gt_i64_e64 s[26:27], v[0:1]
	s_cbranch_execz .LBB78_12
; %bb.9:                                ;   in Loop: Header=BB78_8 Depth=1
	v_lshlrev_b64_e32 v[2:3], 2, v[0:1]
	v_lshlrev_b64_e32 v[4:5], 1, v[0:1]
	v_mov_b32_e32 v10, 0
	s_mov_b32 s21, 0
	s_delay_alu instid0(VALU_DEP_3)
	v_add_co_u32 v2, vcc_lo, s10, v2
	s_wait_alu 0xfffd
	v_add_co_ci_u32_e64 v3, null, s11, v3, vcc_lo
	v_add_co_u32 v4, vcc_lo, s12, v4
	s_wait_alu 0xfffd
	v_add_co_ci_u32_e64 v5, null, s13, v5, vcc_lo
.LBB78_10:                              ;   Parent Loop BB78_8 Depth=1
                                        ; =>  This Inner Loop Header: Depth=2
	global_load_b32 v11, v[2:3], off
	s_wait_loadcnt 0x0
	v_subrev_nc_u32_e32 v11, s6, v11
	s_delay_alu instid0(VALU_DEP_1) | instskip(NEXT) | instid1(VALU_DEP_1)
	v_ashrrev_i32_e32 v12, 31, v11
	v_lshlrev_b64_e32 v[11:12], 1, v[11:12]
	s_delay_alu instid0(VALU_DEP_1) | instskip(SKIP_1) | instid1(VALU_DEP_2)
	v_add_co_u32 v11, vcc_lo, s14, v11
	s_wait_alu 0xfffd
	v_add_co_ci_u32_e64 v12, null, s15, v12, vcc_lo
	v_add_co_u32 v0, vcc_lo, 0x100, v0
	global_load_u16 v13, v[4:5], off
	global_load_u16 v11, v[11:12], off
	s_wait_alu 0xfffd
	v_add_co_ci_u32_e64 v1, null, 0, v1, vcc_lo
	v_add_co_u32 v2, vcc_lo, 0x400, v2
	s_wait_alu 0xfffd
	v_add_co_ci_u32_e64 v3, null, 0, v3, vcc_lo
	s_delay_alu instid0(VALU_DEP_3)
	v_cmp_le_i64_e32 vcc_lo, s[26:27], v[0:1]
	v_add_co_u32 v4, s4, 0x200, v4
	s_wait_alu 0xf1ff
	v_add_co_ci_u32_e64 v5, null, 0, v5, s4
	s_wait_alu 0xfffe
	s_or_b32 s21, vcc_lo, s21
	s_wait_loadcnt 0x1
	v_lshlrev_b32_e32 v12, 16, v13
	s_wait_loadcnt 0x0
	v_lshlrev_b32_e32 v11, 16, v11
	s_delay_alu instid0(VALU_DEP_1)
	v_fmac_f32_e32 v10, v12, v11
	s_wait_alu 0xfffe
	s_and_not1_b32 exec_lo, exec_lo, s21
	s_cbranch_execnz .LBB78_10
; %bb.11:                               ;   in Loop: Header=BB78_8 Depth=1
	s_or_b32 exec_lo, exec_lo, s21
.LBB78_12:                              ;   in Loop: Header=BB78_8 Depth=1
	s_delay_alu instid0(SALU_CYCLE_1)
	s_or_b32 exec_lo, exec_lo, s5
	ds_store_b32 v6, v10
	s_wait_loadcnt_dscnt 0x0
	s_barrier_signal -1
	s_barrier_wait -1
	global_inv scope:SCOPE_SE
	ds_load_2addr_stride64_b32 v[0:1], v6 offset1:4
	ds_load_2addr_stride64_b32 v[2:3], v6 offset0:8 offset1:12
	s_wait_dscnt 0x0
	v_add_f32_e32 v1, v1, v2
	s_delay_alu instid0(VALU_DEP_1) | instskip(NEXT) | instid1(VALU_DEP_1)
	v_add_f32_e32 v1, v1, v3
	v_add_f32_e32 v0, v0, v1
	ds_store_b32 v6, v0
	s_wait_loadcnt_dscnt 0x0
	s_barrier_signal -1
	s_barrier_wait -1
	global_inv scope:SCOPE_SE
	s_and_saveexec_b32 s4, s0
	s_cbranch_execz .LBB78_14
; %bb.13:                               ;   in Loop: Header=BB78_8 Depth=1
	ds_load_2addr_stride64_b32 v[0:1], v6 offset1:1
	ds_load_2addr_stride64_b32 v[2:3], v6 offset0:2 offset1:3
	s_wait_dscnt 0x0
	v_add_f32_e32 v1, v1, v2
	s_delay_alu instid0(VALU_DEP_1) | instskip(NEXT) | instid1(VALU_DEP_1)
	v_add_f32_e32 v1, v1, v3
	v_add_f32_e32 v0, v0, v1
	ds_store_b32 v6, v0
.LBB78_14:                              ;   in Loop: Header=BB78_8 Depth=1
	s_wait_alu 0xfffe
	s_or_b32 exec_lo, exec_lo, s4
	s_wait_loadcnt_dscnt 0x0
	s_barrier_signal -1
	s_barrier_wait -1
	global_inv scope:SCOPE_SE
	s_and_saveexec_b32 s4, s1
	s_cbranch_execz .LBB78_16
; %bb.15:                               ;   in Loop: Header=BB78_8 Depth=1
	ds_load_2addr_b32 v[0:1], v6 offset1:16
	ds_load_2addr_b32 v[2:3], v6 offset0:32 offset1:48
	s_wait_dscnt 0x0
	v_add_f32_e32 v1, v1, v2
	s_delay_alu instid0(VALU_DEP_1) | instskip(NEXT) | instid1(VALU_DEP_1)
	v_add_f32_e32 v1, v1, v3
	v_add_f32_e32 v0, v0, v1
	ds_store_b32 v6, v0
.LBB78_16:                              ;   in Loop: Header=BB78_8 Depth=1
	s_wait_alu 0xfffe
	s_or_b32 exec_lo, exec_lo, s4
	s_wait_loadcnt_dscnt 0x0
	s_barrier_signal -1
	s_barrier_wait -1
	global_inv scope:SCOPE_SE
	s_and_saveexec_b32 s4, s2
	s_cbranch_execz .LBB78_18
; %bb.17:                               ;   in Loop: Header=BB78_8 Depth=1
	ds_load_2addr_b32 v[0:1], v6 offset1:4
	ds_load_2addr_b32 v[2:3], v6 offset0:8 offset1:12
	s_wait_dscnt 0x0
	v_add_f32_e32 v1, v1, v2
	s_delay_alu instid0(VALU_DEP_1) | instskip(NEXT) | instid1(VALU_DEP_1)
	v_add_f32_e32 v1, v1, v3
	v_add_f32_e32 v0, v0, v1
	ds_store_b32 v6, v0
.LBB78_18:                              ;   in Loop: Header=BB78_8 Depth=1
	s_wait_alu 0xfffe
	s_or_b32 exec_lo, exec_lo, s4
	s_wait_loadcnt_dscnt 0x0
	s_barrier_signal -1
	s_barrier_wait -1
	global_inv scope:SCOPE_SE
	s_and_saveexec_b32 s4, s3
	s_cbranch_execz .LBB78_20
; %bb.19:                               ;   in Loop: Header=BB78_8 Depth=1
	ds_load_2addr_b32 v[0:1], v7 offset0:1 offset1:2
	ds_load_b32 v2, v7 offset:12
	ds_load_b32 v3, v6
	s_wait_dscnt 0x2
	v_add_f32_e32 v0, v0, v1
	s_wait_dscnt 0x1
	s_delay_alu instid0(VALU_DEP_1) | instskip(SKIP_1) | instid1(VALU_DEP_1)
	v_add_f32_e32 v0, v0, v2
	s_wait_dscnt 0x0
	v_add_f32_e32 v0, v3, v0
	ds_store_b32 v6, v0
.LBB78_20:                              ;   in Loop: Header=BB78_8 Depth=1
	s_wait_alu 0xfffe
	s_or_b32 exec_lo, exec_lo, s4
	s_wait_loadcnt_dscnt 0x0
	s_barrier_signal -1
	s_barrier_wait -1
	global_inv scope:SCOPE_SE
	s_and_saveexec_b32 s4, s3
	s_cbranch_execz .LBB78_7
; %bb.21:                               ;   in Loop: Header=BB78_8 Depth=1
	s_mov_b32 s5, exec_lo
	s_wait_alu 0xfffe
	v_mbcnt_lo_u32_b32 v0, s5, 0
	s_delay_alu instid0(VALU_DEP_1)
	v_cmp_eq_u32_e32 vcc_lo, 0, v0
	s_and_b32 s21, exec_lo, vcc_lo
	s_wait_alu 0xfffe
	s_mov_b32 exec_lo, s21
	s_cbranch_execz .LBB78_7
; %bb.22:                               ;   in Loop: Header=BB78_8 Depth=1
	ds_load_b32 v0, v7
	s_bcnt1_i32_b32 s5, s5
	s_lshl_b64 s[26:27], s[24:25], 2
	s_wait_alu 0xfffe
	v_cvt_f32_ubyte0_e32 v1, s5
	s_add_nc_u64 s[26:27], s[22:23], s[26:27]
	s_wait_dscnt 0x0
	v_mul_f32_e32 v0, s20, v0
	s_delay_alu instid0(VALU_DEP_1)
	v_mul_f32_e32 v0, v0, v1
	global_atomic_add_f32 v7, v0, s[26:27] scope:SCOPE_DEV
	s_branch .LBB78_7
.LBB78_23:
	s_lshl_b64 s[0:1], s[16:17], 3
	s_lshl_b64 s[2:3], s[18:19], 3
	s_wait_alu 0xfffe
	s_add_nc_u64 s[0:1], s[8:9], s[0:1]
	s_add_nc_u64 s[2:3], s[8:9], s[2:3]
	s_clause 0x1
	s_load_b64 s[0:1], s[0:1], 0x0
	s_load_b64 s[2:3], s[2:3], 0x0
	s_wait_kmcnt 0x0
	v_add_co_u32 v0, vcc_lo, s0, v8
	s_wait_alu 0xfffd
	v_add_co_ci_u32_e64 v1, null, s1, v9, vcc_lo
	s_sub_nc_u64 s[2:3], s[2:3], s[6:7]
	s_mov_b32 s0, exec_lo
	v_cmpx_gt_i64_e64 s[2:3], v[0:1]
	s_cbranch_execz .LBB78_32
; %bb.24:
	s_add_nc_u64 s[4:5], s[18:19], -1
	s_add_nc_u64 s[0:1], s[18:19], -2
	s_wait_alu 0xfffe
	v_cmp_lt_i64_e64 s7, s[16:17], s[4:5]
	s_cmp_lg_u64 s[16:17], s[0:1]
	s_cselect_b32 s0, -1, 0
	s_wait_alu 0xfffe
	s_and_b32 s1, s7, s0
	s_mov_b32 s7, 0
	s_branch .LBB78_26
.LBB78_25:                              ;   in Loop: Header=BB78_26 Depth=1
	s_wait_alu 0xfffe
	s_or_b32 exec_lo, exec_lo, s0
	v_add_co_u32 v0, vcc_lo, 0x100, v0
	s_wait_alu 0xfffd
	v_add_co_ci_u32_e64 v1, null, 0, v1, vcc_lo
	s_delay_alu instid0(VALU_DEP_1)
	v_cmp_le_i64_e32 vcc_lo, s[2:3], v[0:1]
	s_or_b32 s7, vcc_lo, s7
	s_wait_alu 0xfffe
	s_and_not1_b32 exec_lo, exec_lo, s7
	s_cbranch_execz .LBB78_32
.LBB78_26:                              ; =>This Loop Header: Depth=1
                                        ;     Child Loop BB78_28 Depth 2
	v_dual_mov_b32 v2, s16 :: v_dual_mov_b32 v3, s17
	v_dual_mov_b32 v4, s4 :: v_dual_mov_b32 v5, s5
	s_wait_alu 0xfffe
	s_and_not1_b32 vcc_lo, exec_lo, s1
	s_wait_alu 0xfffe
	s_cbranch_vccnz .LBB78_30
; %bb.27:                               ;   in Loop: Header=BB78_26 Depth=1
	v_dual_mov_b32 v2, s16 :: v_dual_mov_b32 v3, s17
	v_dual_mov_b32 v4, s4 :: v_dual_mov_b32 v5, s5
	s_mov_b32 s18, 0
.LBB78_28:                              ;   Parent Loop BB78_26 Depth=1
                                        ; =>  This Inner Loop Header: Depth=2
	s_delay_alu instid0(VALU_DEP_1) | instskip(SKIP_1) | instid1(VALU_DEP_2)
	v_add_co_u32 v6, vcc_lo, v4, v2
	s_wait_alu 0xfffd
	v_add_co_ci_u32_e64 v7, null, v5, v3, vcc_lo
	s_delay_alu instid0(VALU_DEP_1) | instskip(NEXT) | instid1(VALU_DEP_1)
	v_lshrrev_b32_e32 v8, 31, v7
	v_add_co_u32 v6, vcc_lo, v6, v8
	s_wait_alu 0xfffd
	v_add_co_ci_u32_e64 v7, null, 0, v7, vcc_lo
	s_delay_alu instid0(VALU_DEP_1) | instskip(NEXT) | instid1(VALU_DEP_1)
	v_ashrrev_i64 v[6:7], 1, v[6:7]
	v_lshlrev_b64_e32 v[8:9], 3, v[6:7]
	s_delay_alu instid0(VALU_DEP_1) | instskip(SKIP_1) | instid1(VALU_DEP_2)
	v_add_co_u32 v8, vcc_lo, s8, v8
	s_wait_alu 0xfffd
	v_add_co_ci_u32_e64 v9, null, s9, v9, vcc_lo
	global_load_b64 v[8:9], v[8:9], off
	s_wait_loadcnt 0x0
	v_sub_co_u32 v8, vcc_lo, v8, s6
	s_wait_alu 0xfffd
	v_subrev_co_ci_u32_e64 v9, null, 0, v9, vcc_lo
	s_delay_alu instid0(VALU_DEP_1) | instskip(SKIP_3) | instid1(VALU_DEP_2)
	v_cmp_lt_i64_e32 vcc_lo, v[0:1], v[8:9]
	s_wait_alu 0xfffd
	v_dual_cndmask_b32 v5, v5, v7 :: v_dual_cndmask_b32 v4, v4, v6
	v_dual_cndmask_b32 v3, v7, v3 :: v_dual_cndmask_b32 v2, v6, v2
	v_add_co_u32 v6, vcc_lo, v4, -1
	s_wait_alu 0xfffd
	s_delay_alu instid0(VALU_DEP_3) | instskip(NEXT) | instid1(VALU_DEP_3)
	v_add_co_ci_u32_e64 v7, null, -1, v5, vcc_lo
	v_cmp_ge_i64_e32 vcc_lo, v[2:3], v[4:5]
	s_delay_alu instid0(VALU_DEP_2)
	v_cmp_eq_u64_e64 s0, v[2:3], v[6:7]
	s_or_b32 s0, vcc_lo, s0
	s_wait_alu 0xfffe
	s_and_b32 s0, exec_lo, s0
	s_wait_alu 0xfffe
	s_or_b32 s18, s0, s18
	s_wait_alu 0xfffe
	s_and_not1_b32 exec_lo, exec_lo, s18
	s_cbranch_execnz .LBB78_28
; %bb.29:                               ;   in Loop: Header=BB78_26 Depth=1
	s_or_b32 exec_lo, exec_lo, s18
.LBB78_30:                              ;   in Loop: Header=BB78_26 Depth=1
	v_lshlrev_b64_e32 v[6:7], 3, v[4:5]
	v_lshlrev_b64_e32 v[8:9], 2, v[0:1]
	s_mov_b32 s0, exec_lo
	s_delay_alu instid0(VALU_DEP_2) | instskip(SKIP_1) | instid1(VALU_DEP_3)
	v_add_co_u32 v6, vcc_lo, s8, v6
	s_wait_alu 0xfffd
	v_add_co_ci_u32_e64 v7, null, s9, v7, vcc_lo
	s_delay_alu instid0(VALU_DEP_3)
	v_add_co_u32 v8, vcc_lo, s10, v8
	s_wait_alu 0xfffd
	v_add_co_ci_u32_e64 v9, null, s11, v9, vcc_lo
	global_load_b64 v[6:7], v[6:7], off
	global_load_b32 v8, v[8:9], off
	s_wait_loadcnt 0x1
	v_sub_co_u32 v6, vcc_lo, v6, s6
	s_wait_alu 0xfffd
	v_subrev_co_ci_u32_e64 v7, null, 0, v7, vcc_lo
	s_delay_alu instid0(VALU_DEP_1) | instskip(SKIP_2) | instid1(VALU_DEP_1)
	v_cmp_lt_i64_e32 vcc_lo, v[0:1], v[6:7]
	s_wait_loadcnt 0x0
	v_subrev_nc_u32_e32 v6, s6, v8
	v_ashrrev_i32_e32 v7, 31, v6
	s_wait_alu 0xfffd
	v_dual_cndmask_b32 v3, v5, v3 :: v_dual_cndmask_b32 v2, v4, v2
	s_delay_alu instid0(VALU_DEP_1)
	v_cmpx_ne_u64_e64 v[2:3], v[6:7]
	s_cbranch_execz .LBB78_25
; %bb.31:                               ;   in Loop: Header=BB78_26 Depth=1
	v_lshlrev_b64_e32 v[4:5], 1, v[0:1]
	v_lshlrev_b64_e32 v[2:3], 1, v[2:3]
	s_delay_alu instid0(VALU_DEP_2) | instskip(SKIP_1) | instid1(VALU_DEP_3)
	v_add_co_u32 v4, vcc_lo, s12, v4
	s_wait_alu 0xfffd
	v_add_co_ci_u32_e64 v5, null, s13, v5, vcc_lo
	s_delay_alu instid0(VALU_DEP_3)
	v_add_co_u32 v2, vcc_lo, s14, v2
	s_wait_alu 0xfffd
	v_add_co_ci_u32_e64 v3, null, s15, v3, vcc_lo
	global_load_u16 v4, v[4:5], off
	global_load_u16 v5, v[2:3], off
	v_lshlrev_b64_e32 v[2:3], 2, v[6:7]
	s_delay_alu instid0(VALU_DEP_1) | instskip(SKIP_1) | instid1(VALU_DEP_2)
	v_add_co_u32 v2, vcc_lo, s22, v2
	s_wait_alu 0xfffd
	v_add_co_ci_u32_e64 v3, null, s23, v3, vcc_lo
	s_wait_loadcnt 0x1
	v_lshlrev_b32_e32 v4, 16, v4
	s_wait_loadcnt 0x0
	s_delay_alu instid0(VALU_DEP_1) | instskip(NEXT) | instid1(VALU_DEP_1)
	v_dual_mul_f32 v4, s20, v4 :: v_dual_lshlrev_b32 v5, 16, v5
	v_mul_f32_e32 v4, v4, v5
	global_atomic_add_f32 v[2:3], v4, off scope:SCOPE_DEV
	s_branch .LBB78_25
.LBB78_32:
	s_endpgm
	.section	.rodata,"a",@progbits
	.p2align	6, 0x0
	.amdhsa_kernel _ZL33csrmvn_symm_large_adaptive_kernelIli18rocsparse_bfloat16S0_ffEvbT_PKS1_N9rocsparse24const_host_device_scalarIT4_EES3_PKT0_PKT1_PKT2_S7_PT3_21rocsparse_index_base_b
		.amdhsa_group_segment_fixed_size 4096
		.amdhsa_private_segment_fixed_size 0
		.amdhsa_kernarg_size 88
		.amdhsa_user_sgpr_count 2
		.amdhsa_user_sgpr_dispatch_ptr 0
		.amdhsa_user_sgpr_queue_ptr 0
		.amdhsa_user_sgpr_kernarg_segment_ptr 1
		.amdhsa_user_sgpr_dispatch_id 0
		.amdhsa_user_sgpr_private_segment_size 0
		.amdhsa_wavefront_size32 1
		.amdhsa_uses_dynamic_stack 0
		.amdhsa_enable_private_segment 0
		.amdhsa_system_sgpr_workgroup_id_x 1
		.amdhsa_system_sgpr_workgroup_id_y 0
		.amdhsa_system_sgpr_workgroup_id_z 0
		.amdhsa_system_sgpr_workgroup_info 0
		.amdhsa_system_vgpr_workitem_id 0
		.amdhsa_next_free_vgpr 14
		.amdhsa_next_free_sgpr 32
		.amdhsa_reserve_vcc 1
		.amdhsa_float_round_mode_32 0
		.amdhsa_float_round_mode_16_64 0
		.amdhsa_float_denorm_mode_32 3
		.amdhsa_float_denorm_mode_16_64 3
		.amdhsa_fp16_overflow 0
		.amdhsa_workgroup_processor_mode 1
		.amdhsa_memory_ordered 1
		.amdhsa_forward_progress 1
		.amdhsa_inst_pref_size 16
		.amdhsa_round_robin_scheduling 0
		.amdhsa_exception_fp_ieee_invalid_op 0
		.amdhsa_exception_fp_denorm_src 0
		.amdhsa_exception_fp_ieee_div_zero 0
		.amdhsa_exception_fp_ieee_overflow 0
		.amdhsa_exception_fp_ieee_underflow 0
		.amdhsa_exception_fp_ieee_inexact 0
		.amdhsa_exception_int_div_zero 0
	.end_amdhsa_kernel
	.section	.text._ZL33csrmvn_symm_large_adaptive_kernelIli18rocsparse_bfloat16S0_ffEvbT_PKS1_N9rocsparse24const_host_device_scalarIT4_EES3_PKT0_PKT1_PKT2_S7_PT3_21rocsparse_index_base_b,"axG",@progbits,_ZL33csrmvn_symm_large_adaptive_kernelIli18rocsparse_bfloat16S0_ffEvbT_PKS1_N9rocsparse24const_host_device_scalarIT4_EES3_PKT0_PKT1_PKT2_S7_PT3_21rocsparse_index_base_b,comdat
.Lfunc_end78:
	.size	_ZL33csrmvn_symm_large_adaptive_kernelIli18rocsparse_bfloat16S0_ffEvbT_PKS1_N9rocsparse24const_host_device_scalarIT4_EES3_PKT0_PKT1_PKT2_S7_PT3_21rocsparse_index_base_b, .Lfunc_end78-_ZL33csrmvn_symm_large_adaptive_kernelIli18rocsparse_bfloat16S0_ffEvbT_PKS1_N9rocsparse24const_host_device_scalarIT4_EES3_PKT0_PKT1_PKT2_S7_PT3_21rocsparse_index_base_b
                                        ; -- End function
	.set _ZL33csrmvn_symm_large_adaptive_kernelIli18rocsparse_bfloat16S0_ffEvbT_PKS1_N9rocsparse24const_host_device_scalarIT4_EES3_PKT0_PKT1_PKT2_S7_PT3_21rocsparse_index_base_b.num_vgpr, 14
	.set _ZL33csrmvn_symm_large_adaptive_kernelIli18rocsparse_bfloat16S0_ffEvbT_PKS1_N9rocsparse24const_host_device_scalarIT4_EES3_PKT0_PKT1_PKT2_S7_PT3_21rocsparse_index_base_b.num_agpr, 0
	.set _ZL33csrmvn_symm_large_adaptive_kernelIli18rocsparse_bfloat16S0_ffEvbT_PKS1_N9rocsparse24const_host_device_scalarIT4_EES3_PKT0_PKT1_PKT2_S7_PT3_21rocsparse_index_base_b.numbered_sgpr, 32
	.set _ZL33csrmvn_symm_large_adaptive_kernelIli18rocsparse_bfloat16S0_ffEvbT_PKS1_N9rocsparse24const_host_device_scalarIT4_EES3_PKT0_PKT1_PKT2_S7_PT3_21rocsparse_index_base_b.num_named_barrier, 0
	.set _ZL33csrmvn_symm_large_adaptive_kernelIli18rocsparse_bfloat16S0_ffEvbT_PKS1_N9rocsparse24const_host_device_scalarIT4_EES3_PKT0_PKT1_PKT2_S7_PT3_21rocsparse_index_base_b.private_seg_size, 0
	.set _ZL33csrmvn_symm_large_adaptive_kernelIli18rocsparse_bfloat16S0_ffEvbT_PKS1_N9rocsparse24const_host_device_scalarIT4_EES3_PKT0_PKT1_PKT2_S7_PT3_21rocsparse_index_base_b.uses_vcc, 1
	.set _ZL33csrmvn_symm_large_adaptive_kernelIli18rocsparse_bfloat16S0_ffEvbT_PKS1_N9rocsparse24const_host_device_scalarIT4_EES3_PKT0_PKT1_PKT2_S7_PT3_21rocsparse_index_base_b.uses_flat_scratch, 0
	.set _ZL33csrmvn_symm_large_adaptive_kernelIli18rocsparse_bfloat16S0_ffEvbT_PKS1_N9rocsparse24const_host_device_scalarIT4_EES3_PKT0_PKT1_PKT2_S7_PT3_21rocsparse_index_base_b.has_dyn_sized_stack, 0
	.set _ZL33csrmvn_symm_large_adaptive_kernelIli18rocsparse_bfloat16S0_ffEvbT_PKS1_N9rocsparse24const_host_device_scalarIT4_EES3_PKT0_PKT1_PKT2_S7_PT3_21rocsparse_index_base_b.has_recursion, 0
	.set _ZL33csrmvn_symm_large_adaptive_kernelIli18rocsparse_bfloat16S0_ffEvbT_PKS1_N9rocsparse24const_host_device_scalarIT4_EES3_PKT0_PKT1_PKT2_S7_PT3_21rocsparse_index_base_b.has_indirect_call, 0
	.section	.AMDGPU.csdata,"",@progbits
; Kernel info:
; codeLenInByte = 2028
; TotalNumSgprs: 34
; NumVgprs: 14
; ScratchSize: 0
; MemoryBound: 0
; FloatMode: 240
; IeeeMode: 1
; LDSByteSize: 4096 bytes/workgroup (compile time only)
; SGPRBlocks: 0
; VGPRBlocks: 1
; NumSGPRsForWavesPerEU: 34
; NumVGPRsForWavesPerEU: 14
; Occupancy: 16
; WaveLimiterHint : 1
; COMPUTE_PGM_RSRC2:SCRATCH_EN: 0
; COMPUTE_PGM_RSRC2:USER_SGPR: 2
; COMPUTE_PGM_RSRC2:TRAP_HANDLER: 0
; COMPUTE_PGM_RSRC2:TGID_X_EN: 1
; COMPUTE_PGM_RSRC2:TGID_Y_EN: 0
; COMPUTE_PGM_RSRC2:TGID_Z_EN: 0
; COMPUTE_PGM_RSRC2:TIDIG_COMP_CNT: 0
	.section	.text._ZN9rocsparseL22csrmvn_adaptive_kernelIll18rocsparse_bfloat16S1_ffEEvbT_PKS2_PjPKT0_NS_24const_host_device_scalarIT4_EES4_S8_PKT1_PKT2_SB_PT3_21rocsparse_index_base_b,"axG",@progbits,_ZN9rocsparseL22csrmvn_adaptive_kernelIll18rocsparse_bfloat16S1_ffEEvbT_PKS2_PjPKT0_NS_24const_host_device_scalarIT4_EES4_S8_PKT1_PKT2_SB_PT3_21rocsparse_index_base_b,comdat
	.globl	_ZN9rocsparseL22csrmvn_adaptive_kernelIll18rocsparse_bfloat16S1_ffEEvbT_PKS2_PjPKT0_NS_24const_host_device_scalarIT4_EES4_S8_PKT1_PKT2_SB_PT3_21rocsparse_index_base_b ; -- Begin function _ZN9rocsparseL22csrmvn_adaptive_kernelIll18rocsparse_bfloat16S1_ffEEvbT_PKS2_PjPKT0_NS_24const_host_device_scalarIT4_EES4_S8_PKT1_PKT2_SB_PT3_21rocsparse_index_base_b
	.p2align	8
	.type	_ZN9rocsparseL22csrmvn_adaptive_kernelIll18rocsparse_bfloat16S1_ffEEvbT_PKS2_PjPKT0_NS_24const_host_device_scalarIT4_EES4_S8_PKT1_PKT2_SB_PT3_21rocsparse_index_base_b,@function
_ZN9rocsparseL22csrmvn_adaptive_kernelIll18rocsparse_bfloat16S1_ffEEvbT_PKS2_PjPKT0_NS_24const_host_device_scalarIT4_EES4_S8_PKT1_PKT2_SB_PT3_21rocsparse_index_base_b: ; @_ZN9rocsparseL22csrmvn_adaptive_kernelIll18rocsparse_bfloat16S1_ffEEvbT_PKS2_PjPKT0_NS_24const_host_device_scalarIT4_EES4_S8_PKT1_PKT2_SB_PT3_21rocsparse_index_base_b
; %bb.0:
	s_clause 0x2
	s_load_b64 s[38:39], s[0:1], 0x60
	s_load_b64 s[36:37], s[0:1], 0x28
	;; [unrolled: 1-line block ×3, first 2 shown]
	s_wait_kmcnt 0x0
	s_bitcmp1_b32 s39, 0
	s_cselect_b32 s2, -1, 0
	s_delay_alu instid0(SALU_CYCLE_1)
	s_and_b32 vcc_lo, exec_lo, s2
	s_xor_b32 s2, s2, -1
	s_cbranch_vccnz .LBB79_2
; %bb.1:
	s_load_b32 s36, s[36:37], 0x0
.LBB79_2:
	s_and_not1_b32 vcc_lo, exec_lo, s2
	s_cbranch_vccnz .LBB79_4
; %bb.3:
	s_load_b32 s24, s[24:25], 0x0
.LBB79_4:
	s_wait_kmcnt 0x0
	s_cmp_neq_f32 s36, 0
	s_cselect_b32 s2, -1, 0
	s_cmp_neq_f32 s24, 1.0
	s_cselect_b32 s3, -1, 0
	s_delay_alu instid0(SALU_CYCLE_1) | instskip(NEXT) | instid1(SALU_CYCLE_1)
	s_or_b32 s2, s2, s3
	s_and_not1_b32 vcc_lo, exec_lo, s2
	s_cbranch_vccnz .LBB79_114
; %bb.5:
	s_clause 0x1
	s_load_b64 s[2:3], s[0:1], 0x10
	s_load_b64 s[6:7], s[0:1], 0x20
	s_mov_b32 s40, ttmp9
	s_ashr_i32 s41, ttmp9, 31
	s_delay_alu instid0(SALU_CYCLE_1)
	s_lshl_b64 s[4:5], s[40:41], 3
	s_wait_kmcnt 0x0
	s_add_nc_u64 s[2:3], s[2:3], s[4:5]
	s_add_nc_u64 s[4:5], s[6:7], s[4:5]
	s_load_b128 s[20:23], s[2:3], 0x0
	s_clause 0x1
	s_load_b256 s[12:19], s[0:1], 0x30
	s_load_b64 s[26:27], s[0:1], 0x58
	s_wait_kmcnt 0x0
	s_lshl_b64 s[2:3], s[20:21], 3
	s_delay_alu instid0(SALU_CYCLE_1) | instskip(SKIP_3) | instid1(SALU_CYCLE_1)
	s_add_nc_u64 s[34:35], s[12:13], s[2:3]
	s_load_b64 s[28:29], s[4:5], 0x0
	s_load_b64 s[30:31], s[34:35], 0x0
	s_sub_nc_u64 s[2:3], s[22:23], s[20:21]
	v_cmp_lt_i64_e64 s4, s[2:3], 2
	s_and_b32 vcc_lo, exec_lo, s4
	s_mov_b32 s4, -1
	s_cbranch_vccz .LBB79_70
; %bb.6:
	s_cmp_lg_u64 s[2:3], 1
	v_cmp_gt_u32_e64 s2, 0x80, v0
	s_cselect_b32 s4, -1, 0
	s_wait_kmcnt 0x0
	s_cmp_lg_u64 s[28:29], 0
	v_cmp_gt_u32_e64 s3, 64, v0
	s_cselect_b32 s5, -1, 0
	v_cmp_gt_u32_e64 s6, 8, v0
	s_or_b32 s5, s4, s5
	v_cmp_gt_u32_e64 s4, 32, v0
	s_and_b32 vcc_lo, exec_lo, s5
	v_cmp_gt_u32_e64 s5, 16, v0
	v_cmp_gt_u32_e64 s7, 4, v0
	v_cmp_gt_u32_e64 s8, 2, v0
	v_cmp_eq_u32_e64 s9, 0, v0
	s_mov_b32 s10, -1
	s_cbranch_vccnz .LBB79_34
; %bb.7:
	v_sub_co_u32 v8, s10, v0, s38
	s_cmp_neq_f32 s24, 0
	v_dual_mov_b32 v7, 0 :: v_dual_lshlrev_b32 v10, 2, v0
	v_sub_co_ci_u32_e64 v9, null, 0, 0, s10
	s_cselect_b32 s11, -1, 0
	s_mov_b32 s39, 0
	s_mov_b64 s[42:43], s[20:21]
	s_branch .LBB79_10
.LBB79_8:                               ;   in Loop: Header=BB79_10 Depth=1
	s_lshl_b64 s[44:45], s[42:43], 2
	s_wait_alu 0xfffe
	s_add_nc_u64 s[44:45], s[26:27], s[44:45]
	s_wait_dscnt 0x0
	global_store_b32 v7, v1, s[44:45]
.LBB79_9:                               ;   in Loop: Header=BB79_10 Depth=1
	s_wait_alu 0xfffe
	s_or_b32 exec_lo, exec_lo, s10
	s_add_nc_u64 s[42:43], s[42:43], 1
	s_wait_alu 0xfffe
	v_cmp_ge_i64_e64 s10, s[42:43], s[22:23]
	s_and_b32 vcc_lo, exec_lo, s10
	s_wait_alu 0xfffe
	s_cbranch_vccnz .LBB79_33
.LBB79_10:                              ; =>This Loop Header: Depth=1
                                        ;     Child Loop BB79_12 Depth 2
	s_lshl_b64 s[44:45], s[42:43], 3
	v_mov_b32_e32 v11, 0
	s_wait_alu 0xfffe
	s_add_nc_u64 s[44:45], s[12:13], s[44:45]
	s_mov_b32 s25, exec_lo
	s_load_b128 s[44:47], s[44:45], 0x0
	s_wait_kmcnt 0x0
	v_add_co_u32 v1, vcc_lo, s44, v8
	s_wait_alu 0xfffd
	v_add_co_ci_u32_e64 v2, null, s45, v9, vcc_lo
	s_sub_nc_u64 s[44:45], s[46:47], s[38:39]
	s_wait_alu 0xfffe
	v_cmpx_gt_i64_e64 s[44:45], v[1:2]
	s_cbranch_execz .LBB79_14
; %bb.11:                               ;   in Loop: Header=BB79_10 Depth=1
	v_lshlrev_b64_e32 v[3:4], 1, v[1:2]
	v_lshlrev_b64_e32 v[5:6], 3, v[1:2]
	v_mov_b32_e32 v11, 0
	s_mov_b32 s33, 0
	s_delay_alu instid0(VALU_DEP_3)
	v_add_co_u32 v3, vcc_lo, s16, v3
	s_wait_alu 0xfffd
	v_add_co_ci_u32_e64 v4, null, s17, v4, vcc_lo
	v_add_co_u32 v5, vcc_lo, s14, v5
	s_wait_alu 0xfffd
	v_add_co_ci_u32_e64 v6, null, s15, v6, vcc_lo
.LBB79_12:                              ;   Parent Loop BB79_10 Depth=1
                                        ; =>  This Inner Loop Header: Depth=2
	global_load_b64 v[12:13], v[5:6], off
	global_load_u16 v14, v[3:4], off
	v_add_co_u32 v5, s10, 0x800, v5
	s_wait_alu 0xf1ff
	v_add_co_ci_u32_e64 v6, null, 0, v6, s10
	s_wait_loadcnt 0x1
	v_sub_co_u32 v12, vcc_lo, v12, s38
	s_wait_alu 0xfffd
	v_subrev_co_ci_u32_e64 v13, null, 0, v13, vcc_lo
	s_delay_alu instid0(VALU_DEP_1) | instskip(NEXT) | instid1(VALU_DEP_1)
	v_lshlrev_b64_e32 v[12:13], 1, v[12:13]
	v_add_co_u32 v12, vcc_lo, s18, v12
	s_wait_alu 0xfffd
	s_delay_alu instid0(VALU_DEP_2)
	v_add_co_ci_u32_e64 v13, null, s19, v13, vcc_lo
	v_add_co_u32 v1, vcc_lo, 0x100, v1
	s_wait_alu 0xfffd
	v_add_co_ci_u32_e64 v2, null, 0, v2, vcc_lo
	global_load_u16 v12, v[12:13], off
	s_wait_loadcnt 0x1
	v_lshlrev_b32_e32 v13, 16, v14
	v_add_co_u32 v3, vcc_lo, 0x200, v3
	s_wait_alu 0xfffd
	v_add_co_ci_u32_e64 v4, null, 0, v4, vcc_lo
	s_delay_alu instid0(VALU_DEP_3) | instskip(SKIP_4) | instid1(VALU_DEP_1)
	v_mul_f32_e32 v13, s36, v13
	v_cmp_le_i64_e32 vcc_lo, s[44:45], v[1:2]
	s_or_b32 s33, vcc_lo, s33
	s_wait_loadcnt 0x0
	v_lshlrev_b32_e32 v12, 16, v12
	v_fmac_f32_e32 v11, v13, v12
	s_and_not1_b32 exec_lo, exec_lo, s33
	s_cbranch_execnz .LBB79_12
; %bb.13:                               ;   in Loop: Header=BB79_10 Depth=1
	s_or_b32 exec_lo, exec_lo, s33
.LBB79_14:                              ;   in Loop: Header=BB79_10 Depth=1
	s_delay_alu instid0(SALU_CYCLE_1)
	s_or_b32 exec_lo, exec_lo, s25
	ds_store_b32 v10, v11
	s_wait_dscnt 0x0
	s_barrier_signal -1
	s_barrier_wait -1
	global_inv scope:SCOPE_SE
	s_and_saveexec_b32 s10, s2
	s_cbranch_execz .LBB79_16
; %bb.15:                               ;   in Loop: Header=BB79_10 Depth=1
	ds_load_2addr_stride64_b32 v[1:2], v10 offset1:2
	s_wait_dscnt 0x0
	v_add_f32_e32 v1, v1, v2
	ds_store_b32 v10, v1
.LBB79_16:                              ;   in Loop: Header=BB79_10 Depth=1
	s_wait_alu 0xfffe
	s_or_b32 exec_lo, exec_lo, s10
	s_wait_loadcnt_dscnt 0x0
	s_barrier_signal -1
	s_barrier_wait -1
	global_inv scope:SCOPE_SE
	s_and_saveexec_b32 s10, s3
	s_cbranch_execz .LBB79_18
; %bb.17:                               ;   in Loop: Header=BB79_10 Depth=1
	ds_load_2addr_stride64_b32 v[1:2], v10 offset1:1
	s_wait_dscnt 0x0
	v_add_f32_e32 v1, v1, v2
	ds_store_b32 v10, v1
.LBB79_18:                              ;   in Loop: Header=BB79_10 Depth=1
	s_wait_alu 0xfffe
	s_or_b32 exec_lo, exec_lo, s10
	s_wait_loadcnt_dscnt 0x0
	s_barrier_signal -1
	s_barrier_wait -1
	global_inv scope:SCOPE_SE
	s_and_saveexec_b32 s10, s4
	s_cbranch_execz .LBB79_20
; %bb.19:                               ;   in Loop: Header=BB79_10 Depth=1
	ds_load_2addr_b32 v[1:2], v10 offset1:32
	s_wait_dscnt 0x0
	v_add_f32_e32 v1, v1, v2
	ds_store_b32 v10, v1
.LBB79_20:                              ;   in Loop: Header=BB79_10 Depth=1
	s_wait_alu 0xfffe
	s_or_b32 exec_lo, exec_lo, s10
	s_wait_loadcnt_dscnt 0x0
	s_barrier_signal -1
	s_barrier_wait -1
	global_inv scope:SCOPE_SE
	s_and_saveexec_b32 s10, s5
	s_cbranch_execz .LBB79_22
; %bb.21:                               ;   in Loop: Header=BB79_10 Depth=1
	ds_load_2addr_b32 v[1:2], v10 offset1:16
	s_wait_dscnt 0x0
	v_add_f32_e32 v1, v1, v2
	ds_store_b32 v10, v1
.LBB79_22:                              ;   in Loop: Header=BB79_10 Depth=1
	;; [unrolled: 14-line block ×5, first 2 shown]
	s_wait_alu 0xfffe
	s_or_b32 exec_lo, exec_lo, s10
	s_wait_loadcnt_dscnt 0x0
	s_barrier_signal -1
	s_barrier_wait -1
	global_inv scope:SCOPE_SE
	s_and_saveexec_b32 s10, s9
	s_cbranch_execz .LBB79_30
; %bb.29:                               ;   in Loop: Header=BB79_10 Depth=1
	ds_load_b64 v[1:2], v7
	s_wait_dscnt 0x0
	v_add_f32_e32 v1, v1, v2
	ds_store_b32 v7, v1
.LBB79_30:                              ;   in Loop: Header=BB79_10 Depth=1
	s_wait_alu 0xfffe
	s_or_b32 exec_lo, exec_lo, s10
	s_wait_loadcnt_dscnt 0x0
	s_barrier_signal -1
	s_barrier_wait -1
	global_inv scope:SCOPE_SE
	s_and_saveexec_b32 s10, s9
	s_cbranch_execz .LBB79_9
; %bb.31:                               ;   in Loop: Header=BB79_10 Depth=1
	ds_load_b32 v1, v7
	s_and_not1_b32 vcc_lo, exec_lo, s11
	s_wait_alu 0xfffe
	s_cbranch_vccnz .LBB79_8
; %bb.32:                               ;   in Loop: Header=BB79_10 Depth=1
	s_lshl_b64 s[44:45], s[42:43], 2
	s_wait_alu 0xfffe
	s_add_nc_u64 s[44:45], s[26:27], s[44:45]
	global_load_b32 v2, v7, s[44:45]
	s_wait_loadcnt_dscnt 0x0
	v_fmac_f32_e32 v1, s24, v2
	s_branch .LBB79_8
.LBB79_33:
	s_mov_b32 s10, 0
.LBB79_34:
	s_wait_alu 0xfffe
	s_and_b32 vcc_lo, exec_lo, s10
	s_wait_alu 0xfffe
	s_cbranch_vccz .LBB79_69
; %bb.35:
	s_load_b64 s[6:7], s[0:1], 0x18
	v_mov_b32_e32 v8, 0
	s_lshl_b64 s[2:3], s[40:41], 2
	s_cmp_lg_u64 s[28:29], 0
	v_cmp_eq_u32_e32 vcc_lo, 0, v0
	s_cselect_b32 s25, -1, 0
	s_cmp_eq_u64 s[28:29], 0
	s_sub_nc_u64 s[8:9], s[40:41], s[28:29]
	s_mov_b32 s39, 0
	s_wait_kmcnt 0x0
	s_wait_alu 0xfffe
	s_add_nc_u64 s[4:5], s[6:7], s[2:3]
	s_cselect_b32 s2, -1, 0
	global_load_b32 v7, v8, s[4:5]
	s_wait_alu 0xfffe
	s_and_b32 s2, vcc_lo, s2
	s_wait_alu 0xfffe
	s_and_saveexec_b32 s3, s2
	s_cbranch_execz .LBB79_39
; %bb.36:
	v_mov_b32_e32 v1, 0
	s_lshl_b64 s[40:41], s[20:21], 2
	s_mov_b32 s10, exec_lo
	s_add_nc_u64 s[40:41], s[26:27], s[40:41]
	s_wait_alu 0xfffe
	v_mbcnt_lo_u32_b32 v3, s10, 0
	global_load_b32 v2, v1, s[40:41]
	s_add_f32 s11, s24, -1.0
	s_mov_b32 s33, exec_lo
	s_wait_loadcnt 0x0
	s_wait_storecnt 0x0
	global_inv scope:SCOPE_DEV
	v_cmpx_eq_u32_e32 0, v3
	s_cbranch_execz .LBB79_38
; %bb.37:
	s_bcnt1_i32_b32 s2, s10
	s_lshl_b64 s[40:41], s[8:9], 2
	s_wait_alu 0xfffe
	s_and_b32 s2, s2, 1
	s_add_nc_u64 s[40:41], s[6:7], s[40:41]
	s_wait_alu 0xfffe
	v_mov_b32_e32 v3, s2
	global_atomic_xor_b32 v1, v3, s[40:41] scope:SCOPE_DEV
.LBB79_38:
	s_or_b32 exec_lo, exec_lo, s33
	s_wait_alu 0xfffe
	v_mul_f32_e32 v8, s11, v2
.LBB79_39:
	s_wait_alu 0xfffe
	s_or_b32 exec_lo, exec_lo, s3
	s_load_b64 s[2:3], s[34:35], 0x8
	s_mul_u64 s[10:11], s[28:29], 0xc00
	s_sub_nc_u64 s[40:41], s[30:31], s[38:39]
	s_mov_b32 s33, exec_lo
	s_wait_alu 0xfffe
	s_add_nc_u64 s[40:41], s[40:41], s[10:11]
	s_delay_alu instid0(SALU_CYCLE_1)
	v_add_co_u32 v1, s10, s40, v0
	s_wait_alu 0xf1ff
	v_add_co_ci_u32_e64 v2, null, s41, 0, s10
	s_wait_kmcnt 0x0
	s_sub_nc_u64 s[10:11], s[2:3], s[38:39]
	s_wait_alu 0xfffe
	s_delay_alu instid0(VALU_DEP_1)
	v_cmpx_gt_i64_e64 s[10:11], v[1:2]
	s_cbranch_execz .LBB79_43
; %bb.40:
	v_lshlrev_b64_e32 v[3:4], 1, v[1:2]
	s_add_nc_u64 s[40:41], s[40:41], 0xc00
	v_lshlrev_b64_e32 v[5:6], 3, v[1:2]
	s_wait_alu 0xfffe
	v_cmp_lt_i64_e64 s3, s[40:41], s[10:11]
	s_mov_b32 s37, 0
	v_add_co_u32 v3, s2, s16, v3
	s_wait_alu 0xf1ff
	v_add_co_ci_u32_e64 v4, null, s17, v4, s2
	s_and_b32 s2, s3, exec_lo
	v_add_co_u32 v5, s2, s14, v5
	s_wait_alu 0xf1fe
	v_add_co_ci_u32_e64 v6, null, s15, v6, s2
	s_cselect_b32 s11, s41, s11
	s_cselect_b32 s10, s40, s10
.LBB79_41:                              ; =>This Inner Loop Header: Depth=1
	global_load_b64 v[9:10], v[5:6], off
	global_load_u16 v11, v[3:4], off
	v_add_co_u32 v5, s3, 0x800, v5
	s_wait_alu 0xf1ff
	v_add_co_ci_u32_e64 v6, null, 0, v6, s3
	s_wait_loadcnt 0x1
	v_sub_co_u32 v9, s2, v9, s38
	s_wait_alu 0xf1ff
	v_subrev_co_ci_u32_e64 v10, null, 0, v10, s2
	s_delay_alu instid0(VALU_DEP_1) | instskip(NEXT) | instid1(VALU_DEP_1)
	v_lshlrev_b64_e32 v[9:10], 1, v[9:10]
	v_add_co_u32 v9, s2, s18, v9
	s_wait_alu 0xf1ff
	s_delay_alu instid0(VALU_DEP_2)
	v_add_co_ci_u32_e64 v10, null, s19, v10, s2
	v_add_co_u32 v1, s2, 0x100, v1
	s_wait_alu 0xf1ff
	v_add_co_ci_u32_e64 v2, null, 0, v2, s2
	global_load_u16 v9, v[9:10], off
	s_wait_loadcnt 0x1
	v_lshlrev_b32_e32 v10, 16, v11
	v_add_co_u32 v3, s2, 0x200, v3
	s_wait_alu 0xf1ff
	v_add_co_ci_u32_e64 v4, null, 0, v4, s2
	s_delay_alu instid0(VALU_DEP_3)
	v_mul_f32_e32 v10, s36, v10
	s_wait_alu 0xfffe
	v_cmp_le_i64_e64 s2, s[10:11], v[1:2]
	s_or_b32 s37, s2, s37
	s_wait_loadcnt 0x0
	v_lshlrev_b32_e32 v9, 16, v9
	s_delay_alu instid0(VALU_DEP_1)
	v_fmac_f32_e32 v8, v10, v9
	s_wait_alu 0xfffe
	s_and_not1_b32 exec_lo, exec_lo, s37
	s_cbranch_execnz .LBB79_41
; %bb.42:
	s_or_b32 exec_lo, exec_lo, s37
.LBB79_43:
	s_delay_alu instid0(SALU_CYCLE_1)
	s_or_b32 exec_lo, exec_lo, s33
	v_lshlrev_b32_e32 v1, 2, v0
	s_mov_b32 s3, exec_lo
	ds_store_b32 v1, v8
	s_wait_storecnt 0x0
	s_wait_loadcnt_dscnt 0x0
	s_barrier_signal -1
	s_barrier_wait -1
	global_inv scope:SCOPE_SE
	v_cmpx_gt_u32_e32 0x80, v0
	s_cbranch_execz .LBB79_45
; %bb.44:
	ds_load_2addr_stride64_b32 v[2:3], v1 offset1:2
	s_wait_dscnt 0x0
	v_add_f32_e32 v2, v2, v3
	ds_store_b32 v1, v2
.LBB79_45:
	s_wait_alu 0xfffe
	s_or_b32 exec_lo, exec_lo, s3
	s_delay_alu instid0(SALU_CYCLE_1)
	s_mov_b32 s3, exec_lo
	s_wait_loadcnt_dscnt 0x0
	s_barrier_signal -1
	s_barrier_wait -1
	global_inv scope:SCOPE_SE
	v_cmpx_gt_u32_e32 64, v0
	s_cbranch_execz .LBB79_47
; %bb.46:
	ds_load_2addr_stride64_b32 v[2:3], v1 offset1:1
	s_wait_dscnt 0x0
	v_add_f32_e32 v2, v2, v3
	ds_store_b32 v1, v2
.LBB79_47:
	s_wait_alu 0xfffe
	s_or_b32 exec_lo, exec_lo, s3
	s_delay_alu instid0(SALU_CYCLE_1)
	s_mov_b32 s3, exec_lo
	s_wait_loadcnt_dscnt 0x0
	s_barrier_signal -1
	s_barrier_wait -1
	global_inv scope:SCOPE_SE
	v_cmpx_gt_u32_e32 32, v0
	s_cbranch_execz .LBB79_49
; %bb.48:
	ds_load_2addr_b32 v[2:3], v1 offset1:32
	s_wait_dscnt 0x0
	v_add_f32_e32 v2, v2, v3
	ds_store_b32 v1, v2
.LBB79_49:
	s_wait_alu 0xfffe
	s_or_b32 exec_lo, exec_lo, s3
	s_delay_alu instid0(SALU_CYCLE_1)
	s_mov_b32 s3, exec_lo
	s_wait_loadcnt_dscnt 0x0
	s_barrier_signal -1
	s_barrier_wait -1
	global_inv scope:SCOPE_SE
	v_cmpx_gt_u32_e32 16, v0
	s_cbranch_execz .LBB79_51
; %bb.50:
	ds_load_2addr_b32 v[2:3], v1 offset1:16
	s_wait_dscnt 0x0
	v_add_f32_e32 v2, v2, v3
	ds_store_b32 v1, v2
.LBB79_51:
	;; [unrolled: 16-line block ×5, first 2 shown]
	s_wait_alu 0xfffe
	s_or_b32 exec_lo, exec_lo, s3
	s_wait_loadcnt_dscnt 0x0
	s_barrier_signal -1
	s_barrier_wait -1
	global_inv scope:SCOPE_SE
	s_and_saveexec_b32 s2, vcc_lo
	s_cbranch_execz .LBB79_59
; %bb.58:
	v_mov_b32_e32 v3, 0
	ds_load_b64 v[1:2], v3
	s_wait_dscnt 0x0
	v_add_f32_e32 v1, v1, v2
	ds_store_b32 v3, v1
.LBB79_59:
	s_wait_alu 0xfffe
	s_or_b32 exec_lo, exec_lo, s2
	s_wait_loadcnt_dscnt 0x0
	s_barrier_signal -1
	s_barrier_wait -1
	global_inv scope:SCOPE_SE
	s_and_saveexec_b32 s10, vcc_lo
	s_cbranch_execz .LBB79_68
; %bb.60:
	s_and_not1_b32 vcc_lo, exec_lo, s25
	s_wait_alu 0xfffe
	s_cbranch_vccnz .LBB79_66
; %bb.61:
	v_mov_b32_e32 v1, 0
	s_lshl_b64 s[2:3], s[8:9], 2
	s_wait_alu 0xfffe
	s_add_nc_u64 s[2:3], s[6:7], s[2:3]
	s_branch .LBB79_63
.LBB79_62:                              ;   in Loop: Header=BB79_63 Depth=1
	s_wait_alu 0xfffe
	s_or_b32 exec_lo, exec_lo, s6
	s_wait_loadcnt 0x0
	v_readfirstlane_b32 s6, v2
	s_wait_alu 0xf1ff
	s_delay_alu instid0(VALU_DEP_1)
	v_cmp_eq_u32_e32 vcc_lo, s6, v7
	s_cbranch_vccz .LBB79_65
.LBB79_63:                              ; =>This Inner Loop Header: Depth=1
	v_mbcnt_lo_u32_b32 v2, exec_lo, 0
	s_delay_alu instid0(VALU_DEP_1)
	v_cmp_eq_u32_e32 vcc_lo, 0, v2
                                        ; implicit-def: $vgpr2
	s_and_saveexec_b32 s6, vcc_lo
	s_cbranch_execz .LBB79_62
; %bb.64:                               ;   in Loop: Header=BB79_63 Depth=1
	global_load_b32 v2, v1, s[2:3] scope:SCOPE_DEV
	s_branch .LBB79_62
.LBB79_65:
	v_mov_b32_e32 v1, 0
	global_load_u16 v2, v1, s[4:5]
	s_wait_loadcnt 0x0
	v_xor_b32_e32 v2, 1, v2
	global_store_b16 v1, v2, s[4:5]
.LBB79_66:
	s_mov_b32 s2, exec_lo
	s_wait_alu 0xfffe
	v_mbcnt_lo_u32_b32 v1, s2, 0
	s_delay_alu instid0(VALU_DEP_1)
	v_cmp_eq_u32_e32 vcc_lo, 0, v1
	s_and_b32 s3, exec_lo, vcc_lo
	s_wait_alu 0xfffe
	s_mov_b32 exec_lo, s3
	s_cbranch_execz .LBB79_68
; %bb.67:
	s_bcnt1_i32_b32 s2, s2
	s_wait_alu 0xfffe
	v_cvt_f32_ubyte0_e32 v3, s2
	v_mov_b32_e32 v1, 0
	s_lshl_b64 s[2:3], s[20:21], 2
	s_wait_alu 0xfffe
	s_add_nc_u64 s[2:3], s[26:27], s[2:3]
	ds_load_b32 v2, v1
	s_wait_dscnt 0x0
	v_mul_f32_e32 v2, v2, v3
	global_atomic_add_f32 v1, v2, s[2:3] scope:SCOPE_DEV
.LBB79_68:
	s_wait_alu 0xfffe
	s_or_b32 exec_lo, exec_lo, s10
.LBB79_69:
	s_mov_b32 s4, 0
.LBB79_70:
	s_delay_alu instid0(SALU_CYCLE_1)
	s_and_not1_b32 vcc_lo, exec_lo, s4
	s_wait_alu 0xfffe
	s_cbranch_vccnz .LBB79_114
; %bb.71:
	s_load_b64 s[0:1], s[0:1], 0x8
	v_sub_co_u32 v1, s2, v0, s38
	s_wait_alu 0xf1ff
	v_sub_co_ci_u32_e64 v2, null, 0, 0, s2
	s_mov_b32 s39, 0
	s_wait_kmcnt 0x0
	v_add_co_u32 v1, vcc_lo, s30, v1
	s_wait_alu 0xfffd
	v_add_co_ci_u32_e64 v2, null, s31, v2, vcc_lo
	s_delay_alu instid0(VALU_DEP_2) | instskip(SKIP_1) | instid1(VALU_DEP_2)
	v_add_co_u32 v3, vcc_lo, 0x300, v1
	s_wait_alu 0xfffd
	v_add_co_ci_u32_e64 v4, null, 0, v2, vcc_lo
	s_delay_alu instid0(VALU_DEP_1)
	v_cmp_le_i64_e32 vcc_lo, s[0:1], v[3:4]
	s_and_saveexec_b32 s0, vcc_lo
	s_wait_alu 0xfffe
	s_xor_b32 s1, exec_lo, s0
	s_cbranch_execz .LBB79_76
; %bb.72:
	s_lshl_b64 s[2:3], s[22:23], 3
	s_mov_b32 s4, exec_lo
	s_wait_alu 0xfffe
	s_add_nc_u64 s[2:3], s[12:13], s[2:3]
	s_load_b64 s[2:3], s[2:3], 0x0
	s_wait_kmcnt 0x0
	s_sub_nc_u64 s[2:3], s[2:3], s[38:39]
	s_wait_alu 0xfffe
	v_cmpx_gt_i64_e64 s[2:3], v[1:2]
	s_cbranch_execz .LBB79_75
; %bb.73:
	v_lshlrev_b64_e32 v[3:4], 1, v[1:2]
	v_lshlrev_b64_e32 v[5:6], 3, v[1:2]
	v_lshlrev_b32_e32 v7, 2, v0
	s_mov_b32 s5, 0
	s_delay_alu instid0(VALU_DEP_3)
	v_add_co_u32 v3, vcc_lo, s16, v3
	s_wait_alu 0xfffd
	v_add_co_ci_u32_e64 v4, null, s17, v4, vcc_lo
	v_add_co_u32 v5, vcc_lo, s14, v5
	s_wait_alu 0xfffd
	v_add_co_ci_u32_e64 v6, null, s15, v6, vcc_lo
.LBB79_74:                              ; =>This Inner Loop Header: Depth=1
	global_load_b64 v[8:9], v[5:6], off
	global_load_u16 v10, v[3:4], off
	s_wait_loadcnt 0x1
	v_sub_co_u32 v8, vcc_lo, v8, s38
	s_wait_alu 0xfffd
	v_subrev_co_ci_u32_e64 v9, null, 0, v9, vcc_lo
	s_delay_alu instid0(VALU_DEP_1) | instskip(NEXT) | instid1(VALU_DEP_1)
	v_lshlrev_b64_e32 v[8:9], 1, v[8:9]
	v_add_co_u32 v8, vcc_lo, s18, v8
	s_wait_alu 0xfffd
	s_delay_alu instid0(VALU_DEP_2)
	v_add_co_ci_u32_e64 v9, null, s19, v9, vcc_lo
	v_add_co_u32 v1, vcc_lo, 0x100, v1
	s_wait_alu 0xfffd
	v_add_co_ci_u32_e64 v2, null, 0, v2, vcc_lo
	global_load_u16 v8, v[8:9], off
	s_wait_loadcnt 0x1
	v_lshlrev_b32_e32 v9, 16, v10
	v_add_co_u32 v3, vcc_lo, 0x200, v3
	v_cmp_le_i64_e64 s0, s[2:3], v[1:2]
	s_wait_alu 0xfffd
	v_add_co_ci_u32_e64 v4, null, 0, v4, vcc_lo
	v_mul_f32_e32 v9, s36, v9
	v_add_co_u32 v5, vcc_lo, 0x800, v5
	s_wait_alu 0xfffd
	v_add_co_ci_u32_e64 v6, null, 0, v6, vcc_lo
	s_or_b32 s5, s0, s5
	s_wait_loadcnt 0x0
	v_lshlrev_b32_e32 v8, 16, v8
	s_delay_alu instid0(VALU_DEP_1)
	v_mul_f32_e32 v8, v9, v8
	ds_store_b32 v7, v8
	v_add_nc_u32_e32 v7, 0x400, v7
	s_and_not1_b32 exec_lo, exec_lo, s5
	s_cbranch_execnz .LBB79_74
.LBB79_75:
	s_or_b32 exec_lo, exec_lo, s4
                                        ; implicit-def: $vgpr1_vgpr2
.LBB79_76:
	s_wait_alu 0xfffe
	s_or_saveexec_b32 s0, s1
	v_lshlrev_b32_e32 v9, 2, v0
	s_wait_alu 0xfffe
	s_xor_b32 exec_lo, exec_lo, s0
	s_cbranch_execz .LBB79_78
; %bb.77:
	v_lshlrev_b64_e32 v[3:4], 3, v[1:2]
	v_lshlrev_b64_e32 v[1:2], 1, v[1:2]
	s_delay_alu instid0(VALU_DEP_2) | instskip(SKIP_1) | instid1(VALU_DEP_3)
	v_add_co_u32 v3, vcc_lo, s14, v3
	s_wait_alu 0xfffd
	v_add_co_ci_u32_e64 v4, null, s15, v4, vcc_lo
	s_delay_alu instid0(VALU_DEP_3)
	v_add_co_u32 v1, vcc_lo, s16, v1
	s_wait_alu 0xfffd
	v_add_co_ci_u32_e64 v2, null, s17, v2, vcc_lo
	s_clause 0x3
	global_load_b64 v[5:6], v[3:4], off
	global_load_b64 v[7:8], v[3:4], off offset:2048
	global_load_b64 v[10:11], v[3:4], off offset:4096
	global_load_b64 v[3:4], v[3:4], off offset:6144
	s_clause 0x3
	global_load_u16 v12, v[1:2], off
	global_load_u16 v13, v[1:2], off offset:512
	global_load_u16 v14, v[1:2], off offset:1024
	;; [unrolled: 1-line block ×3, first 2 shown]
	s_wait_loadcnt 0x7
	v_sub_co_u32 v5, vcc_lo, v5, s38
	s_wait_alu 0xfffd
	v_subrev_co_ci_u32_e64 v6, null, 0, v6, vcc_lo
	s_wait_loadcnt 0x6
	v_sub_co_u32 v7, vcc_lo, v7, s38
	s_wait_alu 0xfffd
	v_subrev_co_ci_u32_e64 v8, null, 0, v8, vcc_lo
	;; [unrolled: 4-line block ×3, first 2 shown]
	s_wait_loadcnt 0x4
	v_sub_co_u32 v3, vcc_lo, v3, s38
	v_lshlrev_b64_e32 v[5:6], 1, v[5:6]
	s_wait_alu 0xfffd
	v_subrev_co_ci_u32_e64 v4, null, 0, v4, vcc_lo
	v_lshlrev_b64_e32 v[1:2], 1, v[7:8]
	v_lshlrev_b64_e32 v[7:8], 1, v[10:11]
	s_delay_alu instid0(VALU_DEP_3)
	v_lshlrev_b64_e32 v[3:4], 1, v[3:4]
	v_add_co_u32 v5, vcc_lo, s18, v5
	s_wait_alu 0xfffd
	v_add_co_ci_u32_e64 v6, null, s19, v6, vcc_lo
	v_add_co_u32 v1, vcc_lo, s18, v1
	s_wait_alu 0xfffd
	v_add_co_ci_u32_e64 v2, null, s19, v2, vcc_lo
	;; [unrolled: 3-line block ×4, first 2 shown]
	s_clause 0x3
	global_load_u16 v5, v[5:6], off
	global_load_u16 v1, v[1:2], off
	global_load_u16 v2, v[7:8], off
	global_load_u16 v3, v[3:4], off
	s_wait_loadcnt 0x5
	v_lshlrev_b32_e32 v7, 16, v14
	s_delay_alu instid0(VALU_DEP_1) | instskip(SKIP_1) | instid1(VALU_DEP_1)
	v_dual_mul_f32 v7, s36, v7 :: v_dual_lshlrev_b32 v4, 16, v12
	s_wait_loadcnt 0x3
	v_dual_mul_f32 v4, s36, v4 :: v_dual_lshlrev_b32 v5, 16, v5
	s_wait_loadcnt 0x1
	v_lshlrev_b32_e32 v2, 16, v2
	v_lshlrev_b32_e32 v1, 16, v1
	s_wait_loadcnt 0x0
	v_dual_mul_f32 v4, v4, v5 :: v_dual_lshlrev_b32 v3, 16, v3
	s_delay_alu instid0(VALU_DEP_3) | instskip(SKIP_1) | instid1(VALU_DEP_1)
	v_mul_f32_e32 v2, v7, v2
	v_lshlrev_b32_e32 v8, 16, v15
	v_mul_f32_e32 v8, s36, v8
	s_delay_alu instid0(VALU_DEP_1) | instskip(NEXT) | instid1(VALU_DEP_1)
	v_dual_mul_f32 v3, v8, v3 :: v_dual_lshlrev_b32 v6, 16, v13
	v_mul_f32_e32 v6, s36, v6
	s_delay_alu instid0(VALU_DEP_1)
	v_mul_f32_e32 v1, v6, v1
	ds_store_2addr_stride64_b32 v9, v4, v1 offset1:4
	ds_store_2addr_stride64_b32 v9, v2, v3 offset0:8 offset1:12
.LBB79_78:
	s_or_b32 exec_lo, exec_lo, s0
	v_cmp_lt_i64_e64 s0, s[28:29], 2
	s_wait_storecnt 0x0
	s_wait_loadcnt_dscnt 0x0
	s_barrier_signal -1
	s_barrier_wait -1
	global_inv scope:SCOPE_SE
	s_and_b32 vcc_lo, exec_lo, s0
	s_mov_b32 s0, -1
	s_wait_alu 0xfffe
	s_cbranch_vccz .LBB79_89
; %bb.79:
	v_add_co_u32 v5, s0, s20, v0
	s_wait_alu 0xf1ff
	v_add_co_ci_u32_e64 v6, null, s21, 0, s0
	s_mov_b32 s1, exec_lo
	v_cmpx_gt_i64_e64 s[22:23], v[5:6]
	s_cbranch_execz .LBB79_88
; %bb.80:
	s_cmp_neq_f32 s24, 0
	s_mov_b32 s3, 0
	s_cselect_b32 s2, -1, 0
	s_lshl_b32 s0, s30, 2
	s_wait_alu 0xfffe
	s_sub_co_i32 s4, 0, s0
	s_branch .LBB79_82
.LBB79_81:                              ;   in Loop: Header=BB79_82 Depth=1
	v_add_co_u32 v5, vcc_lo, 0x100, v5
	s_wait_alu 0xfffd
	v_add_co_ci_u32_e64 v6, null, 0, v6, vcc_lo
	v_add_co_u32 v1, s0, s26, v1
	s_wait_alu 0xf1ff
	v_add_co_ci_u32_e64 v2, null, s27, v2, s0
	s_delay_alu instid0(VALU_DEP_3)
	v_cmp_le_i64_e32 vcc_lo, s[22:23], v[5:6]
	global_store_b32 v[1:2], v10, off
	s_or_b32 s3, vcc_lo, s3
	s_wait_alu 0xfffe
	s_and_not1_b32 exec_lo, exec_lo, s3
	s_cbranch_execz .LBB79_88
.LBB79_82:                              ; =>This Loop Header: Depth=1
                                        ;     Child Loop BB79_84 Depth 2
	v_lshlrev_b64_e32 v[1:2], 3, v[5:6]
	v_mov_b32_e32 v10, 0
	s_mov_b32 s0, exec_lo
	s_delay_alu instid0(VALU_DEP_2) | instskip(SKIP_1) | instid1(VALU_DEP_3)
	v_add_co_u32 v1, vcc_lo, s12, v1
	s_wait_alu 0xfffd
	v_add_co_ci_u32_e64 v2, null, s13, v2, vcc_lo
	global_load_b128 v[1:4], v[1:2], off
	s_wait_loadcnt 0x0
	v_cmpx_lt_i64_e64 v[1:2], v[3:4]
	s_cbranch_execz .LBB79_86
; %bb.83:                               ;   in Loop: Header=BB79_82 Depth=1
	v_sub_co_u32 v3, vcc_lo, v3, s30
	s_wait_alu 0xfffd
	v_subrev_co_ci_u32_e64 v4, null, s31, v4, vcc_lo
	v_sub_co_u32 v7, vcc_lo, v1, s30
	s_wait_alu 0xfffd
	v_subrev_co_ci_u32_e64 v8, null, s31, v2, vcc_lo
	v_lshl_add_u32 v1, v1, 2, s4
	v_mov_b32_e32 v10, 0
	s_mov_b32 s5, 0
.LBB79_84:                              ;   Parent Loop BB79_82 Depth=1
                                        ; =>  This Inner Loop Header: Depth=2
	ds_load_b32 v2, v1
	v_add_co_u32 v7, vcc_lo, v7, 1
	s_wait_alu 0xfffd
	v_add_co_ci_u32_e64 v8, null, 0, v8, vcc_lo
	v_add_nc_u32_e32 v1, 4, v1
	s_delay_alu instid0(VALU_DEP_2)
	v_cmp_ge_i64_e32 vcc_lo, v[7:8], v[3:4]
	s_wait_alu 0xfffe
	s_or_b32 s5, vcc_lo, s5
	s_wait_dscnt 0x0
	v_add_f32_e32 v10, v10, v2
	s_wait_alu 0xfffe
	s_and_not1_b32 exec_lo, exec_lo, s5
	s_cbranch_execnz .LBB79_84
; %bb.85:                               ;   in Loop: Header=BB79_82 Depth=1
	s_or_b32 exec_lo, exec_lo, s5
.LBB79_86:                              ;   in Loop: Header=BB79_82 Depth=1
	s_wait_alu 0xfffe
	s_or_b32 exec_lo, exec_lo, s0
	v_lshlrev_b64_e32 v[1:2], 2, v[5:6]
	s_and_b32 vcc_lo, exec_lo, s2
	s_wait_alu 0xfffe
	s_cbranch_vccz .LBB79_81
; %bb.87:                               ;   in Loop: Header=BB79_82 Depth=1
	s_delay_alu instid0(VALU_DEP_1)
	v_add_co_u32 v3, vcc_lo, s26, v1
	s_wait_alu 0xfffd
	v_add_co_ci_u32_e64 v4, null, s27, v2, vcc_lo
	global_load_b32 v3, v[3:4], off
	s_wait_loadcnt 0x0
	v_fmac_f32_e32 v10, s24, v3
	s_branch .LBB79_81
.LBB79_88:
	s_wait_alu 0xfffe
	s_or_b32 exec_lo, exec_lo, s1
	s_mov_b32 s0, 0
.LBB79_89:
	s_wait_alu 0xfffe
	s_and_not1_b32 vcc_lo, exec_lo, s0
	s_wait_alu 0xfffe
	s_cbranch_vccnz .LBB79_114
; %bb.90:
	s_clz_i32_u32 s0, s28
	s_mov_b32 s1, exec_lo
	s_wait_alu 0xfffe
	s_min_u32 s0, s0, 32
	s_wait_alu 0xfffe
	s_sub_co_i32 s0, 31, s0
	s_wait_alu 0xfffe
	v_lshrrev_b32_e32 v5, s0, v0
	s_delay_alu instid0(VALU_DEP_1)
	v_add_co_u32 v1, s0, s20, v5
	s_wait_alu 0xf1ff
	v_add_co_ci_u32_e64 v2, null, s21, 0, s0
	s_add_co_i32 s0, s28, -1
	s_wait_alu 0xfffe
	v_dual_mov_b32 v4, 0 :: v_dual_and_b32 v3, s0, v0
	v_cmp_le_i64_e64 s0, s[22:23], v[1:2]
	s_delay_alu instid0(VALU_DEP_2)
	v_mov_b32_e32 v0, v4
	v_cmpx_gt_i64_e64 s[22:23], v[1:2]
	s_cbranch_execz .LBB79_96
; %bb.91:
	v_lshlrev_b32_e32 v0, 3, v5
	global_load_b128 v[10:13], v0, s[34:35]
	v_sub_co_u32 v0, s2, v3, s30
	s_wait_alu 0xf1ff
	v_sub_co_ci_u32_e64 v8, null, 0, s31, s2
	s_mov_b32 s2, exec_lo
	s_wait_loadcnt 0x0
	v_sub_co_u32 v5, vcc_lo, v12, s30
	s_wait_alu 0xfffd
	v_subrev_co_ci_u32_e64 v6, null, s31, v13, vcc_lo
	v_add_co_u32 v7, vcc_lo, v10, v0
	s_wait_alu 0xfffd
	v_add_co_ci_u32_e64 v8, null, v11, v8, vcc_lo
	v_mov_b32_e32 v0, 0
	s_delay_alu instid0(VALU_DEP_2)
	v_cmpx_lt_i64_e64 v[7:8], v[5:6]
	s_cbranch_execz .LBB79_95
; %bb.92:
	v_lshlrev_b32_e32 v10, 2, v7
	v_mov_b32_e32 v0, 0
	s_lshl_b32 s4, s28, 2
	s_mov_b32 s3, 0
.LBB79_93:                              ; =>This Inner Loop Header: Depth=1
	ds_load_b32 v11, v10
	v_add_co_u32 v7, vcc_lo, v7, s28
	s_wait_alu 0xfffd
	v_add_co_ci_u32_e64 v8, null, s29, v8, vcc_lo
	s_wait_alu 0xfffe
	v_add_nc_u32_e32 v10, s4, v10
	s_delay_alu instid0(VALU_DEP_2)
	v_cmp_ge_i64_e32 vcc_lo, v[7:8], v[5:6]
	s_or_b32 s3, vcc_lo, s3
	s_wait_dscnt 0x0
	v_add_f32_e32 v0, v0, v11
	s_wait_alu 0xfffe
	s_and_not1_b32 exec_lo, exec_lo, s3
	s_cbranch_execnz .LBB79_93
; %bb.94:
	s_or_b32 exec_lo, exec_lo, s3
.LBB79_95:
	s_wait_alu 0xfffe
	s_or_b32 exec_lo, exec_lo, s2
.LBB79_96:
	s_delay_alu instid0(SALU_CYCLE_1)
	s_or_b32 exec_lo, exec_lo, s1
	v_cmp_gt_u64_e64 s1, 0x81, s[28:29]
	s_wait_loadcnt 0x0
	s_wait_storecnt 0x0
	s_barrier_signal -1
	s_barrier_wait -1
	global_inv scope:SCOPE_SE
	ds_store_b32 v9, v0
	s_and_b32 vcc_lo, exec_lo, s1
	s_wait_loadcnt_dscnt 0x0
	s_barrier_signal -1
	s_barrier_wait -1
	global_inv scope:SCOPE_SE
	s_wait_alu 0xfffe
	s_cbranch_vccnz .LBB79_98
; %bb.97:
	ds_load_b32 v5, v9 offset:512
	s_wait_loadcnt_dscnt 0x0
	s_barrier_signal -1
	s_barrier_wait -1
	global_inv scope:SCOPE_SE
	v_add_f32_e32 v0, v0, v5
	ds_store_b32 v9, v0
.LBB79_98:
	v_cmp_gt_u64_e64 s1, 0x41, s[28:29]
	s_wait_loadcnt_dscnt 0x0
	s_barrier_signal -1
	s_barrier_wait -1
	global_inv scope:SCOPE_SE
	s_and_b32 vcc_lo, exec_lo, s1
	s_wait_alu 0xfffe
	s_cbranch_vccnz .LBB79_100
; %bb.99:
	ds_load_b32 v5, v9 offset:256
	s_wait_loadcnt_dscnt 0x0
	s_barrier_signal -1
	s_barrier_wait -1
	global_inv scope:SCOPE_SE
	v_add_f32_e32 v0, v0, v5
	ds_store_b32 v9, v0
.LBB79_100:
	v_cmp_lt_u64_e64 s1, s[28:29], 33
	s_wait_loadcnt_dscnt 0x0
	s_barrier_signal -1
	s_barrier_wait -1
	global_inv scope:SCOPE_SE
	s_and_b32 vcc_lo, exec_lo, s1
	s_wait_alu 0xfffe
	s_cbranch_vccnz .LBB79_102
; %bb.101:
	ds_load_b32 v5, v9 offset:128
	s_wait_loadcnt_dscnt 0x0
	s_barrier_signal -1
	s_barrier_wait -1
	global_inv scope:SCOPE_SE
	v_add_f32_e32 v0, v0, v5
	ds_store_b32 v9, v0
.LBB79_102:
	v_cmp_lt_u64_e64 s1, s[28:29], 17
	;; [unrolled: 17-line block ×4, first 2 shown]
	s_wait_loadcnt_dscnt 0x0
	s_barrier_signal -1
	s_barrier_wait -1
	global_inv scope:SCOPE_SE
	s_and_b32 vcc_lo, exec_lo, s1
	s_wait_alu 0xfffe
	s_cbranch_vccnz .LBB79_108
; %bb.107:
	ds_load_b32 v5, v9 offset:16
	s_wait_loadcnt_dscnt 0x0
	s_barrier_signal -1
	s_barrier_wait -1
	global_inv scope:SCOPE_SE
	v_add_f32_e32 v0, v0, v5
	ds_store_b32 v9, v0
.LBB79_108:
	s_cmp_eq_u64 s[28:29], 2
	s_wait_loadcnt_dscnt 0x0
	s_barrier_signal -1
	s_barrier_wait -1
	global_inv scope:SCOPE_SE
	s_cbranch_scc1 .LBB79_110
; %bb.109:
	ds_load_b32 v5, v9 offset:8
	s_wait_loadcnt_dscnt 0x0
	s_barrier_signal -1
	s_barrier_wait -1
	global_inv scope:SCOPE_SE
	v_add_f32_e32 v0, v0, v5
	ds_store_b32 v9, v0
.LBB79_110:
	s_wait_loadcnt_dscnt 0x0
	s_barrier_signal -1
	s_barrier_wait -1
	global_inv scope:SCOPE_SE
	ds_load_b32 v5, v9 offset:4
	v_cmp_eq_u64_e32 vcc_lo, 0, v[3:4]
	s_xor_b32 s0, s0, -1
	s_wait_loadcnt_dscnt 0x0
	s_barrier_signal -1
	s_barrier_wait -1
	global_inv scope:SCOPE_SE
	s_wait_alu 0xfffe
	s_and_b32 s0, vcc_lo, s0
	v_add_f32_e32 v3, v0, v5
	ds_store_b32 v9, v3
	s_wait_alu 0xfffe
	s_and_saveexec_b32 s1, s0
	s_cbranch_execz .LBB79_114
; %bb.111:
	v_lshlrev_b64_e32 v[0:1], 2, v[1:2]
	s_cmp_eq_f32 s24, 0
	s_cbranch_scc1 .LBB79_113
; %bb.112:
	s_delay_alu instid0(VALU_DEP_1) | instskip(SKIP_1) | instid1(VALU_DEP_2)
	v_add_co_u32 v4, vcc_lo, s26, v0
	s_wait_alu 0xfffd
	v_add_co_ci_u32_e64 v5, null, s27, v1, vcc_lo
	global_load_b32 v2, v[4:5], off
	s_wait_loadcnt 0x0
	v_fmac_f32_e32 v3, s24, v2
.LBB79_113:
	s_delay_alu instid0(VALU_DEP_1) | instskip(SKIP_1) | instid1(VALU_DEP_2)
	v_add_co_u32 v0, vcc_lo, s26, v0
	s_wait_alu 0xfffd
	v_add_co_ci_u32_e64 v1, null, s27, v1, vcc_lo
	global_store_b32 v[0:1], v3, off
.LBB79_114:
	s_endpgm
	.section	.rodata,"a",@progbits
	.p2align	6, 0x0
	.amdhsa_kernel _ZN9rocsparseL22csrmvn_adaptive_kernelIll18rocsparse_bfloat16S1_ffEEvbT_PKS2_PjPKT0_NS_24const_host_device_scalarIT4_EES4_S8_PKT1_PKT2_SB_PT3_21rocsparse_index_base_b
		.amdhsa_group_segment_fixed_size 4096
		.amdhsa_private_segment_fixed_size 0
		.amdhsa_kernarg_size 104
		.amdhsa_user_sgpr_count 2
		.amdhsa_user_sgpr_dispatch_ptr 0
		.amdhsa_user_sgpr_queue_ptr 0
		.amdhsa_user_sgpr_kernarg_segment_ptr 1
		.amdhsa_user_sgpr_dispatch_id 0
		.amdhsa_user_sgpr_private_segment_size 0
		.amdhsa_wavefront_size32 1
		.amdhsa_uses_dynamic_stack 0
		.amdhsa_enable_private_segment 0
		.amdhsa_system_sgpr_workgroup_id_x 1
		.amdhsa_system_sgpr_workgroup_id_y 0
		.amdhsa_system_sgpr_workgroup_id_z 0
		.amdhsa_system_sgpr_workgroup_info 0
		.amdhsa_system_vgpr_workitem_id 0
		.amdhsa_next_free_vgpr 16
		.amdhsa_next_free_sgpr 48
		.amdhsa_reserve_vcc 1
		.amdhsa_float_round_mode_32 0
		.amdhsa_float_round_mode_16_64 0
		.amdhsa_float_denorm_mode_32 3
		.amdhsa_float_denorm_mode_16_64 3
		.amdhsa_fp16_overflow 0
		.amdhsa_workgroup_processor_mode 1
		.amdhsa_memory_ordered 1
		.amdhsa_forward_progress 1
		.amdhsa_inst_pref_size 44
		.amdhsa_round_robin_scheduling 0
		.amdhsa_exception_fp_ieee_invalid_op 0
		.amdhsa_exception_fp_denorm_src 0
		.amdhsa_exception_fp_ieee_div_zero 0
		.amdhsa_exception_fp_ieee_overflow 0
		.amdhsa_exception_fp_ieee_underflow 0
		.amdhsa_exception_fp_ieee_inexact 0
		.amdhsa_exception_int_div_zero 0
	.end_amdhsa_kernel
	.section	.text._ZN9rocsparseL22csrmvn_adaptive_kernelIll18rocsparse_bfloat16S1_ffEEvbT_PKS2_PjPKT0_NS_24const_host_device_scalarIT4_EES4_S8_PKT1_PKT2_SB_PT3_21rocsparse_index_base_b,"axG",@progbits,_ZN9rocsparseL22csrmvn_adaptive_kernelIll18rocsparse_bfloat16S1_ffEEvbT_PKS2_PjPKT0_NS_24const_host_device_scalarIT4_EES4_S8_PKT1_PKT2_SB_PT3_21rocsparse_index_base_b,comdat
.Lfunc_end79:
	.size	_ZN9rocsparseL22csrmvn_adaptive_kernelIll18rocsparse_bfloat16S1_ffEEvbT_PKS2_PjPKT0_NS_24const_host_device_scalarIT4_EES4_S8_PKT1_PKT2_SB_PT3_21rocsparse_index_base_b, .Lfunc_end79-_ZN9rocsparseL22csrmvn_adaptive_kernelIll18rocsparse_bfloat16S1_ffEEvbT_PKS2_PjPKT0_NS_24const_host_device_scalarIT4_EES4_S8_PKT1_PKT2_SB_PT3_21rocsparse_index_base_b
                                        ; -- End function
	.set _ZN9rocsparseL22csrmvn_adaptive_kernelIll18rocsparse_bfloat16S1_ffEEvbT_PKS2_PjPKT0_NS_24const_host_device_scalarIT4_EES4_S8_PKT1_PKT2_SB_PT3_21rocsparse_index_base_b.num_vgpr, 16
	.set _ZN9rocsparseL22csrmvn_adaptive_kernelIll18rocsparse_bfloat16S1_ffEEvbT_PKS2_PjPKT0_NS_24const_host_device_scalarIT4_EES4_S8_PKT1_PKT2_SB_PT3_21rocsparse_index_base_b.num_agpr, 0
	.set _ZN9rocsparseL22csrmvn_adaptive_kernelIll18rocsparse_bfloat16S1_ffEEvbT_PKS2_PjPKT0_NS_24const_host_device_scalarIT4_EES4_S8_PKT1_PKT2_SB_PT3_21rocsparse_index_base_b.numbered_sgpr, 48
	.set _ZN9rocsparseL22csrmvn_adaptive_kernelIll18rocsparse_bfloat16S1_ffEEvbT_PKS2_PjPKT0_NS_24const_host_device_scalarIT4_EES4_S8_PKT1_PKT2_SB_PT3_21rocsparse_index_base_b.num_named_barrier, 0
	.set _ZN9rocsparseL22csrmvn_adaptive_kernelIll18rocsparse_bfloat16S1_ffEEvbT_PKS2_PjPKT0_NS_24const_host_device_scalarIT4_EES4_S8_PKT1_PKT2_SB_PT3_21rocsparse_index_base_b.private_seg_size, 0
	.set _ZN9rocsparseL22csrmvn_adaptive_kernelIll18rocsparse_bfloat16S1_ffEEvbT_PKS2_PjPKT0_NS_24const_host_device_scalarIT4_EES4_S8_PKT1_PKT2_SB_PT3_21rocsparse_index_base_b.uses_vcc, 1
	.set _ZN9rocsparseL22csrmvn_adaptive_kernelIll18rocsparse_bfloat16S1_ffEEvbT_PKS2_PjPKT0_NS_24const_host_device_scalarIT4_EES4_S8_PKT1_PKT2_SB_PT3_21rocsparse_index_base_b.uses_flat_scratch, 0
	.set _ZN9rocsparseL22csrmvn_adaptive_kernelIll18rocsparse_bfloat16S1_ffEEvbT_PKS2_PjPKT0_NS_24const_host_device_scalarIT4_EES4_S8_PKT1_PKT2_SB_PT3_21rocsparse_index_base_b.has_dyn_sized_stack, 0
	.set _ZN9rocsparseL22csrmvn_adaptive_kernelIll18rocsparse_bfloat16S1_ffEEvbT_PKS2_PjPKT0_NS_24const_host_device_scalarIT4_EES4_S8_PKT1_PKT2_SB_PT3_21rocsparse_index_base_b.has_recursion, 0
	.set _ZN9rocsparseL22csrmvn_adaptive_kernelIll18rocsparse_bfloat16S1_ffEEvbT_PKS2_PjPKT0_NS_24const_host_device_scalarIT4_EES4_S8_PKT1_PKT2_SB_PT3_21rocsparse_index_base_b.has_indirect_call, 0
	.section	.AMDGPU.csdata,"",@progbits
; Kernel info:
; codeLenInByte = 5584
; TotalNumSgprs: 50
; NumVgprs: 16
; ScratchSize: 0
; MemoryBound: 0
; FloatMode: 240
; IeeeMode: 1
; LDSByteSize: 4096 bytes/workgroup (compile time only)
; SGPRBlocks: 0
; VGPRBlocks: 1
; NumSGPRsForWavesPerEU: 50
; NumVGPRsForWavesPerEU: 16
; Occupancy: 16
; WaveLimiterHint : 1
; COMPUTE_PGM_RSRC2:SCRATCH_EN: 0
; COMPUTE_PGM_RSRC2:USER_SGPR: 2
; COMPUTE_PGM_RSRC2:TRAP_HANDLER: 0
; COMPUTE_PGM_RSRC2:TGID_X_EN: 1
; COMPUTE_PGM_RSRC2:TGID_Y_EN: 0
; COMPUTE_PGM_RSRC2:TGID_Z_EN: 0
; COMPUTE_PGM_RSRC2:TIDIG_COMP_CNT: 0
	.section	.text._ZN9rocsparseL27csrmvn_symm_adaptive_kernelIll18rocsparse_bfloat16S1_ffEEvbT_S2_PKS2_NS_24const_host_device_scalarIT4_EES4_PKT0_PKT1_PKT2_S7_PT3_21rocsparse_index_base_b,"axG",@progbits,_ZN9rocsparseL27csrmvn_symm_adaptive_kernelIll18rocsparse_bfloat16S1_ffEEvbT_S2_PKS2_NS_24const_host_device_scalarIT4_EES4_PKT0_PKT1_PKT2_S7_PT3_21rocsparse_index_base_b,comdat
	.globl	_ZN9rocsparseL27csrmvn_symm_adaptive_kernelIll18rocsparse_bfloat16S1_ffEEvbT_S2_PKS2_NS_24const_host_device_scalarIT4_EES4_PKT0_PKT1_PKT2_S7_PT3_21rocsparse_index_base_b ; -- Begin function _ZN9rocsparseL27csrmvn_symm_adaptive_kernelIll18rocsparse_bfloat16S1_ffEEvbT_S2_PKS2_NS_24const_host_device_scalarIT4_EES4_PKT0_PKT1_PKT2_S7_PT3_21rocsparse_index_base_b
	.p2align	8
	.type	_ZN9rocsparseL27csrmvn_symm_adaptive_kernelIll18rocsparse_bfloat16S1_ffEEvbT_S2_PKS2_NS_24const_host_device_scalarIT4_EES4_PKT0_PKT1_PKT2_S7_PT3_21rocsparse_index_base_b,@function
_ZN9rocsparseL27csrmvn_symm_adaptive_kernelIll18rocsparse_bfloat16S1_ffEEvbT_S2_PKS2_NS_24const_host_device_scalarIT4_EES4_PKT0_PKT1_PKT2_S7_PT3_21rocsparse_index_base_b: ; @_ZN9rocsparseL27csrmvn_symm_adaptive_kernelIll18rocsparse_bfloat16S1_ffEEvbT_S2_PKS2_NS_24const_host_device_scalarIT4_EES4_PKT0_PKT1_PKT2_S7_PT3_21rocsparse_index_base_b
; %bb.0:
	s_clause 0x2
	s_load_b64 s[24:25], s[0:1], 0x58
	s_load_b64 s[30:31], s[0:1], 0x20
	;; [unrolled: 1-line block ×3, first 2 shown]
	s_wait_kmcnt 0x0
	s_bitcmp1_b32 s25, 0
	s_cselect_b32 s4, -1, 0
	s_delay_alu instid0(SALU_CYCLE_1)
	s_and_b32 vcc_lo, exec_lo, s4
	s_xor_b32 s4, s4, -1
	s_cbranch_vccnz .LBB80_2
; %bb.1:
	s_load_b32 s30, s[30:31], 0x0
.LBB80_2:
	s_and_not1_b32 vcc_lo, exec_lo, s4
	s_cbranch_vccnz .LBB80_4
; %bb.3:
	s_load_b32 s2, s[2:3], 0x0
.LBB80_4:
	s_wait_kmcnt 0x0
	s_cmp_neq_f32 s30, 0
	s_cselect_b32 s3, -1, 0
	s_cmp_neq_f32 s2, 1.0
	s_cselect_b32 s2, -1, 0
	s_delay_alu instid0(SALU_CYCLE_1) | instskip(NEXT) | instid1(SALU_CYCLE_1)
	s_or_b32 s2, s3, s2
	s_and_not1_b32 vcc_lo, exec_lo, s2
	s_cbranch_vccnz .LBB80_134
; %bb.5:
	s_load_b64 s[4:5], s[0:1], 0x18
	s_mov_b32 s2, ttmp9
	s_ashr_i32 s3, ttmp9, 31
	v_dual_mov_b32 v1, 0 :: v_dual_lshlrev_b32 v14, 2, v0
	s_lshl_b64 s[2:3], s[2:3], 3
	ds_store_2addr_stride64_b32 v14, v1, v1 offset1:4
	ds_store_2addr_stride64_b32 v14, v1, v1 offset0:8 offset1:12
	s_wait_dscnt 0x0
	s_barrier_signal -1
	s_barrier_wait -1
	global_inv scope:SCOPE_SE
	s_wait_kmcnt 0x0
	s_add_nc_u64 s[2:3], s[4:5], s[2:3]
	s_load_b128 s[16:19], s[2:3], 0x0
	s_clause 0x1
	s_load_b256 s[8:15], s[0:1], 0x28
	s_load_b64 s[20:21], s[0:1], 0x50
	s_wait_kmcnt 0x0
	s_sub_nc_u64 s[22:23], s[18:19], s[16:17]
	s_delay_alu instid0(SALU_CYCLE_1)
	v_cmp_gt_i64_e64 s2, s[22:23], 2
	s_and_b32 vcc_lo, exec_lo, s2
	s_mov_b32 s2, -1
	s_cbranch_vccnz .LBB80_36
; %bb.6:
	v_cmp_le_i64_e64 s2, s[18:19], s[16:17]
	v_sub_co_u32 v7, s3, v0, s24
	s_delay_alu instid0(VALU_DEP_1)
	v_sub_co_ci_u32_e64 v8, null, 0, 0, s3
	s_mov_b32 s25, 0
	s_and_b32 vcc_lo, exec_lo, s2
	s_cbranch_vccnz .LBB80_26
; %bb.7:
	v_cmp_gt_u32_e64 s2, 0x100, v0
	v_cmp_gt_u32_e64 s3, 64, v0
	;; [unrolled: 1-line block ×4, first 2 shown]
	v_cmp_eq_u32_e64 s6, 0, v0
	v_mov_b32_e32 v9, 0
	s_mov_b64 s[26:27], s[16:17]
	s_branch .LBB80_9
.LBB80_8:                               ;   in Loop: Header=BB80_9 Depth=1
	s_wait_alu 0xfffe
	s_or_b32 exec_lo, exec_lo, s7
	s_add_nc_u64 s[26:27], s[26:27], 1
	s_wait_alu 0xfffe
	v_cmp_ge_i64_e64 s7, s[26:27], s[18:19]
	s_and_b32 vcc_lo, exec_lo, s7
	s_wait_alu 0xfffe
	s_cbranch_vccnz .LBB80_26
.LBB80_9:                               ; =>This Loop Header: Depth=1
                                        ;     Child Loop BB80_11 Depth 2
	s_lshl_b64 s[28:29], s[26:27], 3
	v_mov_b32_e32 v10, 0
	s_wait_alu 0xfffe
	s_add_nc_u64 s[28:29], s[8:9], s[28:29]
	s_mov_b32 s31, exec_lo
	s_load_b128 s[36:39], s[28:29], 0x0
	s_wait_kmcnt 0x0
	v_add_co_u32 v1, vcc_lo, s36, v7
	s_wait_alu 0xfffd
	v_add_co_ci_u32_e64 v2, null, s37, v8, vcc_lo
	s_sub_nc_u64 s[28:29], s[38:39], s[24:25]
	s_wait_alu 0xfffe
	v_cmpx_gt_i64_e64 s[28:29], v[1:2]
	s_cbranch_execz .LBB80_13
; %bb.10:                               ;   in Loop: Header=BB80_9 Depth=1
	v_lshlrev_b64_e32 v[3:4], 3, v[1:2]
	v_lshlrev_b64_e32 v[5:6], 1, v[1:2]
	v_mov_b32_e32 v10, 0
	s_mov_b32 s33, 0
	s_delay_alu instid0(VALU_DEP_3)
	v_add_co_u32 v3, vcc_lo, s10, v3
	s_wait_alu 0xfffd
	v_add_co_ci_u32_e64 v4, null, s11, v4, vcc_lo
	v_add_co_u32 v5, vcc_lo, s12, v5
	s_wait_alu 0xfffd
	v_add_co_ci_u32_e64 v6, null, s13, v6, vcc_lo
.LBB80_11:                              ;   Parent Loop BB80_9 Depth=1
                                        ; =>  This Inner Loop Header: Depth=2
	global_load_b64 v[11:12], v[3:4], off
	s_wait_loadcnt 0x0
	v_sub_co_u32 v11, vcc_lo, v11, s24
	s_wait_alu 0xfffd
	v_subrev_co_ci_u32_e64 v12, null, 0, v12, vcc_lo
	s_delay_alu instid0(VALU_DEP_1) | instskip(NEXT) | instid1(VALU_DEP_1)
	v_lshlrev_b64_e32 v[11:12], 1, v[11:12]
	v_add_co_u32 v11, vcc_lo, s14, v11
	s_wait_alu 0xfffd
	s_delay_alu instid0(VALU_DEP_2)
	v_add_co_ci_u32_e64 v12, null, s15, v12, vcc_lo
	v_add_co_u32 v1, vcc_lo, 0x100, v1
	global_load_u16 v13, v[5:6], off
	global_load_u16 v11, v[11:12], off
	s_wait_alu 0xfffd
	v_add_co_ci_u32_e64 v2, null, 0, v2, vcc_lo
	v_add_co_u32 v3, vcc_lo, 0x800, v3
	s_wait_alu 0xfffd
	v_add_co_ci_u32_e64 v4, null, 0, v4, vcc_lo
	s_delay_alu instid0(VALU_DEP_3)
	v_cmp_le_i64_e32 vcc_lo, s[28:29], v[1:2]
	v_add_co_u32 v5, s7, 0x200, v5
	s_wait_alu 0xf1ff
	v_add_co_ci_u32_e64 v6, null, 0, v6, s7
	s_or_b32 s33, vcc_lo, s33
	s_wait_loadcnt 0x1
	v_lshlrev_b32_e32 v12, 16, v13
	s_wait_loadcnt 0x0
	v_lshlrev_b32_e32 v11, 16, v11
	s_delay_alu instid0(VALU_DEP_1)
	v_fmac_f32_e32 v10, v12, v11
	s_and_not1_b32 exec_lo, exec_lo, s33
	s_cbranch_execnz .LBB80_11
; %bb.12:                               ;   in Loop: Header=BB80_9 Depth=1
	s_or_b32 exec_lo, exec_lo, s33
.LBB80_13:                              ;   in Loop: Header=BB80_9 Depth=1
	s_delay_alu instid0(SALU_CYCLE_1)
	s_or_b32 exec_lo, exec_lo, s31
	ds_store_b32 v14, v10
	s_wait_loadcnt_dscnt 0x0
	s_barrier_signal -1
	s_barrier_wait -1
	global_inv scope:SCOPE_SE
	s_and_saveexec_b32 s7, s2
	s_cbranch_execz .LBB80_15
; %bb.14:                               ;   in Loop: Header=BB80_9 Depth=1
	ds_load_2addr_stride64_b32 v[1:2], v14 offset1:4
	ds_load_2addr_stride64_b32 v[3:4], v14 offset0:8 offset1:12
	s_wait_dscnt 0x0
	v_add_f32_e32 v2, v2, v3
	s_delay_alu instid0(VALU_DEP_1) | instskip(NEXT) | instid1(VALU_DEP_1)
	v_add_f32_e32 v2, v2, v4
	v_add_f32_e32 v1, v1, v2
	ds_store_b32 v14, v1
.LBB80_15:                              ;   in Loop: Header=BB80_9 Depth=1
	s_wait_alu 0xfffe
	s_or_b32 exec_lo, exec_lo, s7
	s_wait_loadcnt_dscnt 0x0
	s_barrier_signal -1
	s_barrier_wait -1
	global_inv scope:SCOPE_SE
	s_and_saveexec_b32 s7, s3
	s_cbranch_execz .LBB80_17
; %bb.16:                               ;   in Loop: Header=BB80_9 Depth=1
	ds_load_2addr_stride64_b32 v[1:2], v14 offset1:1
	ds_load_2addr_stride64_b32 v[3:4], v14 offset0:2 offset1:3
	s_wait_dscnt 0x0
	v_add_f32_e32 v2, v2, v3
	s_delay_alu instid0(VALU_DEP_1) | instskip(NEXT) | instid1(VALU_DEP_1)
	v_add_f32_e32 v2, v2, v4
	v_add_f32_e32 v1, v1, v2
	ds_store_b32 v14, v1
.LBB80_17:                              ;   in Loop: Header=BB80_9 Depth=1
	s_wait_alu 0xfffe
	s_or_b32 exec_lo, exec_lo, s7
	s_wait_loadcnt_dscnt 0x0
	s_barrier_signal -1
	s_barrier_wait -1
	global_inv scope:SCOPE_SE
	s_and_saveexec_b32 s7, s4
	s_cbranch_execz .LBB80_19
; %bb.18:                               ;   in Loop: Header=BB80_9 Depth=1
	ds_load_2addr_b32 v[1:2], v14 offset1:16
	ds_load_2addr_b32 v[3:4], v14 offset0:32 offset1:48
	s_wait_dscnt 0x0
	v_add_f32_e32 v2, v2, v3
	s_delay_alu instid0(VALU_DEP_1) | instskip(NEXT) | instid1(VALU_DEP_1)
	v_add_f32_e32 v2, v2, v4
	v_add_f32_e32 v1, v1, v2
	ds_store_b32 v14, v1
.LBB80_19:                              ;   in Loop: Header=BB80_9 Depth=1
	s_wait_alu 0xfffe
	s_or_b32 exec_lo, exec_lo, s7
	s_wait_loadcnt_dscnt 0x0
	s_barrier_signal -1
	s_barrier_wait -1
	global_inv scope:SCOPE_SE
	s_and_saveexec_b32 s7, s5
	s_cbranch_execz .LBB80_21
; %bb.20:                               ;   in Loop: Header=BB80_9 Depth=1
	ds_load_2addr_b32 v[1:2], v14 offset1:4
	ds_load_2addr_b32 v[3:4], v14 offset0:8 offset1:12
	s_wait_dscnt 0x0
	v_add_f32_e32 v2, v2, v3
	s_delay_alu instid0(VALU_DEP_1) | instskip(NEXT) | instid1(VALU_DEP_1)
	v_add_f32_e32 v2, v2, v4
	v_add_f32_e32 v1, v1, v2
	ds_store_b32 v14, v1
.LBB80_21:                              ;   in Loop: Header=BB80_9 Depth=1
	s_wait_alu 0xfffe
	s_or_b32 exec_lo, exec_lo, s7
	s_wait_loadcnt_dscnt 0x0
	s_barrier_signal -1
	s_barrier_wait -1
	global_inv scope:SCOPE_SE
	s_and_saveexec_b32 s7, s6
	s_cbranch_execz .LBB80_23
; %bb.22:                               ;   in Loop: Header=BB80_9 Depth=1
	ds_load_2addr_b32 v[1:2], v9 offset0:1 offset1:2
	ds_load_b32 v3, v9 offset:12
	ds_load_b32 v4, v14
	s_wait_dscnt 0x2
	v_add_f32_e32 v1, v1, v2
	s_wait_dscnt 0x1
	s_delay_alu instid0(VALU_DEP_1) | instskip(SKIP_1) | instid1(VALU_DEP_1)
	v_add_f32_e32 v1, v1, v3
	s_wait_dscnt 0x0
	v_add_f32_e32 v1, v4, v1
	ds_store_b32 v14, v1
.LBB80_23:                              ;   in Loop: Header=BB80_9 Depth=1
	s_wait_alu 0xfffe
	s_or_b32 exec_lo, exec_lo, s7
	s_wait_loadcnt_dscnt 0x0
	s_barrier_signal -1
	s_barrier_wait -1
	global_inv scope:SCOPE_SE
	s_and_saveexec_b32 s7, s6
	s_cbranch_execz .LBB80_8
; %bb.24:                               ;   in Loop: Header=BB80_9 Depth=1
	s_mov_b32 s28, exec_lo
	s_wait_alu 0xfffe
	v_mbcnt_lo_u32_b32 v1, s28, 0
	s_delay_alu instid0(VALU_DEP_1)
	v_cmp_eq_u32_e32 vcc_lo, 0, v1
	s_and_b32 s29, exec_lo, vcc_lo
	s_wait_alu 0xfffe
	s_mov_b32 exec_lo, s29
	s_cbranch_execz .LBB80_8
; %bb.25:                               ;   in Loop: Header=BB80_9 Depth=1
	ds_load_b32 v1, v9
	s_bcnt1_i32_b32 s28, s28
	s_wait_alu 0xfffe
	v_cvt_f32_ubyte0_e32 v2, s28
	s_lshl_b64 s[28:29], s[26:27], 2
	s_wait_alu 0xfffe
	s_add_nc_u64 s[28:29], s[20:21], s[28:29]
	s_wait_dscnt 0x0
	v_mul_f32_e32 v1, s30, v1
	s_delay_alu instid0(VALU_DEP_1)
	v_mul_f32_e32 v1, v1, v2
	global_atomic_add_f32 v9, v1, s[28:29] scope:SCOPE_DEV
	s_branch .LBB80_8
.LBB80_26:
	s_lshl_b64 s[2:3], s[16:17], 3
	s_lshl_b64 s[4:5], s[18:19], 3
	s_wait_alu 0xfffe
	s_add_nc_u64 s[2:3], s[8:9], s[2:3]
	s_add_nc_u64 s[4:5], s[8:9], s[4:5]
	s_clause 0x1
	s_load_b64 s[2:3], s[2:3], 0x0
	s_load_b64 s[4:5], s[4:5], 0x0
	s_wait_kmcnt 0x0
	v_add_co_u32 v1, vcc_lo, s2, v7
	s_wait_alu 0xfffd
	v_add_co_ci_u32_e64 v2, null, s3, v8, vcc_lo
	s_sub_nc_u64 s[4:5], s[4:5], s[24:25]
	s_mov_b32 s3, exec_lo
	v_cmpx_gt_i64_e64 s[4:5], v[1:2]
	s_cbranch_execz .LBB80_35
; %bb.27:
	s_add_nc_u64 s[6:7], s[18:19], -1
	s_add_nc_u64 s[26:27], s[18:19], -2
	s_wait_alu 0xfffe
	v_cmp_lt_i64_e64 s2, s[16:17], s[6:7]
	s_cmp_lg_u64 s[16:17], s[26:27]
	s_mov_b32 s26, 0
	s_cselect_b32 s25, -1, 0
	s_wait_alu 0xfffe
	s_and_b32 s25, s2, s25
	s_branch .LBB80_29
.LBB80_28:                              ;   in Loop: Header=BB80_29 Depth=1
	s_wait_alu 0xfffe
	s_or_b32 exec_lo, exec_lo, s2
	v_add_co_u32 v1, vcc_lo, 0x100, v1
	s_wait_alu 0xfffd
	v_add_co_ci_u32_e64 v2, null, 0, v2, vcc_lo
	s_delay_alu instid0(VALU_DEP_1)
	v_cmp_le_i64_e32 vcc_lo, s[4:5], v[1:2]
	s_or_b32 s26, vcc_lo, s26
	s_wait_alu 0xfffe
	s_and_not1_b32 exec_lo, exec_lo, s26
	s_cbranch_execz .LBB80_35
.LBB80_29:                              ; =>This Loop Header: Depth=1
                                        ;     Child Loop BB80_31 Depth 2
	v_dual_mov_b32 v3, s16 :: v_dual_mov_b32 v4, s17
	v_dual_mov_b32 v5, s6 :: v_dual_mov_b32 v6, s7
	s_wait_alu 0xfffe
	s_and_not1_b32 vcc_lo, exec_lo, s25
	s_wait_alu 0xfffe
	s_cbranch_vccnz .LBB80_33
; %bb.30:                               ;   in Loop: Header=BB80_29 Depth=1
	v_dual_mov_b32 v3, s16 :: v_dual_mov_b32 v4, s17
	v_dual_mov_b32 v5, s6 :: v_dual_mov_b32 v6, s7
	s_mov_b32 s27, 0
.LBB80_31:                              ;   Parent Loop BB80_29 Depth=1
                                        ; =>  This Inner Loop Header: Depth=2
	s_delay_alu instid0(VALU_DEP_1) | instskip(SKIP_1) | instid1(VALU_DEP_2)
	v_add_co_u32 v7, vcc_lo, v5, v3
	s_wait_alu 0xfffd
	v_add_co_ci_u32_e64 v8, null, v6, v4, vcc_lo
	s_delay_alu instid0(VALU_DEP_1) | instskip(NEXT) | instid1(VALU_DEP_1)
	v_lshrrev_b32_e32 v9, 31, v8
	v_add_co_u32 v7, vcc_lo, v7, v9
	s_wait_alu 0xfffd
	v_add_co_ci_u32_e64 v8, null, 0, v8, vcc_lo
	s_delay_alu instid0(VALU_DEP_1) | instskip(NEXT) | instid1(VALU_DEP_1)
	v_ashrrev_i64 v[7:8], 1, v[7:8]
	v_lshlrev_b64_e32 v[9:10], 3, v[7:8]
	s_delay_alu instid0(VALU_DEP_1) | instskip(SKIP_1) | instid1(VALU_DEP_2)
	v_add_co_u32 v9, vcc_lo, s8, v9
	s_wait_alu 0xfffd
	v_add_co_ci_u32_e64 v10, null, s9, v10, vcc_lo
	global_load_b64 v[9:10], v[9:10], off
	s_wait_loadcnt 0x0
	v_sub_co_u32 v9, vcc_lo, v9, s24
	s_wait_alu 0xfffd
	v_subrev_co_ci_u32_e64 v10, null, 0, v10, vcc_lo
	s_delay_alu instid0(VALU_DEP_1) | instskip(SKIP_3) | instid1(VALU_DEP_2)
	v_cmp_lt_i64_e32 vcc_lo, v[1:2], v[9:10]
	s_wait_alu 0xfffd
	v_dual_cndmask_b32 v6, v6, v8 :: v_dual_cndmask_b32 v5, v5, v7
	v_dual_cndmask_b32 v4, v8, v4 :: v_dual_cndmask_b32 v3, v7, v3
	v_add_co_u32 v7, vcc_lo, v5, -1
	s_wait_alu 0xfffd
	s_delay_alu instid0(VALU_DEP_3) | instskip(NEXT) | instid1(VALU_DEP_3)
	v_add_co_ci_u32_e64 v8, null, -1, v6, vcc_lo
	v_cmp_ge_i64_e32 vcc_lo, v[3:4], v[5:6]
	s_delay_alu instid0(VALU_DEP_2)
	v_cmp_eq_u64_e64 s2, v[3:4], v[7:8]
	s_or_b32 s2, vcc_lo, s2
	s_wait_alu 0xfffe
	s_and_b32 s2, exec_lo, s2
	s_wait_alu 0xfffe
	s_or_b32 s27, s2, s27
	s_wait_alu 0xfffe
	s_and_not1_b32 exec_lo, exec_lo, s27
	s_cbranch_execnz .LBB80_31
; %bb.32:                               ;   in Loop: Header=BB80_29 Depth=1
	s_or_b32 exec_lo, exec_lo, s27
.LBB80_33:                              ;   in Loop: Header=BB80_29 Depth=1
	v_lshlrev_b64_e32 v[7:8], 3, v[5:6]
	v_lshlrev_b64_e32 v[9:10], 3, v[1:2]
	s_mov_b32 s2, exec_lo
	s_delay_alu instid0(VALU_DEP_2) | instskip(SKIP_1) | instid1(VALU_DEP_3)
	v_add_co_u32 v7, vcc_lo, s8, v7
	s_wait_alu 0xfffd
	v_add_co_ci_u32_e64 v8, null, s9, v8, vcc_lo
	s_delay_alu instid0(VALU_DEP_3)
	v_add_co_u32 v9, vcc_lo, s10, v9
	s_wait_alu 0xfffd
	v_add_co_ci_u32_e64 v10, null, s11, v10, vcc_lo
	global_load_b64 v[7:8], v[7:8], off
	global_load_b64 v[9:10], v[9:10], off
	s_wait_loadcnt 0x1
	v_sub_co_u32 v7, vcc_lo, v7, s24
	s_wait_alu 0xfffd
	v_subrev_co_ci_u32_e64 v8, null, 0, v8, vcc_lo
	s_delay_alu instid0(VALU_DEP_1)
	v_cmp_lt_i64_e32 vcc_lo, v[1:2], v[7:8]
	s_wait_alu 0xfffd
	v_dual_cndmask_b32 v6, v6, v4 :: v_dual_cndmask_b32 v5, v5, v3
	s_wait_loadcnt 0x0
	v_sub_co_u32 v3, vcc_lo, v9, s24
	s_wait_alu 0xfffd
	v_subrev_co_ci_u32_e64 v4, null, 0, v10, vcc_lo
	s_delay_alu instid0(VALU_DEP_1)
	v_cmpx_ne_u64_e64 v[3:4], v[5:6]
	s_cbranch_execz .LBB80_28
; %bb.34:                               ;   in Loop: Header=BB80_29 Depth=1
	v_lshlrev_b64_e32 v[7:8], 1, v[1:2]
	v_lshlrev_b64_e32 v[5:6], 1, v[5:6]
	;; [unrolled: 1-line block ×3, first 2 shown]
	s_delay_alu instid0(VALU_DEP_3) | instskip(SKIP_1) | instid1(VALU_DEP_4)
	v_add_co_u32 v7, vcc_lo, s12, v7
	s_wait_alu 0xfffd
	v_add_co_ci_u32_e64 v8, null, s13, v8, vcc_lo
	s_delay_alu instid0(VALU_DEP_4)
	v_add_co_u32 v5, vcc_lo, s14, v5
	s_wait_alu 0xfffd
	v_add_co_ci_u32_e64 v6, null, s15, v6, vcc_lo
	global_load_u16 v7, v[7:8], off
	v_add_co_u32 v3, vcc_lo, s20, v3
	global_load_u16 v5, v[5:6], off
	s_wait_alu 0xfffd
	v_add_co_ci_u32_e64 v4, null, s21, v4, vcc_lo
	s_wait_loadcnt 0x1
	v_lshlrev_b32_e32 v6, 16, v7
	s_wait_loadcnt 0x0
	s_delay_alu instid0(VALU_DEP_1) | instskip(NEXT) | instid1(VALU_DEP_1)
	v_dual_mul_f32 v6, s30, v6 :: v_dual_lshlrev_b32 v5, 16, v5
	v_mul_f32_e32 v5, v6, v5
	global_atomic_add_f32 v[3:4], v5, off scope:SCOPE_DEV
	s_branch .LBB80_28
.LBB80_35:
	s_wait_alu 0xfffe
	s_or_b32 exec_lo, exec_lo, s3
	s_mov_b32 s2, 0
.LBB80_36:
	s_wait_alu 0xfffe
	s_and_b32 vcc_lo, exec_lo, s2
	s_wait_alu 0xfffe
	s_cbranch_vccz .LBB80_134
; %bb.37:
	s_load_b32 s2, s[0:1], 0x6c
	s_mov_b32 s25, 0
	s_mov_b64 s[28:29], 0
	s_wait_alu 0xfffe
	s_mov_b32 s7, s25
	s_wait_kmcnt 0x0
	s_and_b32 s6, s2, 0xffff
	s_wait_alu 0xfffe
	v_cmp_lt_u64_e64 s2, s[6:7], s[22:23]
	s_and_b32 vcc_lo, exec_lo, s2
	s_wait_alu 0xfffe
	s_cbranch_vccnz .LBB80_39
; %bb.38:
	v_cvt_f32_u32_e32 v1, s22
	s_sub_co_i32 s3, 0, s22
	s_delay_alu instid0(VALU_DEP_1) | instskip(NEXT) | instid1(TRANS32_DEP_1)
	v_rcp_iflag_f32_e32 v1, v1
	v_mul_f32_e32 v1, 0x4f7ffffe, v1
	s_delay_alu instid0(VALU_DEP_1) | instskip(NEXT) | instid1(VALU_DEP_1)
	v_cvt_u32_f32_e32 v1, v1
	v_readfirstlane_b32 s2, v1
	s_wait_alu 0xfffe
	s_mul_i32 s3, s3, s2
	s_wait_alu 0xfffe
	s_mul_hi_u32 s3, s2, s3
	s_wait_alu 0xfffe
	s_add_co_i32 s2, s2, s3
	s_wait_alu 0xfffe
	s_mul_hi_u32 s2, s6, s2
	s_wait_alu 0xfffe
	s_mul_i32 s3, s2, s22
	s_add_co_i32 s4, s2, 1
	s_wait_alu 0xfffe
	s_sub_co_i32 s3, s6, s3
	s_wait_alu 0xfffe
	s_sub_co_i32 s5, s3, s22
	s_cmp_ge_u32 s3, s22
	s_cselect_b32 s2, s4, s2
	s_wait_alu 0xfffe
	s_cselect_b32 s3, s5, s3
	s_add_co_i32 s4, s2, 1
	s_wait_alu 0xfffe
	s_cmp_ge_u32 s3, s22
	s_cselect_b32 s28, s4, s2
.LBB80_39:
	s_lshl_b64 s[2:3], s[16:17], 3
	v_sub_co_u32 v1, s7, v0, s24
	s_wait_alu 0xfffe
	s_add_nc_u64 s[26:27], s[8:9], s[2:3]
	s_load_b64 s[4:5], s[26:27], 0x0
	s_load_b128 s[0:3], s[0:1], 0x8
	v_sub_co_ci_u32_e64 v2, null, 0, 0, s7
	s_wait_kmcnt 0x0
	v_add_co_u32 v4, vcc_lo, s4, v1
	s_wait_alu 0xfffd
	s_delay_alu instid0(VALU_DEP_2) | instskip(SKIP_1) | instid1(VALU_DEP_3)
	v_add_co_ci_u32_e64 v5, null, s5, v2, vcc_lo
	v_mov_b32_e32 v1, 0
	v_add_co_u32 v2, vcc_lo, 0x300, v4
	s_wait_alu 0xfffd
	s_delay_alu instid0(VALU_DEP_3) | instskip(NEXT) | instid1(VALU_DEP_1)
	v_add_co_ci_u32_e64 v3, null, 0, v5, vcc_lo
	v_cmp_le_i64_e32 vcc_lo, s[0:1], v[2:3]
	s_and_saveexec_b32 s0, vcc_lo
	s_wait_alu 0xfffe
	s_xor_b32 s7, exec_lo, s0
	s_cbranch_execz .LBB80_44
; %bb.40:
	s_lshl_b64 s[0:1], s[18:19], 3
	s_mov_b32 s29, exec_lo
	s_wait_alu 0xfffe
	s_add_nc_u64 s[0:1], s[8:9], s[0:1]
	s_load_b64 s[0:1], s[0:1], 0x0
	s_wait_kmcnt 0x0
	s_sub_nc_u64 s[34:35], s[0:1], s[4:5]
	s_delay_alu instid0(SALU_CYCLE_1)
	v_cmpx_gt_i64_e64 s[34:35], v[0:1]
	s_cbranch_execz .LBB80_43
; %bb.41:
	v_lshlrev_b64_e32 v[6:7], 1, v[4:5]
	v_dual_mov_b32 v10, v14 :: v_dual_mov_b32 v9, v1
	v_mov_b32_e32 v8, v0
	s_mov_b32 s31, 0
	s_delay_alu instid0(VALU_DEP_3)
	v_add_co_u32 v6, s0, s12, v6
	s_wait_alu 0xf1ff
	v_add_co_ci_u32_e64 v7, null, s13, v7, s0
.LBB80_42:                              ; =>This Inner Loop Header: Depth=1
	global_load_u16 v11, v[6:7], off
	v_add_co_u32 v8, s0, 0x100, v8
	s_wait_alu 0xf1ff
	v_add_co_ci_u32_e64 v9, null, 0, v9, s0
	v_add_co_u32 v6, s0, 0x200, v6
	s_wait_alu 0xf1ff
	v_add_co_ci_u32_e64 v7, null, 0, v7, s0
	s_delay_alu instid0(VALU_DEP_3) | instskip(SKIP_4) | instid1(VALU_DEP_1)
	v_cmp_le_i64_e64 s1, s[34:35], v[8:9]
	s_wait_alu 0xfffe
	s_or_b32 s31, s1, s31
	s_wait_loadcnt 0x0
	v_lshlrev_b32_e32 v11, 16, v11
	v_mul_f32_e32 v11, s30, v11
	ds_store_b32 v10, v11
	v_add_nc_u32_e32 v10, 0x400, v10
	s_wait_alu 0xfffe
	s_and_not1_b32 exec_lo, exec_lo, s31
	s_cbranch_execnz .LBB80_42
.LBB80_43:
	s_or_b32 exec_lo, exec_lo, s29
.LBB80_44:
	s_wait_alu 0xfffe
	s_and_not1_saveexec_b32 s1, s7
	s_cbranch_execz .LBB80_46
; %bb.45:
	v_lshlrev_b64_e32 v[6:7], 1, v[4:5]
	s_delay_alu instid0(VALU_DEP_1) | instskip(SKIP_1) | instid1(VALU_DEP_2)
	v_add_co_u32 v6, s0, s12, v6
	s_wait_alu 0xf1ff
	v_add_co_ci_u32_e64 v7, null, s13, v7, s0
	s_clause 0x3
	global_load_u16 v8, v[6:7], off
	global_load_u16 v9, v[6:7], off offset:512
	global_load_u16 v10, v[6:7], off offset:1024
	;; [unrolled: 1-line block ×3, first 2 shown]
	s_wait_loadcnt 0x0
	v_lshlrev_b32_e32 v6, 16, v6
	s_delay_alu instid0(VALU_DEP_1) | instskip(NEXT) | instid1(VALU_DEP_1)
	v_dual_mul_f32 v6, s30, v6 :: v_dual_lshlrev_b32 v7, 16, v8
	v_dual_mul_f32 v7, s30, v7 :: v_dual_lshlrev_b32 v8, 16, v9
	s_delay_alu instid0(VALU_DEP_1) | instskip(NEXT) | instid1(VALU_DEP_1)
	v_dual_mul_f32 v8, s30, v8 :: v_dual_lshlrev_b32 v9, 16, v10
	v_mul_f32_e32 v9, s30, v9
	ds_store_2addr_stride64_b32 v14, v7, v8 offset1:4
	ds_store_2addr_stride64_b32 v14, v9, v6 offset0:8 offset1:12
.LBB80_46:
	s_wait_alu 0xfffe
	s_or_b32 exec_lo, exec_lo, s1
	v_lshl_add_u32 v15, v0, 2, 0x1000
	s_mov_b32 s1, exec_lo
	v_cmpx_gt_i64_e64 s[2:3], v[0:1]
	s_cbranch_execz .LBB80_49
; %bb.47:
	v_mov_b32_e32 v7, v1
	v_lshl_add_u32 v8, v0, 2, 0x1000
	v_dual_mov_b32 v9, 0 :: v_dual_mov_b32 v6, v0
	s_mov_b32 s7, 0
.LBB80_48:                              ; =>This Inner Loop Header: Depth=1
	s_delay_alu instid0(VALU_DEP_1)
	v_add_co_u32 v6, s0, 0x100, v6
	s_wait_alu 0xf1ff
	v_add_co_ci_u32_e64 v7, null, 0, v7, s0
	ds_store_b32 v8, v9
	v_add_nc_u32_e32 v8, 0x400, v8
	v_cmp_le_i64_e64 s0, s[2:3], v[6:7]
	s_wait_alu 0xfffe
	s_or_b32 s7, s0, s7
	s_wait_alu 0xfffe
	s_and_not1_b32 exec_lo, exec_lo, s7
	s_cbranch_execnz .LBB80_48
.LBB80_49:
	s_wait_alu 0xfffe
	s_or_b32 exec_lo, exec_lo, s1
	v_cmp_ge_i64_e64 s7, s[18:19], s[2:3]
	s_sub_nc_u64 s[0:1], s[18:19], s[2:3]
	s_wait_storecnt 0x0
	s_wait_loadcnt_dscnt 0x0
	s_barrier_signal -1
	s_barrier_wait -1
	global_inv scope:SCOPE_SE
	s_and_b32 s7, s7, exec_lo
	s_wait_alu 0xfffe
	s_cselect_b32 s13, s1, 0
	s_cselect_b32 s12, s0, 0
	s_and_saveexec_b32 s0, vcc_lo
	s_wait_alu 0xfffe
	s_xor_b32 s7, exec_lo, s0
	s_cbranch_execz .LBB80_63
; %bb.50:
	s_lshl_b64 s[0:1], s[18:19], 3
	s_mov_b32 s29, exec_lo
	s_wait_alu 0xfffe
	s_add_nc_u64 s[0:1], s[8:9], s[0:1]
	s_load_b64 s[0:1], s[0:1], 0x0
	s_wait_kmcnt 0x0
	s_sub_nc_u64 s[30:31], s[0:1], s[4:5]
	s_wait_alu 0xfffe
	v_cmpx_gt_i64_e64 s[30:31], v[0:1]
	s_cbranch_execz .LBB80_62
; %bb.51:
	s_add_nc_u64 s[34:35], s[18:19], -2
	s_sub_nc_u64 s[36:37], s[0:1], s[24:25]
	s_wait_alu 0xfffe
	s_cmp_lg_u64 s[16:17], s[34:35]
	s_add_nc_u64 s[34:35], s[18:19], -1
	s_cselect_b32 s33, -1, 0
	s_mov_b64 s[38:39], 0
	s_mov_b32 s1, 0
	s_branch .LBB80_53
.LBB80_52:                              ;   in Loop: Header=BB80_53 Depth=1
	s_or_b32 exec_lo, exec_lo, s40
	s_add_nc_u64 s[38:39], s[38:39], 0x100
	s_wait_alu 0xfffe
	v_add_co_u32 v2, s0, s38, v0
	s_wait_alu 0xf1ff
	v_add_co_ci_u32_e64 v3, null, s39, 0, s0
	s_delay_alu instid0(VALU_DEP_1)
	v_cmp_le_i64_e32 vcc_lo, s[30:31], v[2:3]
	s_or_b32 s1, vcc_lo, s1
	s_wait_alu 0xfffe
	s_and_not1_b32 exec_lo, exec_lo, s1
	s_cbranch_execz .LBB80_62
.LBB80_53:                              ; =>This Loop Header: Depth=1
                                        ;     Child Loop BB80_55 Depth 2
	v_add_co_u32 v2, vcc_lo, s38, v4
	s_wait_alu 0xfffd
	v_add_co_ci_u32_e64 v3, null, s39, v5, vcc_lo
	v_dual_mov_b32 v6, s16 :: v_dual_mov_b32 v7, s17
	s_wait_alu 0xfffe
	v_dual_mov_b32 v8, s34 :: v_dual_mov_b32 v9, s35
	s_and_not1_b32 vcc_lo, exec_lo, s33
	s_wait_alu 0xfffe
	s_cbranch_vccnz .LBB80_57
; %bb.54:                               ;   in Loop: Header=BB80_53 Depth=1
	v_dual_mov_b32 v6, s16 :: v_dual_mov_b32 v7, s17
	v_dual_mov_b32 v8, s34 :: v_dual_mov_b32 v9, s35
	s_mov_b32 s40, 0
.LBB80_55:                              ;   Parent Loop BB80_53 Depth=1
                                        ; =>  This Inner Loop Header: Depth=2
	s_delay_alu instid0(VALU_DEP_1) | instskip(SKIP_1) | instid1(VALU_DEP_2)
	v_add_co_u32 v10, vcc_lo, v8, v6
	s_wait_alu 0xfffd
	v_add_co_ci_u32_e64 v11, null, v9, v7, vcc_lo
	s_delay_alu instid0(VALU_DEP_1) | instskip(NEXT) | instid1(VALU_DEP_1)
	v_lshrrev_b32_e32 v12, 31, v11
	v_add_co_u32 v10, vcc_lo, v10, v12
	s_wait_alu 0xfffd
	v_add_co_ci_u32_e64 v11, null, 0, v11, vcc_lo
	s_delay_alu instid0(VALU_DEP_1) | instskip(NEXT) | instid1(VALU_DEP_1)
	v_ashrrev_i64 v[10:11], 1, v[10:11]
	v_lshlrev_b64_e32 v[12:13], 3, v[10:11]
	s_delay_alu instid0(VALU_DEP_1) | instskip(SKIP_1) | instid1(VALU_DEP_2)
	v_add_co_u32 v12, vcc_lo, s8, v12
	s_wait_alu 0xfffd
	v_add_co_ci_u32_e64 v13, null, s9, v13, vcc_lo
	global_load_b64 v[12:13], v[12:13], off
	s_wait_loadcnt 0x0
	v_sub_co_u32 v12, vcc_lo, v12, s24
	s_wait_alu 0xfffd
	v_subrev_co_ci_u32_e64 v13, null, 0, v13, vcc_lo
	s_delay_alu instid0(VALU_DEP_1) | instskip(SKIP_3) | instid1(VALU_DEP_2)
	v_cmp_lt_i64_e32 vcc_lo, v[2:3], v[12:13]
	s_wait_alu 0xfffd
	v_dual_cndmask_b32 v9, v9, v11 :: v_dual_cndmask_b32 v8, v8, v10
	v_dual_cndmask_b32 v7, v11, v7 :: v_dual_cndmask_b32 v6, v10, v6
	v_add_co_u32 v10, vcc_lo, v8, -1
	s_wait_alu 0xfffd
	s_delay_alu instid0(VALU_DEP_3) | instskip(NEXT) | instid1(VALU_DEP_3)
	v_add_co_ci_u32_e64 v11, null, -1, v9, vcc_lo
	v_cmp_ge_i64_e32 vcc_lo, v[6:7], v[8:9]
	s_delay_alu instid0(VALU_DEP_2)
	v_cmp_eq_u64_e64 s0, v[6:7], v[10:11]
	s_or_b32 s0, vcc_lo, s0
	s_wait_alu 0xfffe
	s_and_b32 s0, exec_lo, s0
	s_wait_alu 0xfffe
	s_or_b32 s40, s0, s40
	s_delay_alu instid0(SALU_CYCLE_1)
	s_and_not1_b32 exec_lo, exec_lo, s40
	s_cbranch_execnz .LBB80_55
; %bb.56:                               ;   in Loop: Header=BB80_53 Depth=1
	s_or_b32 exec_lo, exec_lo, s40
.LBB80_57:                              ;   in Loop: Header=BB80_53 Depth=1
	s_delay_alu instid0(VALU_DEP_1) | instskip(SKIP_1) | instid1(VALU_DEP_2)
	v_lshlrev_b64_e32 v[10:11], 3, v[8:9]
	v_lshlrev_b64_e32 v[12:13], 3, v[2:3]
	v_add_co_u32 v10, vcc_lo, s8, v10
	s_wait_alu 0xfffd
	s_delay_alu instid0(VALU_DEP_3) | instskip(NEXT) | instid1(VALU_DEP_3)
	v_add_co_ci_u32_e64 v11, null, s9, v11, vcc_lo
	v_add_co_u32 v12, vcc_lo, s10, v12
	s_wait_alu 0xfffd
	v_add_co_ci_u32_e64 v13, null, s11, v13, vcc_lo
	global_load_b64 v[10:11], v[10:11], off
	global_load_b64 v[12:13], v[12:13], off
	s_wait_loadcnt 0x1
	v_sub_co_u32 v10, vcc_lo, v10, s24
	s_wait_alu 0xfffd
	v_subrev_co_ci_u32_e64 v11, null, 0, v11, vcc_lo
	s_delay_alu instid0(VALU_DEP_1)
	v_cmp_lt_i64_e32 vcc_lo, v[2:3], v[10:11]
	s_wait_loadcnt 0x0
	v_sub_co_u32 v10, s0, v12, s24
	s_wait_alu 0xf1ff
	v_subrev_co_ci_u32_e64 v11, null, 0, v13, s0
	v_cmp_gt_i64_e64 s0, s[36:37], v[2:3]
	s_wait_alu 0xfffd
	v_dual_cndmask_b32 v7, v9, v7 :: v_dual_cndmask_b32 v6, v8, v6
	s_delay_alu instid0(VALU_DEP_1)
	v_cmp_ne_u64_e32 vcc_lo, v[10:11], v[6:7]
	s_and_b32 s0, vcc_lo, s0
	s_wait_alu 0xfffe
	s_and_saveexec_b32 s40, s0
	s_cbranch_execz .LBB80_52
; %bb.58:                               ;   in Loop: Header=BB80_53 Depth=1
	v_add_co_u32 v8, null, s38, v0
	v_cmp_gt_i64_e32 vcc_lo, s[12:13], v[10:11]
	v_cmp_le_i64_e64 s0, s[18:19], v[10:11]
	v_lshlrev_b64_e32 v[2:3], 1, v[6:7]
	s_delay_alu instid0(VALU_DEP_4) | instskip(SKIP_3) | instid1(SALU_CYCLE_1)
	v_lshlrev_b32_e32 v6, 2, v8
	s_or_b32 s0, vcc_lo, s0
	s_wait_alu 0xfffe
	s_and_saveexec_b32 s41, s0
	s_xor_b32 s0, exec_lo, s41
	s_cbranch_execz .LBB80_60
; %bb.59:                               ;   in Loop: Header=BB80_53 Depth=1
	v_add_co_u32 v2, vcc_lo, s14, v2
	s_wait_alu 0xfffd
	v_add_co_ci_u32_e64 v3, null, s15, v3, vcc_lo
	ds_load_b32 v6, v6
	global_load_u16 v7, v[2:3], off
	v_lshlrev_b64_e32 v[2:3], 2, v[10:11]
                                        ; implicit-def: $vgpr10
	s_delay_alu instid0(VALU_DEP_1) | instskip(SKIP_1) | instid1(VALU_DEP_2)
	v_add_co_u32 v2, vcc_lo, s20, v2
	s_wait_alu 0xfffd
	v_add_co_ci_u32_e64 v3, null, s21, v3, vcc_lo
	s_wait_loadcnt 0x0
	v_lshlrev_b32_e32 v7, 16, v7
	s_wait_dscnt 0x0
	s_delay_alu instid0(VALU_DEP_1)
	v_mul_f32_e32 v6, v6, v7
	global_atomic_add_f32 v[2:3], v6, off scope:SCOPE_DEV
                                        ; implicit-def: $vgpr6
                                        ; implicit-def: $vgpr2_vgpr3
.LBB80_60:                              ;   in Loop: Header=BB80_53 Depth=1
	s_wait_alu 0xfffe
	s_and_not1_saveexec_b32 s0, s0
	s_cbranch_execz .LBB80_52
; %bb.61:                               ;   in Loop: Header=BB80_53 Depth=1
	v_add_co_u32 v2, vcc_lo, s14, v2
	s_wait_alu 0xfffd
	v_add_co_ci_u32_e64 v3, null, s15, v3, vcc_lo
	global_load_u16 v2, v[2:3], off
	ds_load_b32 v3, v6
	v_subrev_nc_u32_e32 v6, s12, v10
	s_delay_alu instid0(VALU_DEP_1) | instskip(SKIP_3) | instid1(VALU_DEP_1)
	v_lshl_add_u32 v6, v6, 2, 0x1000
	s_wait_loadcnt 0x0
	v_lshlrev_b32_e32 v2, 16, v2
	s_wait_dscnt 0x0
	v_mul_f32_e32 v2, v3, v2
	ds_add_f32 v6, v2
	s_branch .LBB80_52
.LBB80_62:
	s_or_b32 exec_lo, exec_lo, s29
                                        ; implicit-def: $vgpr2_vgpr3
                                        ; implicit-def: $vgpr4
.LBB80_63:
	s_wait_alu 0xfffe
	s_and_not1_saveexec_b32 s1, s7
	s_cbranch_execz .LBB80_105
; %bb.64:
	s_add_nc_u64 s[30:31], s[18:19], -1
	s_add_nc_u64 s[34:35], s[18:19], -2
	v_dual_mov_b32 v8, s16 :: v_dual_mov_b32 v9, s17
	s_wait_alu 0xfffe
	v_dual_mov_b32 v10, s30 :: v_dual_mov_b32 v11, s31
	s_cmp_lg_u64 s[16:17], s[34:35]
	s_cselect_b32 s7, -1, 0
	s_cmp_eq_u64 s[16:17], s[34:35]
	s_cbranch_scc1 .LBB80_68
; %bb.65:
	v_dual_mov_b32 v8, s16 :: v_dual_mov_b32 v9, s17
	v_dual_mov_b32 v10, s30 :: v_dual_mov_b32 v11, s31
	s_mov_b32 s29, 0
.LBB80_66:                              ; =>This Inner Loop Header: Depth=1
	s_delay_alu instid0(VALU_DEP_1) | instskip(SKIP_1) | instid1(VALU_DEP_2)
	v_add_co_u32 v6, vcc_lo, v10, v8
	s_wait_alu 0xfffd
	v_add_co_ci_u32_e64 v7, null, v11, v9, vcc_lo
	s_delay_alu instid0(VALU_DEP_1) | instskip(NEXT) | instid1(VALU_DEP_1)
	v_lshrrev_b32_e32 v12, 31, v7
	v_add_co_u32 v6, vcc_lo, v6, v12
	s_wait_alu 0xfffd
	v_add_co_ci_u32_e64 v7, null, 0, v7, vcc_lo
	s_delay_alu instid0(VALU_DEP_1) | instskip(NEXT) | instid1(VALU_DEP_1)
	v_ashrrev_i64 v[6:7], 1, v[6:7]
	v_lshlrev_b64_e32 v[12:13], 3, v[6:7]
	s_delay_alu instid0(VALU_DEP_1) | instskip(SKIP_1) | instid1(VALU_DEP_2)
	v_add_co_u32 v12, vcc_lo, s8, v12
	s_wait_alu 0xfffd
	v_add_co_ci_u32_e64 v13, null, s9, v13, vcc_lo
	global_load_b64 v[12:13], v[12:13], off
	s_wait_loadcnt 0x0
	v_sub_co_u32 v12, vcc_lo, v12, s24
	s_wait_alu 0xfffd
	v_subrev_co_ci_u32_e64 v13, null, 0, v13, vcc_lo
	s_delay_alu instid0(VALU_DEP_1) | instskip(SKIP_3) | instid1(VALU_DEP_2)
	v_cmp_lt_i64_e32 vcc_lo, v[4:5], v[12:13]
	s_wait_alu 0xfffd
	v_dual_cndmask_b32 v11, v11, v7 :: v_dual_cndmask_b32 v10, v10, v6
	v_dual_cndmask_b32 v9, v7, v9 :: v_dual_cndmask_b32 v8, v6, v8
	v_add_co_u32 v6, vcc_lo, v10, -1
	s_wait_alu 0xfffd
	s_delay_alu instid0(VALU_DEP_3) | instskip(NEXT) | instid1(VALU_DEP_3)
	v_add_co_ci_u32_e64 v7, null, -1, v11, vcc_lo
	v_cmp_ge_i64_e32 vcc_lo, v[8:9], v[10:11]
	s_delay_alu instid0(VALU_DEP_2)
	v_cmp_eq_u64_e64 s0, v[8:9], v[6:7]
	s_or_b32 s0, vcc_lo, s0
	s_wait_alu 0xfffe
	s_and_b32 s0, exec_lo, s0
	s_wait_alu 0xfffe
	s_or_b32 s29, s0, s29
	s_wait_alu 0xfffe
	s_and_not1_b32 exec_lo, exec_lo, s29
	s_cbranch_execnz .LBB80_66
; %bb.67:
	s_or_b32 exec_lo, exec_lo, s29
.LBB80_68:
	v_lshlrev_b64_e32 v[6:7], 3, v[10:11]
	s_mov_b32 s29, exec_lo
	s_delay_alu instid0(VALU_DEP_1) | instskip(SKIP_1) | instid1(VALU_DEP_2)
	v_add_co_u32 v6, vcc_lo, s8, v6
	s_wait_alu 0xfffd
	v_add_co_ci_u32_e64 v7, null, s9, v7, vcc_lo
	global_load_b64 v[12:13], v[6:7], off
	v_lshlrev_b64_e32 v[6:7], 3, v[4:5]
	s_delay_alu instid0(VALU_DEP_1) | instskip(SKIP_1) | instid1(VALU_DEP_2)
	v_add_co_u32 v6, vcc_lo, s10, v6
	s_wait_alu 0xfffd
	v_add_co_ci_u32_e64 v7, null, s11, v7, vcc_lo
	s_lshl_b64 s[10:11], s[18:19], 3
	s_wait_alu 0xfffe
	s_add_nc_u64 s[10:11], s[8:9], s[10:11]
	global_load_b64 v[16:17], v[6:7], off
	s_wait_loadcnt 0x1
	v_sub_co_u32 v12, vcc_lo, v12, s24
	s_wait_alu 0xfffd
	v_subrev_co_ci_u32_e64 v13, null, 0, v13, vcc_lo
	s_delay_alu instid0(VALU_DEP_1)
	v_cmp_lt_i64_e32 vcc_lo, v[4:5], v[12:13]
	s_wait_alu 0xfffd
	v_dual_cndmask_b32 v11, v11, v9 :: v_dual_cndmask_b32 v10, v10, v8
	s_wait_loadcnt 0x0
	v_sub_co_u32 v8, vcc_lo, v16, s24
	s_wait_alu 0xfffd
	v_subrev_co_ci_u32_e64 v9, null, 0, v17, vcc_lo
	s_delay_alu instid0(VALU_DEP_1)
	v_cmpx_ne_u64_e64 v[8:9], v[10:11]
	s_cbranch_execz .LBB80_74
; %bb.69:
	s_load_b64 s[34:35], s[10:11], 0x0
	s_wait_kmcnt 0x0
	s_sub_nc_u64 s[34:35], s[34:35], s[24:25]
	s_wait_alu 0xfffe
	v_cmp_gt_i64_e32 vcc_lo, s[34:35], v[4:5]
	s_and_b32 exec_lo, exec_lo, vcc_lo
	s_cbranch_execz .LBB80_74
; %bb.70:
	v_cmp_gt_i64_e32 vcc_lo, s[12:13], v[8:9]
	v_cmp_le_i64_e64 s0, s[18:19], v[8:9]
	v_lshlrev_b64_e32 v[10:11], 1, v[10:11]
	s_or_b32 s0, vcc_lo, s0
	s_wait_alu 0xfffe
	s_and_saveexec_b32 s33, s0
	s_delay_alu instid0(SALU_CYCLE_1)
	s_xor_b32 s0, exec_lo, s33
	s_cbranch_execz .LBB80_72
; %bb.71:
	v_add_co_u32 v10, vcc_lo, s14, v10
	s_wait_alu 0xfffd
	v_add_co_ci_u32_e64 v11, null, s15, v11, vcc_lo
	v_lshlrev_b64_e32 v[8:9], 2, v[8:9]
	global_load_u16 v10, v[10:11], off
	ds_load_b32 v11, v14
	v_add_co_u32 v8, vcc_lo, s20, v8
	s_wait_alu 0xfffd
	v_add_co_ci_u32_e64 v9, null, s21, v9, vcc_lo
	s_wait_loadcnt 0x0
	v_lshlrev_b32_e32 v10, 16, v10
	s_wait_dscnt 0x0
	s_delay_alu instid0(VALU_DEP_1)
	v_mul_f32_e32 v10, v11, v10
	global_atomic_add_f32 v[8:9], v10, off scope:SCOPE_DEV
                                        ; implicit-def: $vgpr8
                                        ; implicit-def: $vgpr10_vgpr11
.LBB80_72:
	s_wait_alu 0xfffe
	s_and_not1_saveexec_b32 s0, s0
	s_cbranch_execz .LBB80_74
; %bb.73:
	v_add_co_u32 v9, vcc_lo, s14, v10
	s_wait_alu 0xfffd
	v_add_co_ci_u32_e64 v10, null, s15, v11, vcc_lo
	v_subrev_nc_u32_e32 v8, s12, v8
	global_load_u16 v9, v[9:10], off
	ds_load_b32 v10, v14
	v_lshl_add_u32 v8, v8, 2, 0x1000
	s_wait_loadcnt 0x0
	v_lshlrev_b32_e32 v9, 16, v9
	s_wait_dscnt 0x0
	s_delay_alu instid0(VALU_DEP_1)
	v_mul_f32_e32 v9, v10, v9
	ds_add_f32 v8, v9
.LBB80_74:
	s_or_b32 exec_lo, exec_lo, s29
	v_add_co_u32 v8, vcc_lo, 0x100, v4
	v_cndmask_b32_e64 v16, 0, 1, s7
	s_wait_alu 0xfffd
	v_add_co_ci_u32_e64 v9, null, 0, v5, vcc_lo
	v_dual_mov_b32 v10, s16 :: v_dual_mov_b32 v11, s17
	v_dual_mov_b32 v12, s30 :: v_dual_mov_b32 v13, s31
	s_and_not1_b32 vcc_lo, exec_lo, s7
	s_wait_alu 0xfffe
	s_cbranch_vccnz .LBB80_78
; %bb.75:
	v_dual_mov_b32 v10, s16 :: v_dual_mov_b32 v11, s17
	v_dual_mov_b32 v12, s30 :: v_dual_mov_b32 v13, s31
	s_mov_b32 s7, 0
.LBB80_76:                              ; =>This Inner Loop Header: Depth=1
	s_delay_alu instid0(VALU_DEP_1) | instskip(SKIP_1) | instid1(VALU_DEP_2)
	v_add_co_u32 v17, vcc_lo, v12, v10
	s_wait_alu 0xfffd
	v_add_co_ci_u32_e64 v18, null, v13, v11, vcc_lo
	s_delay_alu instid0(VALU_DEP_1) | instskip(NEXT) | instid1(VALU_DEP_1)
	v_lshrrev_b32_e32 v19, 31, v18
	v_add_co_u32 v17, vcc_lo, v17, v19
	s_wait_alu 0xfffd
	v_add_co_ci_u32_e64 v18, null, 0, v18, vcc_lo
	s_delay_alu instid0(VALU_DEP_1) | instskip(NEXT) | instid1(VALU_DEP_1)
	v_ashrrev_i64 v[17:18], 1, v[17:18]
	v_lshlrev_b64_e32 v[19:20], 3, v[17:18]
	s_delay_alu instid0(VALU_DEP_1) | instskip(SKIP_1) | instid1(VALU_DEP_2)
	v_add_co_u32 v19, vcc_lo, s8, v19
	s_wait_alu 0xfffd
	v_add_co_ci_u32_e64 v20, null, s9, v20, vcc_lo
	global_load_b64 v[19:20], v[19:20], off
	s_wait_loadcnt 0x0
	v_sub_co_u32 v19, vcc_lo, v19, s24
	s_wait_alu 0xfffd
	v_subrev_co_ci_u32_e64 v20, null, 0, v20, vcc_lo
	s_delay_alu instid0(VALU_DEP_1) | instskip(SKIP_3) | instid1(VALU_DEP_2)
	v_cmp_lt_i64_e32 vcc_lo, v[8:9], v[19:20]
	s_wait_alu 0xfffd
	v_dual_cndmask_b32 v13, v13, v18 :: v_dual_cndmask_b32 v12, v12, v17
	v_dual_cndmask_b32 v11, v18, v11 :: v_dual_cndmask_b32 v10, v17, v10
	v_add_co_u32 v17, vcc_lo, v12, -1
	s_wait_alu 0xfffd
	s_delay_alu instid0(VALU_DEP_3) | instskip(NEXT) | instid1(VALU_DEP_3)
	v_add_co_ci_u32_e64 v18, null, -1, v13, vcc_lo
	v_cmp_ge_i64_e32 vcc_lo, v[10:11], v[12:13]
	s_delay_alu instid0(VALU_DEP_2)
	v_cmp_eq_u64_e64 s0, v[10:11], v[17:18]
	s_or_b32 s0, vcc_lo, s0
	s_wait_alu 0xfffe
	s_and_b32 s0, exec_lo, s0
	s_wait_alu 0xfffe
	s_or_b32 s7, s0, s7
	s_wait_alu 0xfffe
	s_and_not1_b32 exec_lo, exec_lo, s7
	s_cbranch_execnz .LBB80_76
; %bb.77:
	s_or_b32 exec_lo, exec_lo, s7
.LBB80_78:
	s_delay_alu instid0(VALU_DEP_1) | instskip(SKIP_1) | instid1(VALU_DEP_1)
	v_lshlrev_b64_e32 v[17:18], 3, v[12:13]
	s_mov_b32 s7, exec_lo
	v_add_co_u32 v17, vcc_lo, s8, v17
	s_wait_alu 0xfffd
	s_delay_alu instid0(VALU_DEP_2)
	v_add_co_ci_u32_e64 v18, null, s9, v18, vcc_lo
	global_load_b64 v[17:18], v[17:18], off
	global_load_b64 v[19:20], v[6:7], off offset:2048
	s_wait_loadcnt 0x1
	v_sub_co_u32 v17, vcc_lo, v17, s24
	s_wait_alu 0xfffd
	v_subrev_co_ci_u32_e64 v18, null, 0, v18, vcc_lo
	s_delay_alu instid0(VALU_DEP_1)
	v_cmp_lt_i64_e32 vcc_lo, v[8:9], v[17:18]
	s_wait_alu 0xfffd
	v_dual_cndmask_b32 v13, v13, v11 :: v_dual_cndmask_b32 v12, v12, v10
	s_wait_loadcnt 0x0
	v_sub_co_u32 v10, vcc_lo, v19, s24
	s_wait_alu 0xfffd
	v_subrev_co_ci_u32_e64 v11, null, 0, v20, vcc_lo
	s_delay_alu instid0(VALU_DEP_1)
	v_cmpx_ne_u64_e64 v[10:11], v[12:13]
	s_cbranch_execz .LBB80_84
; %bb.79:
	s_load_b64 s[34:35], s[10:11], 0x0
	s_wait_kmcnt 0x0
	s_sub_nc_u64 s[34:35], s[34:35], s[24:25]
	s_wait_alu 0xfffe
	v_cmp_gt_i64_e32 vcc_lo, s[34:35], v[8:9]
	s_and_b32 exec_lo, exec_lo, vcc_lo
	s_cbranch_execz .LBB80_84
; %bb.80:
	v_cmp_gt_i64_e32 vcc_lo, s[12:13], v[10:11]
	v_cmp_le_i64_e64 s0, s[18:19], v[10:11]
	v_lshlrev_b64_e32 v[8:9], 1, v[12:13]
	s_or_b32 s0, vcc_lo, s0
	s_wait_alu 0xfffe
	s_and_saveexec_b32 s29, s0
	s_wait_alu 0xfffe
	s_xor_b32 s0, exec_lo, s29
	s_cbranch_execz .LBB80_82
; %bb.81:
	v_add_co_u32 v8, vcc_lo, s14, v8
	s_wait_alu 0xfffd
	v_add_co_ci_u32_e64 v9, null, s15, v9, vcc_lo
	ds_load_b32 v13, v14 offset:1024
	global_load_u16 v12, v[8:9], off
	v_lshlrev_b64_e32 v[8:9], 2, v[10:11]
	s_delay_alu instid0(VALU_DEP_1) | instskip(SKIP_1) | instid1(VALU_DEP_2)
	v_add_co_u32 v8, vcc_lo, s20, v8
	s_wait_alu 0xfffd
	v_add_co_ci_u32_e64 v9, null, s21, v9, vcc_lo
	s_wait_loadcnt 0x0
	v_lshlrev_b32_e32 v10, 16, v12
	s_wait_dscnt 0x0
	s_delay_alu instid0(VALU_DEP_1)
	v_mul_f32_e32 v10, v13, v10
	global_atomic_add_f32 v[8:9], v10, off scope:SCOPE_DEV
                                        ; implicit-def: $vgpr10
                                        ; implicit-def: $vgpr8_vgpr9
.LBB80_82:
	s_wait_alu 0xfffe
	s_and_not1_saveexec_b32 s0, s0
	s_cbranch_execz .LBB80_84
; %bb.83:
	v_add_co_u32 v8, vcc_lo, s14, v8
	s_wait_alu 0xfffd
	v_add_co_ci_u32_e64 v9, null, s15, v9, vcc_lo
	v_subrev_nc_u32_e32 v10, s12, v10
	global_load_u16 v8, v[8:9], off
	ds_load_b32 v9, v14 offset:1024
	v_lshl_add_u32 v10, v10, 2, 0x1000
	s_wait_loadcnt 0x0
	v_lshlrev_b32_e32 v8, 16, v8
	s_wait_dscnt 0x0
	s_delay_alu instid0(VALU_DEP_1)
	v_mul_f32_e32 v8, v9, v8
	ds_add_f32 v10, v8
.LBB80_84:
	s_wait_alu 0xfffe
	s_or_b32 exec_lo, exec_lo, s7
	v_cmp_ne_u32_e32 vcc_lo, 1, v16
	v_add_co_u32 v4, s0, 0x200, v4
	s_wait_alu 0xf1ff
	v_add_co_ci_u32_e64 v5, null, 0, v5, s0
	v_dual_mov_b32 v8, s16 :: v_dual_mov_b32 v9, s17
	v_dual_mov_b32 v10, s30 :: v_dual_mov_b32 v11, s31
	s_cbranch_vccnz .LBB80_88
; %bb.85:
	v_dual_mov_b32 v8, s16 :: v_dual_mov_b32 v9, s17
	v_dual_mov_b32 v10, s30 :: v_dual_mov_b32 v11, s31
	s_mov_b32 s7, 0
.LBB80_86:                              ; =>This Inner Loop Header: Depth=1
	s_delay_alu instid0(VALU_DEP_1) | instskip(SKIP_1) | instid1(VALU_DEP_2)
	v_add_co_u32 v12, vcc_lo, v10, v8
	s_wait_alu 0xfffd
	v_add_co_ci_u32_e64 v13, null, v11, v9, vcc_lo
	s_delay_alu instid0(VALU_DEP_1) | instskip(NEXT) | instid1(VALU_DEP_1)
	v_lshrrev_b32_e32 v17, 31, v13
	v_add_co_u32 v12, vcc_lo, v12, v17
	s_wait_alu 0xfffd
	v_add_co_ci_u32_e64 v13, null, 0, v13, vcc_lo
	s_delay_alu instid0(VALU_DEP_1) | instskip(NEXT) | instid1(VALU_DEP_1)
	v_ashrrev_i64 v[12:13], 1, v[12:13]
	v_lshlrev_b64_e32 v[17:18], 3, v[12:13]
	s_delay_alu instid0(VALU_DEP_1) | instskip(SKIP_1) | instid1(VALU_DEP_2)
	v_add_co_u32 v17, vcc_lo, s8, v17
	s_wait_alu 0xfffd
	v_add_co_ci_u32_e64 v18, null, s9, v18, vcc_lo
	global_load_b64 v[17:18], v[17:18], off
	s_wait_loadcnt 0x0
	v_sub_co_u32 v17, vcc_lo, v17, s24
	s_wait_alu 0xfffd
	v_subrev_co_ci_u32_e64 v18, null, 0, v18, vcc_lo
	s_delay_alu instid0(VALU_DEP_1) | instskip(SKIP_3) | instid1(VALU_DEP_2)
	v_cmp_lt_i64_e32 vcc_lo, v[4:5], v[17:18]
	s_wait_alu 0xfffd
	v_dual_cndmask_b32 v11, v11, v13 :: v_dual_cndmask_b32 v10, v10, v12
	v_dual_cndmask_b32 v9, v13, v9 :: v_dual_cndmask_b32 v8, v12, v8
	v_add_co_u32 v12, vcc_lo, v10, -1
	s_wait_alu 0xfffd
	s_delay_alu instid0(VALU_DEP_3) | instskip(NEXT) | instid1(VALU_DEP_3)
	v_add_co_ci_u32_e64 v13, null, -1, v11, vcc_lo
	v_cmp_ge_i64_e32 vcc_lo, v[8:9], v[10:11]
	s_delay_alu instid0(VALU_DEP_2)
	v_cmp_eq_u64_e64 s0, v[8:9], v[12:13]
	s_or_b32 s0, vcc_lo, s0
	s_wait_alu 0xfffe
	s_and_b32 s0, exec_lo, s0
	s_wait_alu 0xfffe
	s_or_b32 s7, s0, s7
	s_wait_alu 0xfffe
	s_and_not1_b32 exec_lo, exec_lo, s7
	s_cbranch_execnz .LBB80_86
; %bb.87:
	s_or_b32 exec_lo, exec_lo, s7
.LBB80_88:
	s_delay_alu instid0(VALU_DEP_1) | instskip(SKIP_1) | instid1(VALU_DEP_1)
	v_lshlrev_b64_e32 v[12:13], 3, v[10:11]
	s_mov_b32 s7, exec_lo
	v_add_co_u32 v12, vcc_lo, s8, v12
	s_wait_alu 0xfffd
	s_delay_alu instid0(VALU_DEP_2)
	v_add_co_ci_u32_e64 v13, null, s9, v13, vcc_lo
	global_load_b64 v[12:13], v[12:13], off
	global_load_b64 v[17:18], v[6:7], off offset:4096
	s_wait_loadcnt 0x1
	v_sub_co_u32 v12, vcc_lo, v12, s24
	s_wait_alu 0xfffd
	v_subrev_co_ci_u32_e64 v13, null, 0, v13, vcc_lo
	s_delay_alu instid0(VALU_DEP_1)
	v_cmp_lt_i64_e32 vcc_lo, v[4:5], v[12:13]
	s_wait_alu 0xfffd
	v_dual_cndmask_b32 v11, v11, v9 :: v_dual_cndmask_b32 v10, v10, v8
	s_wait_loadcnt 0x0
	v_sub_co_u32 v8, vcc_lo, v17, s24
	s_wait_alu 0xfffd
	v_subrev_co_ci_u32_e64 v9, null, 0, v18, vcc_lo
	s_delay_alu instid0(VALU_DEP_1)
	v_cmpx_ne_u64_e64 v[8:9], v[10:11]
	s_cbranch_execz .LBB80_94
; %bb.89:
	s_load_b64 s[34:35], s[10:11], 0x0
	s_wait_kmcnt 0x0
	s_sub_nc_u64 s[34:35], s[34:35], s[24:25]
	s_wait_alu 0xfffe
	v_cmp_gt_i64_e32 vcc_lo, s[34:35], v[4:5]
	s_and_b32 exec_lo, exec_lo, vcc_lo
	s_cbranch_execz .LBB80_94
; %bb.90:
	v_cmp_gt_i64_e32 vcc_lo, s[12:13], v[8:9]
	v_cmp_le_i64_e64 s0, s[18:19], v[8:9]
	v_lshlrev_b64_e32 v[4:5], 1, v[10:11]
	s_or_b32 s0, vcc_lo, s0
	s_wait_alu 0xfffe
	s_and_saveexec_b32 s29, s0
	s_wait_alu 0xfffe
	s_xor_b32 s0, exec_lo, s29
	s_cbranch_execz .LBB80_92
; %bb.91:
	v_add_co_u32 v4, vcc_lo, s14, v4
	s_wait_alu 0xfffd
	v_add_co_ci_u32_e64 v5, null, s15, v5, vcc_lo
	ds_load_b32 v11, v14 offset:2048
	global_load_u16 v10, v[4:5], off
	v_lshlrev_b64_e32 v[4:5], 2, v[8:9]
	s_delay_alu instid0(VALU_DEP_1) | instskip(SKIP_1) | instid1(VALU_DEP_2)
	v_add_co_u32 v4, vcc_lo, s20, v4
	s_wait_alu 0xfffd
	v_add_co_ci_u32_e64 v5, null, s21, v5, vcc_lo
	s_wait_loadcnt 0x0
	v_lshlrev_b32_e32 v8, 16, v10
	s_wait_dscnt 0x0
	s_delay_alu instid0(VALU_DEP_1)
	v_mul_f32_e32 v8, v11, v8
	global_atomic_add_f32 v[4:5], v8, off scope:SCOPE_DEV
                                        ; implicit-def: $vgpr8
                                        ; implicit-def: $vgpr4_vgpr5
.LBB80_92:
	s_wait_alu 0xfffe
	s_and_not1_saveexec_b32 s0, s0
	s_cbranch_execz .LBB80_94
; %bb.93:
	v_add_co_u32 v4, vcc_lo, s14, v4
	s_wait_alu 0xfffd
	v_add_co_ci_u32_e64 v5, null, s15, v5, vcc_lo
	v_subrev_nc_u32_e32 v8, s12, v8
	global_load_u16 v4, v[4:5], off
	ds_load_b32 v5, v14 offset:2048
	v_lshl_add_u32 v8, v8, 2, 0x1000
	s_wait_loadcnt 0x0
	v_lshlrev_b32_e32 v4, 16, v4
	s_wait_dscnt 0x0
	s_delay_alu instid0(VALU_DEP_1)
	v_mul_f32_e32 v4, v5, v4
	ds_add_f32 v8, v4
.LBB80_94:
	s_wait_alu 0xfffe
	s_or_b32 exec_lo, exec_lo, s7
	v_cmp_ne_u32_e32 vcc_lo, 1, v16
	v_dual_mov_b32 v4, s16 :: v_dual_mov_b32 v5, s17
	v_dual_mov_b32 v8, s30 :: v_dual_mov_b32 v9, s31
	s_cbranch_vccnz .LBB80_98
; %bb.95:
	v_dual_mov_b32 v4, s16 :: v_dual_mov_b32 v5, s17
	v_dual_mov_b32 v8, s30 :: v_dual_mov_b32 v9, s31
	s_mov_b32 s7, 0
.LBB80_96:                              ; =>This Inner Loop Header: Depth=1
	s_delay_alu instid0(VALU_DEP_1) | instskip(SKIP_1) | instid1(VALU_DEP_2)
	v_add_co_u32 v10, vcc_lo, v8, v4
	s_wait_alu 0xfffd
	v_add_co_ci_u32_e64 v11, null, v9, v5, vcc_lo
	s_delay_alu instid0(VALU_DEP_1) | instskip(NEXT) | instid1(VALU_DEP_1)
	v_lshrrev_b32_e32 v12, 31, v11
	v_add_co_u32 v10, vcc_lo, v10, v12
	s_wait_alu 0xfffd
	v_add_co_ci_u32_e64 v11, null, 0, v11, vcc_lo
	s_delay_alu instid0(VALU_DEP_1) | instskip(NEXT) | instid1(VALU_DEP_1)
	v_ashrrev_i64 v[10:11], 1, v[10:11]
	v_lshlrev_b64_e32 v[12:13], 3, v[10:11]
	s_delay_alu instid0(VALU_DEP_1) | instskip(SKIP_1) | instid1(VALU_DEP_2)
	v_add_co_u32 v12, vcc_lo, s8, v12
	s_wait_alu 0xfffd
	v_add_co_ci_u32_e64 v13, null, s9, v13, vcc_lo
	global_load_b64 v[12:13], v[12:13], off
	s_wait_loadcnt 0x0
	v_sub_co_u32 v12, vcc_lo, v12, s24
	s_wait_alu 0xfffd
	v_subrev_co_ci_u32_e64 v13, null, 0, v13, vcc_lo
	s_delay_alu instid0(VALU_DEP_1) | instskip(SKIP_3) | instid1(VALU_DEP_2)
	v_cmp_lt_i64_e32 vcc_lo, v[2:3], v[12:13]
	s_wait_alu 0xfffd
	v_dual_cndmask_b32 v9, v9, v11 :: v_dual_cndmask_b32 v8, v8, v10
	v_dual_cndmask_b32 v5, v11, v5 :: v_dual_cndmask_b32 v4, v10, v4
	v_add_co_u32 v10, vcc_lo, v8, -1
	s_wait_alu 0xfffd
	s_delay_alu instid0(VALU_DEP_3) | instskip(NEXT) | instid1(VALU_DEP_3)
	v_add_co_ci_u32_e64 v11, null, -1, v9, vcc_lo
	v_cmp_ge_i64_e32 vcc_lo, v[4:5], v[8:9]
	s_delay_alu instid0(VALU_DEP_2)
	v_cmp_eq_u64_e64 s0, v[4:5], v[10:11]
	s_or_b32 s0, vcc_lo, s0
	s_wait_alu 0xfffe
	s_and_b32 s0, exec_lo, s0
	s_wait_alu 0xfffe
	s_or_b32 s7, s0, s7
	s_wait_alu 0xfffe
	s_and_not1_b32 exec_lo, exec_lo, s7
	s_cbranch_execnz .LBB80_96
; %bb.97:
	s_or_b32 exec_lo, exec_lo, s7
.LBB80_98:
	s_delay_alu instid0(VALU_DEP_1) | instskip(SKIP_1) | instid1(VALU_DEP_1)
	v_lshlrev_b64_e32 v[10:11], 3, v[8:9]
	s_mov_b32 s7, exec_lo
	v_add_co_u32 v10, vcc_lo, s8, v10
	s_wait_alu 0xfffd
	s_delay_alu instid0(VALU_DEP_2)
	v_add_co_ci_u32_e64 v11, null, s9, v11, vcc_lo
	global_load_b64 v[10:11], v[10:11], off
	global_load_b64 v[12:13], v[6:7], off offset:6144
	s_wait_loadcnt 0x1
	v_sub_co_u32 v6, vcc_lo, v10, s24
	s_wait_alu 0xfffd
	v_subrev_co_ci_u32_e64 v7, null, 0, v11, vcc_lo
	s_delay_alu instid0(VALU_DEP_1)
	v_cmp_lt_i64_e32 vcc_lo, v[2:3], v[6:7]
	s_wait_alu 0xfffd
	v_dual_cndmask_b32 v7, v9, v5 :: v_dual_cndmask_b32 v6, v8, v4
	s_wait_loadcnt 0x0
	v_sub_co_u32 v4, vcc_lo, v12, s24
	s_wait_alu 0xfffd
	v_subrev_co_ci_u32_e64 v5, null, 0, v13, vcc_lo
	s_delay_alu instid0(VALU_DEP_1)
	v_cmpx_ne_u64_e64 v[4:5], v[6:7]
	s_cbranch_execz .LBB80_104
; %bb.99:
	s_load_b64 s[10:11], s[10:11], 0x0
	s_wait_kmcnt 0x0
	s_sub_nc_u64 s[10:11], s[10:11], s[24:25]
	s_wait_alu 0xfffe
	v_cmp_gt_i64_e32 vcc_lo, s[10:11], v[2:3]
	s_and_b32 exec_lo, exec_lo, vcc_lo
	s_cbranch_execz .LBB80_104
; %bb.100:
	v_cmp_gt_i64_e32 vcc_lo, s[12:13], v[4:5]
	v_cmp_le_i64_e64 s0, s[18:19], v[4:5]
	v_lshlrev_b64_e32 v[2:3], 1, v[6:7]
	s_or_b32 s0, vcc_lo, s0
	s_wait_alu 0xfffe
	s_and_saveexec_b32 s10, s0
	s_wait_alu 0xfffe
	s_xor_b32 s0, exec_lo, s10
	s_cbranch_execz .LBB80_102
; %bb.101:
	v_add_co_u32 v2, vcc_lo, s14, v2
	s_wait_alu 0xfffd
	v_add_co_ci_u32_e64 v3, null, s15, v3, vcc_lo
	ds_load_b32 v7, v14 offset:3072
	global_load_u16 v6, v[2:3], off
	v_lshlrev_b64_e32 v[2:3], 2, v[4:5]
	s_delay_alu instid0(VALU_DEP_1) | instskip(SKIP_1) | instid1(VALU_DEP_2)
	v_add_co_u32 v2, vcc_lo, s20, v2
	s_wait_alu 0xfffd
	v_add_co_ci_u32_e64 v3, null, s21, v3, vcc_lo
	s_wait_loadcnt 0x0
	v_lshlrev_b32_e32 v4, 16, v6
	s_wait_dscnt 0x0
	s_delay_alu instid0(VALU_DEP_1)
	v_mul_f32_e32 v4, v7, v4
	global_atomic_add_f32 v[2:3], v4, off scope:SCOPE_DEV
                                        ; implicit-def: $vgpr4
                                        ; implicit-def: $vgpr2_vgpr3
.LBB80_102:
	s_wait_alu 0xfffe
	s_and_not1_saveexec_b32 s0, s0
	s_cbranch_execz .LBB80_104
; %bb.103:
	v_add_co_u32 v2, vcc_lo, s14, v2
	s_wait_alu 0xfffd
	v_add_co_ci_u32_e64 v3, null, s15, v3, vcc_lo
	v_subrev_nc_u32_e32 v4, s12, v4
	global_load_u16 v2, v[2:3], off
	ds_load_b32 v3, v14 offset:3072
	v_lshl_add_u32 v4, v4, 2, 0x1000
	s_wait_loadcnt 0x0
	v_lshlrev_b32_e32 v2, 16, v2
	s_wait_dscnt 0x0
	s_delay_alu instid0(VALU_DEP_1)
	v_mul_f32_e32 v2, v3, v2
	ds_add_f32 v4, v2
.LBB80_104:
	s_wait_alu 0xfffe
	s_or_b32 exec_lo, exec_lo, s7
.LBB80_105:
	s_wait_alu 0xfffe
	s_or_b32 exec_lo, exec_lo, s1
	v_cmp_lt_i64_e64 s0, s[18:19], s[2:3]
	s_mov_b32 s1, exec_lo
	s_wait_storecnt 0x0
	s_wait_loadcnt_dscnt 0x0
	s_barrier_signal -1
	s_barrier_wait -1
	global_inv scope:SCOPE_SE
	s_and_b32 s0, s0, exec_lo
	s_cselect_b32 s13, s19, s3
	s_cselect_b32 s12, s18, s2
	s_wait_alu 0xfffe
	s_sub_nc_u64 s[10:11], s[12:13], s[22:23]
	s_wait_alu 0xfffe
	v_cmpx_gt_i64_e64 s[10:11], v[0:1]
	s_cbranch_execz .LBB80_108
; %bb.106:
	v_cmp_gt_i64_e64 s0, s[18:19], s[2:3]
	v_dual_mov_b32 v5, v1 :: v_dual_lshlrev_b32 v2, 2, v0
	v_mov_b32_e32 v4, v0
	s_and_b32 s0, s0, exec_lo
	s_cselect_b32 s15, s19, s3
	s_cselect_b32 s14, s18, s2
	s_lshl_b64 s[2:3], s[2:3], 2
	s_wait_alu 0xfffe
	s_lshl_b64 s[14:15], s[14:15], 2
	s_wait_alu 0xfffe
	v_add_co_u32 v2, s0, s14, v2
	s_wait_alu 0xf1ff
	v_add_co_ci_u32_e64 v3, null, s15, 0, s0
	s_delay_alu instid0(VALU_DEP_2) | instskip(SKIP_1) | instid1(VALU_DEP_2)
	v_sub_co_u32 v2, vcc_lo, v2, s2
	s_wait_alu 0xfffd
	v_subrev_co_ci_u32_e64 v3, null, s3, v3, vcc_lo
	s_mov_b32 s2, 0
	v_add_co_u32 v2, vcc_lo, s20, v2
	s_wait_alu 0xfffd
	v_add_co_ci_u32_e64 v3, null, s21, v3, vcc_lo
.LBB80_107:                             ; =>This Inner Loop Header: Depth=1
	ds_load_b32 v6, v15
	v_add_co_u32 v4, vcc_lo, 0x100, v4
	s_wait_alu 0xfffd
	v_add_co_ci_u32_e64 v5, null, 0, v5, vcc_lo
	v_add_nc_u32_e32 v15, 0x400, v15
	s_delay_alu instid0(VALU_DEP_2)
	v_cmp_le_i64_e32 vcc_lo, s[10:11], v[4:5]
	s_wait_alu 0xfffe
	s_or_b32 s2, vcc_lo, s2
	s_wait_dscnt 0x0
	global_atomic_add_f32 v[2:3], v6, off scope:SCOPE_DEV
	v_add_co_u32 v2, s0, 0x400, v2
	s_wait_alu 0xf1ff
	v_add_co_ci_u32_e64 v3, null, 0, v3, s0
	s_wait_alu 0xfffe
	s_and_not1_b32 exec_lo, exec_lo, s2
	s_cbranch_execnz .LBB80_107
.LBB80_108:
	s_or_b32 exec_lo, exec_lo, s1
	s_add_co_i32 s0, s28, -1
	v_add_co_u32 v6, s2, s16, v0
	s_wait_alu 0xfffe
	s_ashr_i32 s1, s0, 1
	v_add_co_ci_u32_e64 v7, null, s17, 0, s2
	s_wait_alu 0xfffe
	s_or_b32 s0, s1, s0
	s_wait_loadcnt 0x0
	s_wait_storecnt 0x0
	s_wait_alu 0xfffe
	s_ashr_i32 s1, s0, 2
	s_barrier_signal -1
	s_wait_alu 0xfffe
	s_or_b32 s0, s1, s0
	s_barrier_wait -1
	s_wait_alu 0xfffe
	s_ashr_i32 s1, s0, 4
	global_inv scope:SCOPE_SE
	s_wait_alu 0xfffe
	s_or_b32 s0, s1, s0
	s_wait_alu 0xfffe
	s_ashr_i32 s1, s0, 8
	s_wait_alu 0xfffe
	s_or_b32 s0, s1, s0
	s_wait_alu 0xfffe
	s_ashr_i32 s1, s0, 16
	s_wait_alu 0xfffe
	s_or_b32 s1, s1, s0
	s_mov_b32 s0, -1
	s_wait_alu 0xfffe
	s_add_co_i32 s1, s1, 1
	s_wait_alu 0xfffe
	s_ashr_i32 s2, s1, 1
	s_wait_alu 0xfffe
	s_cmp_gt_i32 s2, 1
	s_cbranch_scc1 .LBB80_117
; %bb.109:
	s_mov_b32 s0, exec_lo
	v_cmpx_gt_i64_e64 s[18:19], v[6:7]
	s_cbranch_execz .LBB80_116
; %bb.110:
	s_sub_co_i32 s1, s12, s18
	v_dual_mov_b32 v9, v7 :: v_dual_mov_b32 v8, v6
	s_lshl_b32 s7, s4, 2
	s_wait_alu 0xfffe
	s_lshl_b32 s1, s1, 2
	s_mov_b32 s3, 0
	s_wait_alu 0xfffe
	s_addk_co_i32 s1, 0x1000
	s_sub_co_i32 s7, 0, s7
	s_branch .LBB80_112
.LBB80_111:                             ;   in Loop: Header=BB80_112 Depth=1
	s_wait_alu 0xfffe
	s_or_b32 exec_lo, exec_lo, s11
	v_lshl_add_u32 v2, v8, 2, s1
	ds_load_b32 v4, v2
	v_lshlrev_b64_e32 v[2:3], 2, v[8:9]
	s_delay_alu instid0(VALU_DEP_1) | instskip(SKIP_1) | instid1(VALU_DEP_2)
	v_add_co_u32 v2, vcc_lo, s20, v2
	s_wait_alu 0xfffd
	v_add_co_ci_u32_e64 v3, null, s21, v3, vcc_lo
	v_add_co_u32 v8, vcc_lo, v8, s6
	s_wait_alu 0xfffd
	v_add_co_ci_u32_e64 v9, null, 0, v9, vcc_lo
	s_delay_alu instid0(VALU_DEP_1)
	v_cmp_le_i64_e32 vcc_lo, s[18:19], v[8:9]
	s_wait_dscnt 0x0
	v_add_f32_e32 v4, v12, v4
	s_or_b32 s3, vcc_lo, s3
	global_atomic_add_f32 v[2:3], v4, off scope:SCOPE_DEV
	s_wait_alu 0xfffe
	s_and_not1_b32 exec_lo, exec_lo, s3
	s_cbranch_execz .LBB80_116
.LBB80_112:                             ; =>This Loop Header: Depth=1
                                        ;     Child Loop BB80_114 Depth 2
	v_lshlrev_b64_e32 v[2:3], 3, v[8:9]
	v_mov_b32_e32 v12, 0
	s_mov_b32 s11, exec_lo
	s_delay_alu instid0(VALU_DEP_2) | instskip(SKIP_1) | instid1(VALU_DEP_3)
	v_add_co_u32 v2, vcc_lo, s8, v2
	s_wait_alu 0xfffd
	v_add_co_ci_u32_e64 v3, null, s9, v3, vcc_lo
	global_load_b128 v[2:5], v[2:3], off
	s_wait_loadcnt 0x0
	v_cmpx_lt_i64_e64 v[2:3], v[4:5]
	s_cbranch_execz .LBB80_111
; %bb.113:                              ;   in Loop: Header=BB80_112 Depth=1
	v_sub_co_u32 v4, vcc_lo, v4, s4
	s_wait_alu 0xfffd
	v_subrev_co_ci_u32_e64 v5, null, s5, v5, vcc_lo
	v_sub_co_u32 v10, vcc_lo, v2, s4
	s_wait_alu 0xfffd
	v_subrev_co_ci_u32_e64 v11, null, s5, v3, vcc_lo
	s_wait_alu 0xfffe
	v_lshl_add_u32 v2, v2, 2, s7
	v_mov_b32_e32 v12, 0
	s_mov_b32 s12, 0
.LBB80_114:                             ;   Parent Loop BB80_112 Depth=1
                                        ; =>  This Inner Loop Header: Depth=2
	ds_load_b32 v3, v2
	v_add_co_u32 v10, vcc_lo, v10, 1
	s_wait_alu 0xfffd
	v_add_co_ci_u32_e64 v11, null, 0, v11, vcc_lo
	v_add_nc_u32_e32 v2, 4, v2
	s_delay_alu instid0(VALU_DEP_2)
	v_cmp_ge_i64_e32 vcc_lo, v[10:11], v[4:5]
	s_wait_alu 0xfffe
	s_or_b32 s12, vcc_lo, s12
	s_wait_dscnt 0x0
	v_add_f32_e32 v12, v12, v3
	s_wait_alu 0xfffe
	s_and_not1_b32 exec_lo, exec_lo, s12
	s_cbranch_execnz .LBB80_114
; %bb.115:                              ;   in Loop: Header=BB80_112 Depth=1
	s_or_b32 exec_lo, exec_lo, s12
	s_branch .LBB80_111
.LBB80_116:
	s_wait_alu 0xfffe
	s_or_b32 exec_lo, exec_lo, s0
	s_mov_b32 s0, 0
.LBB80_117:
	s_wait_alu 0xfffe
	s_and_not1_b32 vcc_lo, exec_lo, s0
	s_wait_alu 0xfffe
	s_cbranch_vccnz .LBB80_134
; %bb.118:
	s_cvt_f32_u32 s0, s2
	s_sub_co_i32 s1, 0, s2
	s_wait_alu 0xfffe
	s_delay_alu instid0(SALU_CYCLE_1) | instskip(NEXT) | instid1(TRANS32_DEP_1)
	v_rcp_iflag_f32_e32 v2, s0
	v_readfirstlane_b32 s0, v2
	s_mul_f32 s0, s0, 0x4f7ffffe
	s_wait_alu 0xfffe
	s_delay_alu instid0(SALU_CYCLE_2) | instskip(SKIP_1) | instid1(SALU_CYCLE_2)
	s_cvt_u32_f32 s0, s0
	s_wait_alu 0xfffe
	s_mul_i32 s3, s1, s0
	s_wait_alu 0xfffe
	s_mul_hi_u32 s3, s0, s3
	s_wait_alu 0xfffe
	s_add_co_i32 s0, s0, s3
	s_mov_b32 s3, 0
	s_wait_alu 0xfffe
	v_mul_hi_u32 v2, v0, s0
	s_mov_b32 s0, exec_lo
	s_delay_alu instid0(VALU_DEP_1) | instskip(NEXT) | instid1(VALU_DEP_1)
	v_mul_lo_u32 v3, v2, s2
	v_sub_nc_u32_e32 v3, v0, v3
	s_delay_alu instid0(VALU_DEP_1) | instskip(SKIP_2) | instid1(VALU_DEP_2)
	v_subrev_nc_u32_e32 v5, s2, v3
	v_cmp_le_u32_e32 vcc_lo, s2, v3
	s_wait_alu 0xfffd
	v_dual_cndmask_b32 v3, v3, v5 :: v_dual_add_nc_u32 v4, 1, v2
	s_delay_alu instid0(VALU_DEP_1) | instskip(NEXT) | instid1(VALU_DEP_2)
	v_dual_cndmask_b32 v2, v2, v4 :: v_dual_mov_b32 v5, 0
	v_cmp_le_u32_e32 vcc_lo, s2, v3
	s_delay_alu instid0(VALU_DEP_2) | instskip(SKIP_1) | instid1(VALU_DEP_1)
	v_add_nc_u32_e32 v4, 1, v2
	s_wait_alu 0xfffd
	v_cndmask_b32_e32 v4, v2, v4, vcc_lo
	s_delay_alu instid0(VALU_DEP_1) | instskip(NEXT) | instid1(VALU_DEP_1)
	v_lshlrev_b64_e32 v[2:3], 3, v[4:5]
	v_add_co_u32 v2, vcc_lo, s26, v2
	s_wait_alu 0xfffd
	s_delay_alu instid0(VALU_DEP_2)
	v_add_co_ci_u32_e64 v3, null, s27, v3, vcc_lo
	global_load_b128 v[8:11], v[2:3], off
	s_wait_loadcnt 0x0
	v_sub_co_u32 v2, vcc_lo, v8, s4
	s_wait_alu 0xfffd
	v_subrev_co_ci_u32_e64 v3, null, s5, v9, vcc_lo
	v_sub_co_u32 v12, vcc_lo, v10, s4
	s_wait_alu 0xfffd
	v_subrev_co_ci_u32_e64 v13, null, s5, v11, vcc_lo
	v_mov_b32_e32 v8, v5
	s_delay_alu instid0(VALU_DEP_3) | instskip(SKIP_1) | instid1(VALU_DEP_3)
	v_sub_co_u32 v15, vcc_lo, v12, v2
	s_wait_alu 0xfffd
	v_sub_co_ci_u32_e64 v9, null, v13, v3, vcc_lo
                                        ; implicit-def: $vgpr10_vgpr11
	s_delay_alu instid0(VALU_DEP_1)
	v_cmpx_ne_u64_e32 0, v[8:9]
	s_wait_alu 0xfffe
	s_xor_b32 s6, exec_lo, s0
	s_cbranch_execz .LBB80_120
; %bb.119:
	s_add_nc_u64 s[4:5], s[2:3], 0
	s_mov_b32 s15, s3
	s_wait_alu 0xfffe
	s_xor_b64 s[4:5], s[4:5], 0
	s_mov_b32 s19, s3
	s_wait_alu 0xfffe
	s_cvt_f32_u32 s0, s4
	s_cvt_f32_u32 s7, s5
	s_sub_nc_u64 s[12:13], 0, s[4:5]
	v_ashrrev_i32_e32 v17, 31, v9
	s_wait_alu 0xfffe
	s_fmamk_f32 s0, s7, 0x4f800000, s0
	s_delay_alu instid0(VALU_DEP_1) | instskip(SKIP_1) | instid1(SALU_CYCLE_1)
	v_add_co_u32 v8, vcc_lo, v15, v17
	s_wait_alu 0xfffe
	v_s_rcp_f32 s0, s0
	s_wait_alu 0xfffd
	v_add_co_ci_u32_e64 v9, null, v9, v17, vcc_lo
	v_xor_b32_e32 v18, v8, v17
	s_delay_alu instid0(VALU_DEP_2) | instskip(NEXT) | instid1(TRANS32_DEP_1)
	v_xor_b32_e32 v19, v9, v17
	s_mul_f32 s0, s0, 0x5f7ffffc
	s_wait_alu 0xfffe
	s_delay_alu instid0(SALU_CYCLE_2) | instskip(SKIP_1) | instid1(SALU_CYCLE_2)
	s_mul_f32 s7, s0, 0x2f800000
	s_wait_alu 0xfffe
	s_trunc_f32 s7, s7
	s_wait_alu 0xfffe
	s_delay_alu instid0(SALU_CYCLE_2) | instskip(SKIP_2) | instid1(SALU_CYCLE_1)
	s_fmamk_f32 s0, s7, 0xcf800000, s0
	s_cvt_u32_f32 s9, s7
	s_wait_alu 0xfffe
	s_cvt_u32_f32 s8, s0
	s_wait_alu 0xfffe
	s_delay_alu instid0(SALU_CYCLE_2)
	s_mul_u64 s[16:17], s[12:13], s[8:9]
	s_wait_alu 0xfffe
	s_mul_hi_u32 s25, s8, s17
	s_mul_i32 s24, s8, s17
	s_mul_hi_u32 s14, s8, s16
	s_mul_i32 s7, s9, s16
	s_wait_alu 0xfffe
	s_add_nc_u64 s[14:15], s[14:15], s[24:25]
	s_mul_hi_u32 s0, s9, s16
	s_mul_hi_u32 s11, s9, s17
	s_wait_alu 0xfffe
	s_add_co_u32 s7, s14, s7
	s_add_co_ci_u32 s18, s15, s0
	s_mul_i32 s16, s9, s17
	s_add_co_ci_u32 s17, s11, 0
	s_wait_alu 0xfffe
	s_add_nc_u64 s[14:15], s[18:19], s[16:17]
	s_mov_b32 s17, s3
	s_wait_alu 0xfffe
	s_add_co_u32 s8, s8, s14
	s_cselect_b32 s0, -1, 0
	s_wait_alu 0xfffe
	s_cmp_lg_u32 s0, 0
	s_add_co_ci_u32 s9, s9, s15
	s_mov_b32 s15, s3
	s_wait_alu 0xfffe
	s_mul_u64 s[12:13], s[12:13], s[8:9]
	s_wait_alu 0xfffe
	s_mul_hi_u32 s19, s8, s13
	s_mul_i32 s18, s8, s13
	s_mul_hi_u32 s16, s8, s12
	s_mul_i32 s3, s9, s12
	s_wait_alu 0xfffe
	s_add_nc_u64 s[16:17], s[16:17], s[18:19]
	s_mul_hi_u32 s0, s9, s12
	s_mul_hi_u32 s7, s9, s13
	s_wait_alu 0xfffe
	s_add_co_u32 s3, s16, s3
	s_add_co_ci_u32 s14, s17, s0
	s_mul_i32 s12, s9, s13
	s_add_co_ci_u32 s13, s7, 0
	s_wait_alu 0xfffe
	s_add_nc_u64 s[12:13], s[14:15], s[12:13]
	s_wait_alu 0xfffe
	s_add_co_u32 s0, s8, s12
	s_cselect_b32 s3, -1, 0
	s_wait_alu 0xfffe
	v_mul_hi_u32 v20, v18, s0
	s_cmp_lg_u32 s3, 0
	v_mad_co_u64_u32 v[10:11], null, v19, s0, 0
	s_add_co_ci_u32 s3, s9, s13
	s_wait_alu 0xfffe
	v_mad_co_u64_u32 v[8:9], null, v18, s3, 0
	v_mad_co_u64_u32 v[15:16], null, v19, s3, 0
	s_delay_alu instid0(VALU_DEP_2) | instskip(SKIP_1) | instid1(VALU_DEP_3)
	v_add_co_u32 v8, vcc_lo, v20, v8
	s_wait_alu 0xfffd
	v_add_co_ci_u32_e64 v9, null, 0, v9, vcc_lo
	s_delay_alu instid0(VALU_DEP_2) | instskip(SKIP_1) | instid1(VALU_DEP_2)
	v_add_co_u32 v8, vcc_lo, v8, v10
	s_wait_alu 0xfffd
	v_add_co_ci_u32_e32 v8, vcc_lo, v9, v11, vcc_lo
	s_wait_alu 0xfffd
	v_add_co_ci_u32_e32 v9, vcc_lo, 0, v16, vcc_lo
	s_delay_alu instid0(VALU_DEP_2) | instskip(SKIP_1) | instid1(VALU_DEP_2)
	v_add_co_u32 v10, vcc_lo, v8, v15
	s_wait_alu 0xfffd
	v_add_co_ci_u32_e64 v11, null, 0, v9, vcc_lo
	s_delay_alu instid0(VALU_DEP_2) | instskip(SKIP_1) | instid1(VALU_DEP_3)
	v_mul_lo_u32 v15, s5, v10
	v_mad_co_u64_u32 v[8:9], null, s4, v10, 0
	v_mul_lo_u32 v16, s4, v11
	s_delay_alu instid0(VALU_DEP_2) | instskip(NEXT) | instid1(VALU_DEP_2)
	v_sub_co_u32 v8, vcc_lo, v18, v8
	v_add3_u32 v9, v9, v16, v15
	v_add_co_u32 v16, s0, v10, 2
	s_wait_alu 0xf1ff
	v_add_co_ci_u32_e64 v18, null, 0, v11, s0
	s_delay_alu instid0(VALU_DEP_3) | instskip(SKIP_3) | instid1(VALU_DEP_3)
	v_sub_nc_u32_e32 v15, v19, v9
	v_sub_co_u32 v20, s0, v8, s4
	s_wait_alu 0xfffd
	v_sub_co_ci_u32_e64 v9, null, v19, v9, vcc_lo
	v_subrev_co_ci_u32_e64 v15, null, s5, v15, vcc_lo
	s_delay_alu instid0(VALU_DEP_3) | instskip(SKIP_1) | instid1(VALU_DEP_2)
	v_cmp_le_u32_e32 vcc_lo, s4, v20
	s_wait_alu 0xf1ff
	v_subrev_co_ci_u32_e64 v15, null, 0, v15, s0
	s_wait_alu 0xfffd
	v_cndmask_b32_e64 v19, 0, -1, vcc_lo
	v_cmp_eq_u32_e64 s0, s5, v9
	s_delay_alu instid0(VALU_DEP_3)
	v_cmp_le_u32_e32 vcc_lo, s5, v15
	s_wait_alu 0xfffd
	v_cndmask_b32_e64 v20, 0, -1, vcc_lo
	v_cmp_le_u32_e32 vcc_lo, s4, v8
	s_wait_alu 0xfffd
	v_cndmask_b32_e64 v8, 0, -1, vcc_lo
	v_cmp_le_u32_e32 vcc_lo, s5, v9
	s_wait_alu 0xfffd
	v_cndmask_b32_e64 v21, 0, -1, vcc_lo
	v_cmp_eq_u32_e32 vcc_lo, s5, v15
	s_wait_alu 0xf1ff
	s_delay_alu instid0(VALU_DEP_2)
	v_cndmask_b32_e64 v8, v21, v8, s0
	s_wait_alu 0xfffd
	v_cndmask_b32_e32 v15, v20, v19, vcc_lo
	v_add_co_u32 v19, vcc_lo, v10, 1
	s_wait_alu 0xfffd
	v_add_co_ci_u32_e64 v20, null, 0, v11, vcc_lo
	s_delay_alu instid0(VALU_DEP_3) | instskip(SKIP_1) | instid1(VALU_DEP_2)
	v_cmp_ne_u32_e32 vcc_lo, 0, v15
	s_wait_alu 0xfffd
	v_cndmask_b32_e32 v9, v20, v18, vcc_lo
	v_cndmask_b32_e32 v15, v19, v16, vcc_lo
	v_cmp_ne_u32_e32 vcc_lo, 0, v8
	s_wait_alu 0xfffd
	s_delay_alu instid0(VALU_DEP_2) | instskip(NEXT) | instid1(VALU_DEP_1)
	v_dual_cndmask_b32 v8, v11, v9 :: v_dual_cndmask_b32 v9, v10, v15
                                        ; implicit-def: $vgpr15
	v_xor_b32_e32 v8, v8, v17
	s_delay_alu instid0(VALU_DEP_2) | instskip(NEXT) | instid1(VALU_DEP_1)
	v_xor_b32_e32 v9, v9, v17
	v_sub_co_u32 v10, vcc_lo, v9, v17
	s_wait_alu 0xfffd
	s_delay_alu instid0(VALU_DEP_3)
	v_sub_co_ci_u32_e64 v11, null, v8, v17, vcc_lo
.LBB80_120:
	s_wait_alu 0xfffe
	s_and_not1_saveexec_b32 s0, s6
	s_cbranch_execz .LBB80_122
; %bb.121:
	v_cvt_f32_u32_e32 v8, s2
	s_delay_alu instid0(VALU_DEP_1) | instskip(NEXT) | instid1(TRANS32_DEP_1)
	v_rcp_iflag_f32_e32 v8, v8
	v_mul_f32_e32 v8, 0x4f7ffffe, v8
	s_delay_alu instid0(VALU_DEP_1) | instskip(NEXT) | instid1(VALU_DEP_1)
	v_cvt_u32_f32_e32 v8, v8
	v_mul_lo_u32 v9, s1, v8
	s_delay_alu instid0(VALU_DEP_1) | instskip(NEXT) | instid1(VALU_DEP_1)
	v_mul_hi_u32 v9, v8, v9
	v_add_nc_u32_e32 v8, v8, v9
	s_delay_alu instid0(VALU_DEP_1) | instskip(NEXT) | instid1(VALU_DEP_1)
	v_mul_hi_u32 v8, v15, v8
	v_mul_lo_u32 v9, v8, s2
	v_add_nc_u32_e32 v10, 1, v8
	s_delay_alu instid0(VALU_DEP_2) | instskip(NEXT) | instid1(VALU_DEP_1)
	v_sub_nc_u32_e32 v9, v15, v9
	v_subrev_nc_u32_e32 v11, s2, v9
	v_cmp_le_u32_e32 vcc_lo, s2, v9
	s_wait_alu 0xfffd
	s_delay_alu instid0(VALU_DEP_2) | instskip(SKIP_1) | instid1(VALU_DEP_2)
	v_dual_cndmask_b32 v9, v9, v11 :: v_dual_cndmask_b32 v8, v8, v10
	v_mov_b32_e32 v11, 0
	v_cmp_le_u32_e32 vcc_lo, s2, v9
	s_delay_alu instid0(VALU_DEP_3) | instskip(SKIP_1) | instid1(VALU_DEP_1)
	v_add_nc_u32_e32 v10, 1, v8
	s_wait_alu 0xfffd
	v_cndmask_b32_e32 v10, v8, v10, vcc_lo
.LBB80_122:
	s_wait_alu 0xfffe
	s_or_b32 exec_lo, exec_lo, s0
	v_mov_b32_e32 v15, 0
	s_mov_b32 s0, exec_lo
	v_cmpx_gt_i64_e64 s[22:23], v[4:5]
	s_cbranch_execz .LBB80_130
; %bb.123:
	s_add_co_i32 s1, s2, -1
	s_wait_alu 0xfffe
	v_dual_mov_b32 v15, 0 :: v_dual_and_b32 v4, s1, v0
	s_mov_b32 s1, exec_lo
	s_delay_alu instid0(VALU_DEP_1)
	v_lshlrev_b32_e32 v16, 2, v4
	v_cmpx_lt_i64_e32 0, v[10:11]
	s_cbranch_execz .LBB80_127
; %bb.124:
	v_dual_mov_b32 v15, 0 :: v_dual_mov_b32 v8, v10
	s_delay_alu instid0(VALU_DEP_3)
	v_lshl_add_u32 v5, v2, 2, v16
	v_mov_b32_e32 v9, v11
	s_lshl_b32 s4, s2, 2
	s_mov_b32 s3, 0
.LBB80_125:                             ; =>This Inner Loop Header: Depth=1
	ds_load_b32 v17, v5
	v_add_co_u32 v8, vcc_lo, v8, -1
	s_wait_alu 0xfffd
	v_add_co_ci_u32_e64 v9, null, -1, v9, vcc_lo
	s_wait_alu 0xfffe
	v_add_nc_u32_e32 v5, s4, v5
	s_delay_alu instid0(VALU_DEP_2)
	v_cmp_eq_u64_e32 vcc_lo, 0, v[8:9]
	s_or_b32 s3, vcc_lo, s3
	s_wait_dscnt 0x0
	v_add_f32_e32 v15, v15, v17
	s_wait_alu 0xfffe
	s_and_not1_b32 exec_lo, exec_lo, s3
	s_cbranch_execnz .LBB80_125
; %bb.126:
	s_or_b32 exec_lo, exec_lo, s3
.LBB80_127:
	s_wait_alu 0xfffe
	s_or_b32 exec_lo, exec_lo, s1
	v_mad_co_u64_u32 v[2:3], null, v10, s2, v[2:3]
	v_mov_b32_e32 v5, 0
	s_mov_b32 s1, exec_lo
	s_delay_alu instid0(VALU_DEP_2) | instskip(NEXT) | instid1(VALU_DEP_3)
	v_mad_co_u64_u32 v[8:9], null, v11, s2, v[3:4]
	v_sub_co_u32 v9, vcc_lo, v12, v2
	s_wait_alu 0xfffd
	s_delay_alu instid0(VALU_DEP_2) | instskip(NEXT) | instid1(VALU_DEP_1)
	v_sub_co_ci_u32_e64 v10, null, v13, v8, vcc_lo
	v_cmpx_gt_i64_e64 v[9:10], v[4:5]
	s_cbranch_execz .LBB80_129
; %bb.128:
	v_lshl_add_u32 v2, v2, 2, v16
	ds_load_b32 v2, v2
	s_wait_dscnt 0x0
	v_add_f32_e32 v15, v15, v2
.LBB80_129:
	s_wait_alu 0xfffe
	s_or_b32 exec_lo, exec_lo, s1
.LBB80_130:
	s_wait_alu 0xfffe
	s_or_b32 exec_lo, exec_lo, s0
	s_wait_storecnt 0x0
	s_barrier_signal -1
	s_barrier_wait -1
	global_inv scope:SCOPE_SE
	ds_store_b32 v14, v15
	s_wait_loadcnt_dscnt 0x0
	s_barrier_signal -1
	s_barrier_wait -1
	global_inv scope:SCOPE_SE
	s_mov_b32 s0, exec_lo
	v_cmpx_gt_i64_e64 s[22:23], v[0:1]
	s_cbranch_execz .LBB80_134
; %bb.131:
	v_mul_lo_u32 v1, s2, v0
	s_delay_alu instid0(VALU_DEP_1)
	v_dual_mov_b32 v1, 0 :: v_dual_lshlrev_b32 v2, 2, v1
.LBB80_132:                             ; =>This Inner Loop Header: Depth=1
	ds_load_b32 v3, v2
	v_add_nc_u32_e32 v2, 4, v2
	s_add_co_i32 s2, s2, -1
	s_wait_alu 0xfffe
	s_cmp_eq_u32 s2, 0
	s_wait_dscnt 0x0
	v_add_f32_e32 v1, v1, v3
	s_cbranch_scc0 .LBB80_132
; %bb.133:
	v_lshlrev_b32_e32 v0, 2, v0
	s_lshl_b32 s0, s10, 2
	v_lshlrev_b64_e32 v[2:3], 2, v[6:7]
	s_wait_alu 0xfffe
	s_delay_alu instid0(VALU_DEP_2)
	v_add3_u32 v0, 0x1000, s0, v0
	ds_load_b32 v0, v0
	s_wait_dscnt 0x0
	v_add_f32_e32 v4, v1, v0
	v_add_co_u32 v0, vcc_lo, s20, v2
	s_wait_alu 0xfffd
	v_add_co_ci_u32_e64 v1, null, s21, v3, vcc_lo
	global_atomic_add_f32 v[0:1], v4, off scope:SCOPE_DEV
.LBB80_134:
	s_endpgm
	.section	.rodata,"a",@progbits
	.p2align	6, 0x0
	.amdhsa_kernel _ZN9rocsparseL27csrmvn_symm_adaptive_kernelIll18rocsparse_bfloat16S1_ffEEvbT_S2_PKS2_NS_24const_host_device_scalarIT4_EES4_PKT0_PKT1_PKT2_S7_PT3_21rocsparse_index_base_b
		.amdhsa_group_segment_fixed_size 4096
		.amdhsa_private_segment_fixed_size 0
		.amdhsa_kernarg_size 352
		.amdhsa_user_sgpr_count 2
		.amdhsa_user_sgpr_dispatch_ptr 0
		.amdhsa_user_sgpr_queue_ptr 0
		.amdhsa_user_sgpr_kernarg_segment_ptr 1
		.amdhsa_user_sgpr_dispatch_id 0
		.amdhsa_user_sgpr_private_segment_size 0
		.amdhsa_wavefront_size32 1
		.amdhsa_uses_dynamic_stack 0
		.amdhsa_enable_private_segment 0
		.amdhsa_system_sgpr_workgroup_id_x 1
		.amdhsa_system_sgpr_workgroup_id_y 0
		.amdhsa_system_sgpr_workgroup_id_z 0
		.amdhsa_system_sgpr_workgroup_info 0
		.amdhsa_system_vgpr_workitem_id 0
		.amdhsa_next_free_vgpr 22
		.amdhsa_next_free_sgpr 42
		.amdhsa_reserve_vcc 1
		.amdhsa_float_round_mode_32 0
		.amdhsa_float_round_mode_16_64 0
		.amdhsa_float_denorm_mode_32 3
		.amdhsa_float_denorm_mode_16_64 3
		.amdhsa_fp16_overflow 0
		.amdhsa_workgroup_processor_mode 1
		.amdhsa_memory_ordered 1
		.amdhsa_forward_progress 1
		.amdhsa_inst_pref_size 74
		.amdhsa_round_robin_scheduling 0
		.amdhsa_exception_fp_ieee_invalid_op 0
		.amdhsa_exception_fp_denorm_src 0
		.amdhsa_exception_fp_ieee_div_zero 0
		.amdhsa_exception_fp_ieee_overflow 0
		.amdhsa_exception_fp_ieee_underflow 0
		.amdhsa_exception_fp_ieee_inexact 0
		.amdhsa_exception_int_div_zero 0
	.end_amdhsa_kernel
	.section	.text._ZN9rocsparseL27csrmvn_symm_adaptive_kernelIll18rocsparse_bfloat16S1_ffEEvbT_S2_PKS2_NS_24const_host_device_scalarIT4_EES4_PKT0_PKT1_PKT2_S7_PT3_21rocsparse_index_base_b,"axG",@progbits,_ZN9rocsparseL27csrmvn_symm_adaptive_kernelIll18rocsparse_bfloat16S1_ffEEvbT_S2_PKS2_NS_24const_host_device_scalarIT4_EES4_PKT0_PKT1_PKT2_S7_PT3_21rocsparse_index_base_b,comdat
.Lfunc_end80:
	.size	_ZN9rocsparseL27csrmvn_symm_adaptive_kernelIll18rocsparse_bfloat16S1_ffEEvbT_S2_PKS2_NS_24const_host_device_scalarIT4_EES4_PKT0_PKT1_PKT2_S7_PT3_21rocsparse_index_base_b, .Lfunc_end80-_ZN9rocsparseL27csrmvn_symm_adaptive_kernelIll18rocsparse_bfloat16S1_ffEEvbT_S2_PKS2_NS_24const_host_device_scalarIT4_EES4_PKT0_PKT1_PKT2_S7_PT3_21rocsparse_index_base_b
                                        ; -- End function
	.set _ZN9rocsparseL27csrmvn_symm_adaptive_kernelIll18rocsparse_bfloat16S1_ffEEvbT_S2_PKS2_NS_24const_host_device_scalarIT4_EES4_PKT0_PKT1_PKT2_S7_PT3_21rocsparse_index_base_b.num_vgpr, 22
	.set _ZN9rocsparseL27csrmvn_symm_adaptive_kernelIll18rocsparse_bfloat16S1_ffEEvbT_S2_PKS2_NS_24const_host_device_scalarIT4_EES4_PKT0_PKT1_PKT2_S7_PT3_21rocsparse_index_base_b.num_agpr, 0
	.set _ZN9rocsparseL27csrmvn_symm_adaptive_kernelIll18rocsparse_bfloat16S1_ffEEvbT_S2_PKS2_NS_24const_host_device_scalarIT4_EES4_PKT0_PKT1_PKT2_S7_PT3_21rocsparse_index_base_b.numbered_sgpr, 42
	.set _ZN9rocsparseL27csrmvn_symm_adaptive_kernelIll18rocsparse_bfloat16S1_ffEEvbT_S2_PKS2_NS_24const_host_device_scalarIT4_EES4_PKT0_PKT1_PKT2_S7_PT3_21rocsparse_index_base_b.num_named_barrier, 0
	.set _ZN9rocsparseL27csrmvn_symm_adaptive_kernelIll18rocsparse_bfloat16S1_ffEEvbT_S2_PKS2_NS_24const_host_device_scalarIT4_EES4_PKT0_PKT1_PKT2_S7_PT3_21rocsparse_index_base_b.private_seg_size, 0
	.set _ZN9rocsparseL27csrmvn_symm_adaptive_kernelIll18rocsparse_bfloat16S1_ffEEvbT_S2_PKS2_NS_24const_host_device_scalarIT4_EES4_PKT0_PKT1_PKT2_S7_PT3_21rocsparse_index_base_b.uses_vcc, 1
	.set _ZN9rocsparseL27csrmvn_symm_adaptive_kernelIll18rocsparse_bfloat16S1_ffEEvbT_S2_PKS2_NS_24const_host_device_scalarIT4_EES4_PKT0_PKT1_PKT2_S7_PT3_21rocsparse_index_base_b.uses_flat_scratch, 0
	.set _ZN9rocsparseL27csrmvn_symm_adaptive_kernelIll18rocsparse_bfloat16S1_ffEEvbT_S2_PKS2_NS_24const_host_device_scalarIT4_EES4_PKT0_PKT1_PKT2_S7_PT3_21rocsparse_index_base_b.has_dyn_sized_stack, 0
	.set _ZN9rocsparseL27csrmvn_symm_adaptive_kernelIll18rocsparse_bfloat16S1_ffEEvbT_S2_PKS2_NS_24const_host_device_scalarIT4_EES4_PKT0_PKT1_PKT2_S7_PT3_21rocsparse_index_base_b.has_recursion, 0
	.set _ZN9rocsparseL27csrmvn_symm_adaptive_kernelIll18rocsparse_bfloat16S1_ffEEvbT_S2_PKS2_NS_24const_host_device_scalarIT4_EES4_PKT0_PKT1_PKT2_S7_PT3_21rocsparse_index_base_b.has_indirect_call, 0
	.section	.AMDGPU.csdata,"",@progbits
; Kernel info:
; codeLenInByte = 9416
; TotalNumSgprs: 44
; NumVgprs: 22
; ScratchSize: 0
; MemoryBound: 0
; FloatMode: 240
; IeeeMode: 1
; LDSByteSize: 4096 bytes/workgroup (compile time only)
; SGPRBlocks: 0
; VGPRBlocks: 2
; NumSGPRsForWavesPerEU: 44
; NumVGPRsForWavesPerEU: 22
; Occupancy: 16
; WaveLimiterHint : 1
; COMPUTE_PGM_RSRC2:SCRATCH_EN: 0
; COMPUTE_PGM_RSRC2:USER_SGPR: 2
; COMPUTE_PGM_RSRC2:TRAP_HANDLER: 0
; COMPUTE_PGM_RSRC2:TGID_X_EN: 1
; COMPUTE_PGM_RSRC2:TGID_Y_EN: 0
; COMPUTE_PGM_RSRC2:TGID_Z_EN: 0
; COMPUTE_PGM_RSRC2:TIDIG_COMP_CNT: 0
	.section	.text._ZL33csrmvn_symm_large_adaptive_kernelIll18rocsparse_bfloat16S0_ffEvbT_PKS1_N9rocsparse24const_host_device_scalarIT4_EES3_PKT0_PKT1_PKT2_S7_PT3_21rocsparse_index_base_b,"axG",@progbits,_ZL33csrmvn_symm_large_adaptive_kernelIll18rocsparse_bfloat16S0_ffEvbT_PKS1_N9rocsparse24const_host_device_scalarIT4_EES3_PKT0_PKT1_PKT2_S7_PT3_21rocsparse_index_base_b,comdat
	.globl	_ZL33csrmvn_symm_large_adaptive_kernelIll18rocsparse_bfloat16S0_ffEvbT_PKS1_N9rocsparse24const_host_device_scalarIT4_EES3_PKT0_PKT1_PKT2_S7_PT3_21rocsparse_index_base_b ; -- Begin function _ZL33csrmvn_symm_large_adaptive_kernelIll18rocsparse_bfloat16S0_ffEvbT_PKS1_N9rocsparse24const_host_device_scalarIT4_EES3_PKT0_PKT1_PKT2_S7_PT3_21rocsparse_index_base_b
	.p2align	8
	.type	_ZL33csrmvn_symm_large_adaptive_kernelIll18rocsparse_bfloat16S0_ffEvbT_PKS1_N9rocsparse24const_host_device_scalarIT4_EES3_PKT0_PKT1_PKT2_S7_PT3_21rocsparse_index_base_b,@function
_ZL33csrmvn_symm_large_adaptive_kernelIll18rocsparse_bfloat16S0_ffEvbT_PKS1_N9rocsparse24const_host_device_scalarIT4_EES3_PKT0_PKT1_PKT2_S7_PT3_21rocsparse_index_base_b: ; @_ZL33csrmvn_symm_large_adaptive_kernelIll18rocsparse_bfloat16S0_ffEvbT_PKS1_N9rocsparse24const_host_device_scalarIT4_EES3_PKT0_PKT1_PKT2_S7_PT3_21rocsparse_index_base_b
; %bb.0:
	s_clause 0x2
	s_load_b64 s[6:7], s[0:1], 0x50
	s_load_b64 s[20:21], s[0:1], 0x18
	;; [unrolled: 1-line block ×3, first 2 shown]
	s_wait_kmcnt 0x0
	s_bitcmp1_b32 s7, 0
	s_cselect_b32 s4, -1, 0
	s_delay_alu instid0(SALU_CYCLE_1)
	s_and_b32 vcc_lo, exec_lo, s4
	s_xor_b32 s4, s4, -1
	s_cbranch_vccnz .LBB81_2
; %bb.1:
	s_load_b32 s20, s[20:21], 0x0
.LBB81_2:
	s_and_not1_b32 vcc_lo, exec_lo, s4
	s_cbranch_vccnz .LBB81_4
; %bb.3:
	s_load_b32 s2, s[2:3], 0x0
.LBB81_4:
	s_wait_kmcnt 0x0
	s_cmp_neq_f32 s20, 0
	s_mov_b32 s7, 0
	s_cselect_b32 s3, -1, 0
	s_cmp_neq_f32 s2, 1.0
	s_cselect_b32 s2, -1, 0
	s_delay_alu instid0(SALU_CYCLE_1) | instskip(NEXT) | instid1(SALU_CYCLE_1)
	s_or_b32 s2, s3, s2
	s_and_not1_b32 vcc_lo, exec_lo, s2
	s_cbranch_vccnz .LBB81_34
; %bb.5:
	s_load_b64 s[4:5], s[0:1], 0x10
	s_mov_b32 s2, ttmp9
	s_ashr_i32 s3, ttmp9, 31
	v_dual_mov_b32 v7, 0 :: v_dual_lshlrev_b32 v6, 2, v0
	s_lshl_b64 s[2:3], s[2:3], 3
	ds_store_2addr_stride64_b32 v6, v7, v7 offset1:4
	ds_store_2addr_stride64_b32 v6, v7, v7 offset0:8 offset1:12
	s_wait_dscnt 0x0
	s_barrier_signal -1
	s_barrier_wait -1
	global_inv scope:SCOPE_SE
	s_wait_kmcnt 0x0
	s_add_nc_u64 s[2:3], s[4:5], s[2:3]
	s_load_b128 s[16:19], s[2:3], 0x0
	s_clause 0x1
	s_load_b256 s[8:15], s[0:1], 0x20
	s_load_b64 s[22:23], s[0:1], 0x48
	v_sub_co_u32 v8, s1, v0, s6
	s_delay_alu instid0(VALU_DEP_1)
	v_sub_co_ci_u32_e64 v9, null, 0, 0, s1
	s_wait_kmcnt 0x0
	v_cmp_ge_i64_e64 s0, s[16:17], s[18:19]
	s_and_b32 vcc_lo, exec_lo, s0
	s_cbranch_vccnz .LBB81_25
; %bb.6:
	v_cmp_gt_u32_e64 s0, 0x100, v0
	v_cmp_gt_u32_e64 s1, 64, v0
	;; [unrolled: 1-line block ×4, first 2 shown]
	v_cmp_eq_u32_e64 s4, 0, v0
	s_mov_b64 s[24:25], s[16:17]
	s_branch .LBB81_8
.LBB81_7:                               ;   in Loop: Header=BB81_8 Depth=1
	s_wait_alu 0xfffe
	s_or_b32 exec_lo, exec_lo, s5
	s_add_nc_u64 s[24:25], s[24:25], 1
	s_wait_alu 0xfffe
	v_cmp_ge_i64_e64 s5, s[24:25], s[18:19]
	s_and_b32 vcc_lo, exec_lo, s5
	s_wait_alu 0xfffe
	s_cbranch_vccnz .LBB81_25
.LBB81_8:                               ; =>This Loop Header: Depth=1
                                        ;     Child Loop BB81_10 Depth 2
	s_lshl_b64 s[26:27], s[24:25], 3
	v_mov_b32_e32 v10, 0
	s_wait_alu 0xfffe
	s_add_nc_u64 s[26:27], s[8:9], s[26:27]
	s_mov_b32 s21, exec_lo
	s_load_b128 s[28:31], s[26:27], 0x0
	s_wait_kmcnt 0x0
	v_add_co_u32 v0, vcc_lo, s28, v8
	s_wait_alu 0xfffd
	v_add_co_ci_u32_e64 v1, null, s29, v9, vcc_lo
	s_sub_nc_u64 s[26:27], s[30:31], s[6:7]
	s_wait_alu 0xfffe
	v_cmpx_gt_i64_e64 s[26:27], v[0:1]
	s_cbranch_execz .LBB81_12
; %bb.9:                                ;   in Loop: Header=BB81_8 Depth=1
	v_lshlrev_b64_e32 v[2:3], 3, v[0:1]
	v_lshlrev_b64_e32 v[4:5], 1, v[0:1]
	v_mov_b32_e32 v10, 0
	s_mov_b32 s28, 0
	s_delay_alu instid0(VALU_DEP_3)
	v_add_co_u32 v2, vcc_lo, s10, v2
	s_wait_alu 0xfffd
	v_add_co_ci_u32_e64 v3, null, s11, v3, vcc_lo
	v_add_co_u32 v4, vcc_lo, s12, v4
	s_wait_alu 0xfffd
	v_add_co_ci_u32_e64 v5, null, s13, v5, vcc_lo
.LBB81_10:                              ;   Parent Loop BB81_8 Depth=1
                                        ; =>  This Inner Loop Header: Depth=2
	global_load_b64 v[11:12], v[2:3], off
	s_wait_loadcnt 0x0
	v_sub_co_u32 v11, vcc_lo, v11, s6
	s_wait_alu 0xfffd
	v_subrev_co_ci_u32_e64 v12, null, 0, v12, vcc_lo
	s_delay_alu instid0(VALU_DEP_1) | instskip(NEXT) | instid1(VALU_DEP_1)
	v_lshlrev_b64_e32 v[11:12], 1, v[11:12]
	v_add_co_u32 v11, vcc_lo, s14, v11
	s_wait_alu 0xfffd
	s_delay_alu instid0(VALU_DEP_2)
	v_add_co_ci_u32_e64 v12, null, s15, v12, vcc_lo
	v_add_co_u32 v0, vcc_lo, 0x100, v0
	global_load_u16 v13, v[4:5], off
	global_load_u16 v11, v[11:12], off
	s_wait_alu 0xfffd
	v_add_co_ci_u32_e64 v1, null, 0, v1, vcc_lo
	v_add_co_u32 v2, vcc_lo, 0x800, v2
	s_wait_alu 0xfffd
	v_add_co_ci_u32_e64 v3, null, 0, v3, vcc_lo
	s_delay_alu instid0(VALU_DEP_3)
	v_cmp_le_i64_e32 vcc_lo, s[26:27], v[0:1]
	v_add_co_u32 v4, s5, 0x200, v4
	s_wait_alu 0xf1ff
	v_add_co_ci_u32_e64 v5, null, 0, v5, s5
	s_wait_alu 0xfffe
	s_or_b32 s28, vcc_lo, s28
	s_wait_loadcnt 0x1
	v_lshlrev_b32_e32 v12, 16, v13
	s_wait_loadcnt 0x0
	v_lshlrev_b32_e32 v11, 16, v11
	s_delay_alu instid0(VALU_DEP_1)
	v_fmac_f32_e32 v10, v12, v11
	s_wait_alu 0xfffe
	s_and_not1_b32 exec_lo, exec_lo, s28
	s_cbranch_execnz .LBB81_10
; %bb.11:                               ;   in Loop: Header=BB81_8 Depth=1
	s_or_b32 exec_lo, exec_lo, s28
.LBB81_12:                              ;   in Loop: Header=BB81_8 Depth=1
	s_delay_alu instid0(SALU_CYCLE_1)
	s_or_b32 exec_lo, exec_lo, s21
	ds_store_b32 v6, v10
	s_wait_loadcnt_dscnt 0x0
	s_barrier_signal -1
	s_barrier_wait -1
	global_inv scope:SCOPE_SE
	s_and_saveexec_b32 s5, s0
	s_cbranch_execz .LBB81_14
; %bb.13:                               ;   in Loop: Header=BB81_8 Depth=1
	ds_load_2addr_stride64_b32 v[0:1], v6 offset1:4
	ds_load_2addr_stride64_b32 v[2:3], v6 offset0:8 offset1:12
	s_wait_dscnt 0x0
	v_add_f32_e32 v1, v1, v2
	s_delay_alu instid0(VALU_DEP_1) | instskip(NEXT) | instid1(VALU_DEP_1)
	v_add_f32_e32 v1, v1, v3
	v_add_f32_e32 v0, v0, v1
	ds_store_b32 v6, v0
.LBB81_14:                              ;   in Loop: Header=BB81_8 Depth=1
	s_wait_alu 0xfffe
	s_or_b32 exec_lo, exec_lo, s5
	s_wait_loadcnt_dscnt 0x0
	s_barrier_signal -1
	s_barrier_wait -1
	global_inv scope:SCOPE_SE
	s_and_saveexec_b32 s5, s1
	s_cbranch_execz .LBB81_16
; %bb.15:                               ;   in Loop: Header=BB81_8 Depth=1
	ds_load_2addr_stride64_b32 v[0:1], v6 offset1:1
	ds_load_2addr_stride64_b32 v[2:3], v6 offset0:2 offset1:3
	s_wait_dscnt 0x0
	v_add_f32_e32 v1, v1, v2
	s_delay_alu instid0(VALU_DEP_1) | instskip(NEXT) | instid1(VALU_DEP_1)
	v_add_f32_e32 v1, v1, v3
	v_add_f32_e32 v0, v0, v1
	ds_store_b32 v6, v0
.LBB81_16:                              ;   in Loop: Header=BB81_8 Depth=1
	s_wait_alu 0xfffe
	s_or_b32 exec_lo, exec_lo, s5
	s_wait_loadcnt_dscnt 0x0
	s_barrier_signal -1
	s_barrier_wait -1
	global_inv scope:SCOPE_SE
	s_and_saveexec_b32 s5, s2
	s_cbranch_execz .LBB81_18
; %bb.17:                               ;   in Loop: Header=BB81_8 Depth=1
	ds_load_2addr_b32 v[0:1], v6 offset1:16
	ds_load_2addr_b32 v[2:3], v6 offset0:32 offset1:48
	s_wait_dscnt 0x0
	v_add_f32_e32 v1, v1, v2
	s_delay_alu instid0(VALU_DEP_1) | instskip(NEXT) | instid1(VALU_DEP_1)
	v_add_f32_e32 v1, v1, v3
	v_add_f32_e32 v0, v0, v1
	ds_store_b32 v6, v0
.LBB81_18:                              ;   in Loop: Header=BB81_8 Depth=1
	s_wait_alu 0xfffe
	s_or_b32 exec_lo, exec_lo, s5
	s_wait_loadcnt_dscnt 0x0
	s_barrier_signal -1
	s_barrier_wait -1
	global_inv scope:SCOPE_SE
	s_and_saveexec_b32 s5, s3
	s_cbranch_execz .LBB81_20
; %bb.19:                               ;   in Loop: Header=BB81_8 Depth=1
	ds_load_2addr_b32 v[0:1], v6 offset1:4
	ds_load_2addr_b32 v[2:3], v6 offset0:8 offset1:12
	s_wait_dscnt 0x0
	v_add_f32_e32 v1, v1, v2
	s_delay_alu instid0(VALU_DEP_1) | instskip(NEXT) | instid1(VALU_DEP_1)
	v_add_f32_e32 v1, v1, v3
	v_add_f32_e32 v0, v0, v1
	ds_store_b32 v6, v0
.LBB81_20:                              ;   in Loop: Header=BB81_8 Depth=1
	s_wait_alu 0xfffe
	s_or_b32 exec_lo, exec_lo, s5
	s_wait_loadcnt_dscnt 0x0
	s_barrier_signal -1
	s_barrier_wait -1
	global_inv scope:SCOPE_SE
	s_and_saveexec_b32 s5, s4
	s_cbranch_execz .LBB81_22
; %bb.21:                               ;   in Loop: Header=BB81_8 Depth=1
	ds_load_2addr_b32 v[0:1], v7 offset0:1 offset1:2
	ds_load_b32 v2, v7 offset:12
	ds_load_b32 v3, v6
	s_wait_dscnt 0x2
	v_add_f32_e32 v0, v0, v1
	s_wait_dscnt 0x1
	s_delay_alu instid0(VALU_DEP_1) | instskip(SKIP_1) | instid1(VALU_DEP_1)
	v_add_f32_e32 v0, v0, v2
	s_wait_dscnt 0x0
	v_add_f32_e32 v0, v3, v0
	ds_store_b32 v6, v0
.LBB81_22:                              ;   in Loop: Header=BB81_8 Depth=1
	s_wait_alu 0xfffe
	s_or_b32 exec_lo, exec_lo, s5
	s_wait_loadcnt_dscnt 0x0
	s_barrier_signal -1
	s_barrier_wait -1
	global_inv scope:SCOPE_SE
	s_and_saveexec_b32 s5, s4
	s_cbranch_execz .LBB81_7
; %bb.23:                               ;   in Loop: Header=BB81_8 Depth=1
	s_mov_b32 s21, exec_lo
	s_wait_alu 0xfffe
	v_mbcnt_lo_u32_b32 v0, s21, 0
	s_delay_alu instid0(VALU_DEP_1)
	v_cmp_eq_u32_e32 vcc_lo, 0, v0
	s_and_b32 s26, exec_lo, vcc_lo
	s_wait_alu 0xfffe
	s_mov_b32 exec_lo, s26
	s_cbranch_execz .LBB81_7
; %bb.24:                               ;   in Loop: Header=BB81_8 Depth=1
	ds_load_b32 v0, v7
	s_bcnt1_i32_b32 s21, s21
	s_lshl_b64 s[26:27], s[24:25], 2
	s_wait_alu 0xfffe
	v_cvt_f32_ubyte0_e32 v1, s21
	s_add_nc_u64 s[26:27], s[22:23], s[26:27]
	s_wait_dscnt 0x0
	v_mul_f32_e32 v0, s20, v0
	s_delay_alu instid0(VALU_DEP_1)
	v_mul_f32_e32 v0, v0, v1
	global_atomic_add_f32 v7, v0, s[26:27] scope:SCOPE_DEV
	s_branch .LBB81_7
.LBB81_25:
	s_lshl_b64 s[0:1], s[16:17], 3
	s_lshl_b64 s[2:3], s[18:19], 3
	s_wait_alu 0xfffe
	s_add_nc_u64 s[0:1], s[8:9], s[0:1]
	s_add_nc_u64 s[2:3], s[8:9], s[2:3]
	s_clause 0x1
	s_load_b64 s[0:1], s[0:1], 0x0
	s_load_b64 s[2:3], s[2:3], 0x0
	s_wait_kmcnt 0x0
	v_add_co_u32 v0, vcc_lo, s0, v8
	s_wait_alu 0xfffd
	v_add_co_ci_u32_e64 v1, null, s1, v9, vcc_lo
	s_sub_nc_u64 s[2:3], s[2:3], s[6:7]
	s_mov_b32 s0, exec_lo
	v_cmpx_gt_i64_e64 s[2:3], v[0:1]
	s_cbranch_execz .LBB81_34
; %bb.26:
	s_add_nc_u64 s[4:5], s[18:19], -1
	s_add_nc_u64 s[0:1], s[18:19], -2
	s_wait_alu 0xfffe
	v_cmp_lt_i64_e64 s7, s[16:17], s[4:5]
	s_cmp_lg_u64 s[16:17], s[0:1]
	s_cselect_b32 s0, -1, 0
	s_wait_alu 0xfffe
	s_and_b32 s1, s7, s0
	s_mov_b32 s7, 0
	s_branch .LBB81_28
.LBB81_27:                              ;   in Loop: Header=BB81_28 Depth=1
	s_wait_alu 0xfffe
	s_or_b32 exec_lo, exec_lo, s0
	v_add_co_u32 v0, vcc_lo, 0x100, v0
	s_wait_alu 0xfffd
	v_add_co_ci_u32_e64 v1, null, 0, v1, vcc_lo
	s_delay_alu instid0(VALU_DEP_1)
	v_cmp_le_i64_e32 vcc_lo, s[2:3], v[0:1]
	s_or_b32 s7, vcc_lo, s7
	s_wait_alu 0xfffe
	s_and_not1_b32 exec_lo, exec_lo, s7
	s_cbranch_execz .LBB81_34
.LBB81_28:                              ; =>This Loop Header: Depth=1
                                        ;     Child Loop BB81_30 Depth 2
	v_dual_mov_b32 v2, s16 :: v_dual_mov_b32 v3, s17
	v_dual_mov_b32 v4, s4 :: v_dual_mov_b32 v5, s5
	s_wait_alu 0xfffe
	s_and_not1_b32 vcc_lo, exec_lo, s1
	s_wait_alu 0xfffe
	s_cbranch_vccnz .LBB81_32
; %bb.29:                               ;   in Loop: Header=BB81_28 Depth=1
	v_dual_mov_b32 v2, s16 :: v_dual_mov_b32 v3, s17
	v_dual_mov_b32 v4, s4 :: v_dual_mov_b32 v5, s5
	s_mov_b32 s18, 0
.LBB81_30:                              ;   Parent Loop BB81_28 Depth=1
                                        ; =>  This Inner Loop Header: Depth=2
	s_delay_alu instid0(VALU_DEP_1) | instskip(SKIP_1) | instid1(VALU_DEP_2)
	v_add_co_u32 v6, vcc_lo, v4, v2
	s_wait_alu 0xfffd
	v_add_co_ci_u32_e64 v7, null, v5, v3, vcc_lo
	s_delay_alu instid0(VALU_DEP_1) | instskip(NEXT) | instid1(VALU_DEP_1)
	v_lshrrev_b32_e32 v8, 31, v7
	v_add_co_u32 v6, vcc_lo, v6, v8
	s_wait_alu 0xfffd
	v_add_co_ci_u32_e64 v7, null, 0, v7, vcc_lo
	s_delay_alu instid0(VALU_DEP_1) | instskip(NEXT) | instid1(VALU_DEP_1)
	v_ashrrev_i64 v[6:7], 1, v[6:7]
	v_lshlrev_b64_e32 v[8:9], 3, v[6:7]
	s_delay_alu instid0(VALU_DEP_1) | instskip(SKIP_1) | instid1(VALU_DEP_2)
	v_add_co_u32 v8, vcc_lo, s8, v8
	s_wait_alu 0xfffd
	v_add_co_ci_u32_e64 v9, null, s9, v9, vcc_lo
	global_load_b64 v[8:9], v[8:9], off
	s_wait_loadcnt 0x0
	v_sub_co_u32 v8, vcc_lo, v8, s6
	s_wait_alu 0xfffd
	v_subrev_co_ci_u32_e64 v9, null, 0, v9, vcc_lo
	s_delay_alu instid0(VALU_DEP_1) | instskip(SKIP_3) | instid1(VALU_DEP_2)
	v_cmp_lt_i64_e32 vcc_lo, v[0:1], v[8:9]
	s_wait_alu 0xfffd
	v_dual_cndmask_b32 v5, v5, v7 :: v_dual_cndmask_b32 v4, v4, v6
	v_dual_cndmask_b32 v3, v7, v3 :: v_dual_cndmask_b32 v2, v6, v2
	v_add_co_u32 v6, vcc_lo, v4, -1
	s_wait_alu 0xfffd
	s_delay_alu instid0(VALU_DEP_3) | instskip(NEXT) | instid1(VALU_DEP_3)
	v_add_co_ci_u32_e64 v7, null, -1, v5, vcc_lo
	v_cmp_ge_i64_e32 vcc_lo, v[2:3], v[4:5]
	s_delay_alu instid0(VALU_DEP_2)
	v_cmp_eq_u64_e64 s0, v[2:3], v[6:7]
	s_or_b32 s0, vcc_lo, s0
	s_wait_alu 0xfffe
	s_and_b32 s0, exec_lo, s0
	s_wait_alu 0xfffe
	s_or_b32 s18, s0, s18
	s_wait_alu 0xfffe
	s_and_not1_b32 exec_lo, exec_lo, s18
	s_cbranch_execnz .LBB81_30
; %bb.31:                               ;   in Loop: Header=BB81_28 Depth=1
	s_or_b32 exec_lo, exec_lo, s18
.LBB81_32:                              ;   in Loop: Header=BB81_28 Depth=1
	v_lshlrev_b64_e32 v[6:7], 3, v[4:5]
	v_lshlrev_b64_e32 v[8:9], 3, v[0:1]
	s_mov_b32 s0, exec_lo
	s_delay_alu instid0(VALU_DEP_2) | instskip(SKIP_1) | instid1(VALU_DEP_3)
	v_add_co_u32 v6, vcc_lo, s8, v6
	s_wait_alu 0xfffd
	v_add_co_ci_u32_e64 v7, null, s9, v7, vcc_lo
	s_delay_alu instid0(VALU_DEP_3)
	v_add_co_u32 v8, vcc_lo, s10, v8
	s_wait_alu 0xfffd
	v_add_co_ci_u32_e64 v9, null, s11, v9, vcc_lo
	global_load_b64 v[6:7], v[6:7], off
	global_load_b64 v[8:9], v[8:9], off
	s_wait_loadcnt 0x1
	v_sub_co_u32 v6, vcc_lo, v6, s6
	s_wait_alu 0xfffd
	v_subrev_co_ci_u32_e64 v7, null, 0, v7, vcc_lo
	s_delay_alu instid0(VALU_DEP_1)
	v_cmp_lt_i64_e32 vcc_lo, v[0:1], v[6:7]
	s_wait_alu 0xfffd
	v_dual_cndmask_b32 v5, v5, v3 :: v_dual_cndmask_b32 v4, v4, v2
	s_wait_loadcnt 0x0
	v_sub_co_u32 v2, vcc_lo, v8, s6
	s_wait_alu 0xfffd
	v_subrev_co_ci_u32_e64 v3, null, 0, v9, vcc_lo
	s_delay_alu instid0(VALU_DEP_1)
	v_cmpx_ne_u64_e64 v[2:3], v[4:5]
	s_cbranch_execz .LBB81_27
; %bb.33:                               ;   in Loop: Header=BB81_28 Depth=1
	v_lshlrev_b64_e32 v[6:7], 1, v[0:1]
	v_lshlrev_b64_e32 v[4:5], 1, v[4:5]
	;; [unrolled: 1-line block ×3, first 2 shown]
	s_delay_alu instid0(VALU_DEP_3) | instskip(SKIP_1) | instid1(VALU_DEP_4)
	v_add_co_u32 v6, vcc_lo, s12, v6
	s_wait_alu 0xfffd
	v_add_co_ci_u32_e64 v7, null, s13, v7, vcc_lo
	s_delay_alu instid0(VALU_DEP_4)
	v_add_co_u32 v4, vcc_lo, s14, v4
	s_wait_alu 0xfffd
	v_add_co_ci_u32_e64 v5, null, s15, v5, vcc_lo
	global_load_u16 v6, v[6:7], off
	v_add_co_u32 v2, vcc_lo, s22, v2
	global_load_u16 v4, v[4:5], off
	s_wait_alu 0xfffd
	v_add_co_ci_u32_e64 v3, null, s23, v3, vcc_lo
	s_wait_loadcnt 0x1
	v_lshlrev_b32_e32 v5, 16, v6
	s_wait_loadcnt 0x0
	s_delay_alu instid0(VALU_DEP_1) | instskip(NEXT) | instid1(VALU_DEP_1)
	v_dual_mul_f32 v5, s20, v5 :: v_dual_lshlrev_b32 v4, 16, v4
	v_mul_f32_e32 v4, v5, v4
	global_atomic_add_f32 v[2:3], v4, off scope:SCOPE_DEV
	s_branch .LBB81_27
.LBB81_34:
	s_endpgm
	.section	.rodata,"a",@progbits
	.p2align	6, 0x0
	.amdhsa_kernel _ZL33csrmvn_symm_large_adaptive_kernelIll18rocsparse_bfloat16S0_ffEvbT_PKS1_N9rocsparse24const_host_device_scalarIT4_EES3_PKT0_PKT1_PKT2_S7_PT3_21rocsparse_index_base_b
		.amdhsa_group_segment_fixed_size 4096
		.amdhsa_private_segment_fixed_size 0
		.amdhsa_kernarg_size 88
		.amdhsa_user_sgpr_count 2
		.amdhsa_user_sgpr_dispatch_ptr 0
		.amdhsa_user_sgpr_queue_ptr 0
		.amdhsa_user_sgpr_kernarg_segment_ptr 1
		.amdhsa_user_sgpr_dispatch_id 0
		.amdhsa_user_sgpr_private_segment_size 0
		.amdhsa_wavefront_size32 1
		.amdhsa_uses_dynamic_stack 0
		.amdhsa_enable_private_segment 0
		.amdhsa_system_sgpr_workgroup_id_x 1
		.amdhsa_system_sgpr_workgroup_id_y 0
		.amdhsa_system_sgpr_workgroup_id_z 0
		.amdhsa_system_sgpr_workgroup_info 0
		.amdhsa_system_vgpr_workitem_id 0
		.amdhsa_next_free_vgpr 14
		.amdhsa_next_free_sgpr 32
		.amdhsa_reserve_vcc 1
		.amdhsa_float_round_mode_32 0
		.amdhsa_float_round_mode_16_64 0
		.amdhsa_float_denorm_mode_32 3
		.amdhsa_float_denorm_mode_16_64 3
		.amdhsa_fp16_overflow 0
		.amdhsa_workgroup_processor_mode 1
		.amdhsa_memory_ordered 1
		.amdhsa_forward_progress 1
		.amdhsa_inst_pref_size 17
		.amdhsa_round_robin_scheduling 0
		.amdhsa_exception_fp_ieee_invalid_op 0
		.amdhsa_exception_fp_denorm_src 0
		.amdhsa_exception_fp_ieee_div_zero 0
		.amdhsa_exception_fp_ieee_overflow 0
		.amdhsa_exception_fp_ieee_underflow 0
		.amdhsa_exception_fp_ieee_inexact 0
		.amdhsa_exception_int_div_zero 0
	.end_amdhsa_kernel
	.section	.text._ZL33csrmvn_symm_large_adaptive_kernelIll18rocsparse_bfloat16S0_ffEvbT_PKS1_N9rocsparse24const_host_device_scalarIT4_EES3_PKT0_PKT1_PKT2_S7_PT3_21rocsparse_index_base_b,"axG",@progbits,_ZL33csrmvn_symm_large_adaptive_kernelIll18rocsparse_bfloat16S0_ffEvbT_PKS1_N9rocsparse24const_host_device_scalarIT4_EES3_PKT0_PKT1_PKT2_S7_PT3_21rocsparse_index_base_b,comdat
.Lfunc_end81:
	.size	_ZL33csrmvn_symm_large_adaptive_kernelIll18rocsparse_bfloat16S0_ffEvbT_PKS1_N9rocsparse24const_host_device_scalarIT4_EES3_PKT0_PKT1_PKT2_S7_PT3_21rocsparse_index_base_b, .Lfunc_end81-_ZL33csrmvn_symm_large_adaptive_kernelIll18rocsparse_bfloat16S0_ffEvbT_PKS1_N9rocsparse24const_host_device_scalarIT4_EES3_PKT0_PKT1_PKT2_S7_PT3_21rocsparse_index_base_b
                                        ; -- End function
	.set _ZL33csrmvn_symm_large_adaptive_kernelIll18rocsparse_bfloat16S0_ffEvbT_PKS1_N9rocsparse24const_host_device_scalarIT4_EES3_PKT0_PKT1_PKT2_S7_PT3_21rocsparse_index_base_b.num_vgpr, 14
	.set _ZL33csrmvn_symm_large_adaptive_kernelIll18rocsparse_bfloat16S0_ffEvbT_PKS1_N9rocsparse24const_host_device_scalarIT4_EES3_PKT0_PKT1_PKT2_S7_PT3_21rocsparse_index_base_b.num_agpr, 0
	.set _ZL33csrmvn_symm_large_adaptive_kernelIll18rocsparse_bfloat16S0_ffEvbT_PKS1_N9rocsparse24const_host_device_scalarIT4_EES3_PKT0_PKT1_PKT2_S7_PT3_21rocsparse_index_base_b.numbered_sgpr, 32
	.set _ZL33csrmvn_symm_large_adaptive_kernelIll18rocsparse_bfloat16S0_ffEvbT_PKS1_N9rocsparse24const_host_device_scalarIT4_EES3_PKT0_PKT1_PKT2_S7_PT3_21rocsparse_index_base_b.num_named_barrier, 0
	.set _ZL33csrmvn_symm_large_adaptive_kernelIll18rocsparse_bfloat16S0_ffEvbT_PKS1_N9rocsparse24const_host_device_scalarIT4_EES3_PKT0_PKT1_PKT2_S7_PT3_21rocsparse_index_base_b.private_seg_size, 0
	.set _ZL33csrmvn_symm_large_adaptive_kernelIll18rocsparse_bfloat16S0_ffEvbT_PKS1_N9rocsparse24const_host_device_scalarIT4_EES3_PKT0_PKT1_PKT2_S7_PT3_21rocsparse_index_base_b.uses_vcc, 1
	.set _ZL33csrmvn_symm_large_adaptive_kernelIll18rocsparse_bfloat16S0_ffEvbT_PKS1_N9rocsparse24const_host_device_scalarIT4_EES3_PKT0_PKT1_PKT2_S7_PT3_21rocsparse_index_base_b.uses_flat_scratch, 0
	.set _ZL33csrmvn_symm_large_adaptive_kernelIll18rocsparse_bfloat16S0_ffEvbT_PKS1_N9rocsparse24const_host_device_scalarIT4_EES3_PKT0_PKT1_PKT2_S7_PT3_21rocsparse_index_base_b.has_dyn_sized_stack, 0
	.set _ZL33csrmvn_symm_large_adaptive_kernelIll18rocsparse_bfloat16S0_ffEvbT_PKS1_N9rocsparse24const_host_device_scalarIT4_EES3_PKT0_PKT1_PKT2_S7_PT3_21rocsparse_index_base_b.has_recursion, 0
	.set _ZL33csrmvn_symm_large_adaptive_kernelIll18rocsparse_bfloat16S0_ffEvbT_PKS1_N9rocsparse24const_host_device_scalarIT4_EES3_PKT0_PKT1_PKT2_S7_PT3_21rocsparse_index_base_b.has_indirect_call, 0
	.section	.AMDGPU.csdata,"",@progbits
; Kernel info:
; codeLenInByte = 2076
; TotalNumSgprs: 34
; NumVgprs: 14
; ScratchSize: 0
; MemoryBound: 0
; FloatMode: 240
; IeeeMode: 1
; LDSByteSize: 4096 bytes/workgroup (compile time only)
; SGPRBlocks: 0
; VGPRBlocks: 1
; NumSGPRsForWavesPerEU: 34
; NumVGPRsForWavesPerEU: 14
; Occupancy: 16
; WaveLimiterHint : 1
; COMPUTE_PGM_RSRC2:SCRATCH_EN: 0
; COMPUTE_PGM_RSRC2:USER_SGPR: 2
; COMPUTE_PGM_RSRC2:TRAP_HANDLER: 0
; COMPUTE_PGM_RSRC2:TGID_X_EN: 1
; COMPUTE_PGM_RSRC2:TGID_Y_EN: 0
; COMPUTE_PGM_RSRC2:TGID_Z_EN: 0
; COMPUTE_PGM_RSRC2:TIDIG_COMP_CNT: 0
	.section	.text._ZN9rocsparseL22csrmvn_adaptive_kernelIiif21rocsparse_complex_numIfES2_S2_EEvbT_PKS3_PjPKT0_NS_24const_host_device_scalarIT4_EES5_S9_PKT1_PKT2_SC_PT3_21rocsparse_index_base_b,"axG",@progbits,_ZN9rocsparseL22csrmvn_adaptive_kernelIiif21rocsparse_complex_numIfES2_S2_EEvbT_PKS3_PjPKT0_NS_24const_host_device_scalarIT4_EES5_S9_PKT1_PKT2_SC_PT3_21rocsparse_index_base_b,comdat
	.globl	_ZN9rocsparseL22csrmvn_adaptive_kernelIiif21rocsparse_complex_numIfES2_S2_EEvbT_PKS3_PjPKT0_NS_24const_host_device_scalarIT4_EES5_S9_PKT1_PKT2_SC_PT3_21rocsparse_index_base_b ; -- Begin function _ZN9rocsparseL22csrmvn_adaptive_kernelIiif21rocsparse_complex_numIfES2_S2_EEvbT_PKS3_PjPKT0_NS_24const_host_device_scalarIT4_EES5_S9_PKT1_PKT2_SC_PT3_21rocsparse_index_base_b
	.p2align	8
	.type	_ZN9rocsparseL22csrmvn_adaptive_kernelIiif21rocsparse_complex_numIfES2_S2_EEvbT_PKS3_PjPKT0_NS_24const_host_device_scalarIT4_EES5_S9_PKT1_PKT2_SC_PT3_21rocsparse_index_base_b,@function
_ZN9rocsparseL22csrmvn_adaptive_kernelIiif21rocsparse_complex_numIfES2_S2_EEvbT_PKS3_PjPKT0_NS_24const_host_device_scalarIT4_EES5_S9_PKT1_PKT2_SC_PT3_21rocsparse_index_base_b: ; @_ZN9rocsparseL22csrmvn_adaptive_kernelIiif21rocsparse_complex_numIfES2_S2_EEvbT_PKS3_PjPKT0_NS_24const_host_device_scalarIT4_EES5_S9_PKT1_PKT2_SC_PT3_21rocsparse_index_base_b
; %bb.0:
	s_clause 0x2
	s_load_b64 s[26:27], s[0:1], 0x58
	s_load_b64 s[2:3], s[0:1], 0x20
	;; [unrolled: 1-line block ×3, first 2 shown]
	s_add_nc_u64 s[6:7], s[0:1], 32
	s_wait_kmcnt 0x0
	s_bitcmp1_b32 s27, 0
	s_cselect_b32 s2, s6, s2
	s_cselect_b32 s3, s7, s3
	s_delay_alu instid0(SALU_CYCLE_1)
	v_dual_mov_b32 v1, s2 :: v_dual_mov_b32 v2, s3
	s_add_nc_u64 s[2:3], s[0:1], 0x48
	s_wait_alu 0xfffe
	s_cselect_b32 s2, s2, s4
	s_cselect_b32 s3, s3, s5
	flat_load_b64 v[3:4], v[1:2]
	s_wait_alu 0xfffe
	v_dual_mov_b32 v1, s2 :: v_dual_mov_b32 v2, s3
	flat_load_b64 v[1:2], v[1:2]
	s_wait_loadcnt_dscnt 0x101
	v_cmp_eq_f32_e32 vcc_lo, 0, v3
	v_cmp_eq_f32_e64 s2, 0, v4
	s_and_b32 s4, vcc_lo, s2
	s_mov_b32 s2, -1
	s_and_saveexec_b32 s3, s4
	s_cbranch_execz .LBB82_2
; %bb.1:
	s_wait_loadcnt_dscnt 0x0
	v_cmp_neq_f32_e32 vcc_lo, 1.0, v1
	v_cmp_neq_f32_e64 s2, 0, v2
	s_wait_alu 0xfffe
	s_or_b32 s2, vcc_lo, s2
	s_wait_alu 0xfffe
	s_or_not1_b32 s2, s2, exec_lo
.LBB82_2:
	s_wait_alu 0xfffe
	s_or_b32 exec_lo, exec_lo, s3
	s_and_saveexec_b32 s3, s2
	s_cbranch_execz .LBB82_114
; %bb.3:
	s_clause 0x2
	s_load_b64 s[2:3], s[0:1], 0x8
	s_load_b64 s[4:5], s[0:1], 0x18
	;; [unrolled: 1-line block ×3, first 2 shown]
	s_mov_b32 s30, ttmp9
	s_ashr_i32 s31, ttmp9, 31
	s_delay_alu instid0(SALU_CYCLE_1)
	s_lshl_b64 s[34:35], s[30:31], 2
	s_wait_kmcnt 0x0
	s_add_nc_u64 s[2:3], s[2:3], s[34:35]
	s_add_nc_u64 s[4:5], s[4:5], s[34:35]
	s_load_b64 s[22:23], s[2:3], 0x0
	s_load_b256 s[12:19], s[0:1], 0x28
	s_wait_kmcnt 0x0
	s_ashr_i32 s29, s22, 31
	s_mov_b32 s28, s22
	s_delay_alu instid0(SALU_CYCLE_1)
	s_lshl_b64 s[2:3], s[28:29], 2
	s_wait_alu 0xfffe
	s_add_nc_u64 s[24:25], s[12:13], s[2:3]
	s_load_b32 s11, s[4:5], 0x0
	s_load_b32 s27, s[24:25], 0x0
	s_sub_co_i32 s3, s23, s22
	s_mov_b32 s2, -1
	s_wait_alu 0xfffe
	s_cmp_lt_i32 s3, 2
	s_cbranch_scc0 .LBB82_70
; %bb.4:
	s_cmp_lg_u32 s3, 1
	v_cmp_gt_u32_e64 s2, 0x80, v0
	s_cselect_b32 s4, -1, 0
	s_wait_kmcnt 0x0
	s_cmp_lg_u32 s11, 0
	v_cmp_gt_u32_e64 s3, 64, v0
	s_cselect_b32 s5, -1, 0
	v_cmp_gt_u32_e64 s6, 8, v0
	s_or_b32 s5, s4, s5
	v_cmp_gt_u32_e64 s4, 32, v0
	s_and_b32 vcc_lo, exec_lo, s5
	v_cmp_gt_u32_e64 s5, 16, v0
	v_cmp_gt_u32_e64 s7, 4, v0
	;; [unrolled: 1-line block ×3, first 2 shown]
	v_cmp_eq_u32_e64 s9, 0, v0
	s_mov_b32 s10, -1
	s_cbranch_vccnz .LBB82_32
; %bb.5:
	s_wait_loadcnt_dscnt 0x0
	v_cmp_neq_f32_e32 vcc_lo, 0, v1
	v_cmp_neq_f32_e64 s10, 0, v2
	v_subrev_nc_u32_e32 v12, s26, v0
	v_dual_mul_f32 v13, 0x80000000, v4 :: v_dual_mul_f32 v14, 0, v3
	v_dual_mov_b32 v16, 0 :: v_dual_lshlrev_b32 v15, 3, v0
	s_or_b32 s31, vcc_lo, s10
	s_mov_b32 s36, s22
	s_branch .LBB82_8
.LBB82_6:                               ;   in Loop: Header=BB82_8 Depth=1
	s_or_b32 exec_lo, exec_lo, s33
	s_lshl_b64 s[38:39], s[36:37], 3
	s_wait_alu 0xfffe
	s_add_nc_u64 s[38:39], s[20:21], s[38:39]
	s_wait_dscnt 0x0
	global_store_b64 v16, v[5:6], s[38:39]
.LBB82_7:                               ;   in Loop: Header=BB82_8 Depth=1
	s_or_b32 exec_lo, exec_lo, s10
	s_add_co_i32 s36, s36, 1
	s_delay_alu instid0(SALU_CYCLE_1)
	s_cmp_ge_i32 s36, s23
	s_cbranch_scc1 .LBB82_31
.LBB82_8:                               ; =>This Loop Header: Depth=1
                                        ;     Child Loop BB82_10 Depth 2
	s_ashr_i32 s37, s36, 31
	v_mov_b32_e32 v7, 0
	s_lshl_b64 s[38:39], s[36:37], 2
	s_mov_b32 s33, exec_lo
	s_wait_alu 0xfffe
	s_add_nc_u64 s[38:39], s[12:13], s[38:39]
	v_mov_b32_e32 v6, 0
	s_load_b64 s[38:39], s[38:39], 0x0
	s_wait_kmcnt 0x0
	v_add_nc_u32_e32 v5, s38, v12
	s_sub_co_i32 s38, s39, s26
	s_wait_alu 0xfffe
	s_delay_alu instid0(VALU_DEP_1)
	v_cmpx_gt_i32_e64 s38, v5
	s_cbranch_execz .LBB82_12
; %bb.9:                                ;   in Loop: Header=BB82_8 Depth=1
	v_ashrrev_i32_e32 v6, 31, v5
	v_mov_b32_e32 v7, 0
	s_mov_b32 s39, 0
	s_delay_alu instid0(VALU_DEP_2) | instskip(NEXT) | instid1(VALU_DEP_2)
	v_lshlrev_b64_e32 v[10:11], 2, v[5:6]
	v_mov_b32_e32 v6, v7
	s_delay_alu instid0(VALU_DEP_2) | instskip(SKIP_1) | instid1(VALU_DEP_3)
	v_add_co_u32 v8, vcc_lo, s16, v10
	s_wait_alu 0xfffd
	v_add_co_ci_u32_e64 v9, null, s17, v11, vcc_lo
	v_add_co_u32 v10, vcc_lo, s14, v10
	s_wait_alu 0xfffd
	v_add_co_ci_u32_e64 v11, null, s15, v11, vcc_lo
.LBB82_10:                              ;   Parent Loop BB82_8 Depth=1
                                        ; =>  This Inner Loop Header: Depth=2
	global_load_b32 v17, v[10:11], off
	global_load_b32 v19, v[8:9], off
	v_add_nc_u32_e32 v5, 0x100, v5
	s_delay_alu instid0(VALU_DEP_1)
	v_cmp_le_i32_e64 s10, s38, v5
	s_wait_alu 0xfffe
	s_or_b32 s39, s10, s39
	s_wait_loadcnt 0x1
	v_subrev_nc_u32_e32 v17, s26, v17
	s_wait_loadcnt 0x0
	v_fma_f32 v20, v3, v19, v13
	v_fma_f32 v19, v4, v19, v14
	s_delay_alu instid0(VALU_DEP_3) | instskip(NEXT) | instid1(VALU_DEP_1)
	v_ashrrev_i32_e32 v18, 31, v17
	v_lshlrev_b64_e32 v[17:18], 3, v[17:18]
	s_delay_alu instid0(VALU_DEP_1) | instskip(SKIP_1) | instid1(VALU_DEP_2)
	v_add_co_u32 v17, vcc_lo, s18, v17
	s_wait_alu 0xfffd
	v_add_co_ci_u32_e64 v18, null, s19, v18, vcc_lo
	v_add_co_u32 v8, vcc_lo, 0x400, v8
	s_wait_alu 0xfffd
	v_add_co_ci_u32_e64 v9, null, 0, v9, vcc_lo
	global_load_b64 v[17:18], v[17:18], off
	v_add_co_u32 v10, vcc_lo, 0x400, v10
	s_wait_alu 0xfffd
	v_add_co_ci_u32_e64 v11, null, 0, v11, vcc_lo
	s_wait_loadcnt 0x0
	v_fmac_f32_e32 v6, v20, v17
	v_fmac_f32_e32 v7, v19, v17
	s_delay_alu instid0(VALU_DEP_2) | instskip(NEXT) | instid1(VALU_DEP_2)
	v_fma_f32 v6, -v19, v18, v6
	v_fmac_f32_e32 v7, v20, v18
	s_wait_alu 0xfffe
	s_and_not1_b32 exec_lo, exec_lo, s39
	s_cbranch_execnz .LBB82_10
; %bb.11:                               ;   in Loop: Header=BB82_8 Depth=1
	s_or_b32 exec_lo, exec_lo, s39
.LBB82_12:                              ;   in Loop: Header=BB82_8 Depth=1
	s_delay_alu instid0(SALU_CYCLE_1)
	s_or_b32 exec_lo, exec_lo, s33
	ds_store_b64 v15, v[6:7]
	s_wait_dscnt 0x0
	s_barrier_signal -1
	s_barrier_wait -1
	global_inv scope:SCOPE_SE
	s_and_saveexec_b32 s10, s2
	s_cbranch_execz .LBB82_14
; %bb.13:                               ;   in Loop: Header=BB82_8 Depth=1
	ds_load_2addr_stride64_b64 v[5:8], v15 offset1:2
	s_wait_dscnt 0x0
	v_dual_add_f32 v5, v7, v5 :: v_dual_add_f32 v6, v8, v6
	ds_store_b64 v15, v[5:6]
.LBB82_14:                              ;   in Loop: Header=BB82_8 Depth=1
	s_or_b32 exec_lo, exec_lo, s10
	s_wait_loadcnt_dscnt 0x0
	s_barrier_signal -1
	s_barrier_wait -1
	global_inv scope:SCOPE_SE
	s_and_saveexec_b32 s10, s3
	s_cbranch_execz .LBB82_16
; %bb.15:                               ;   in Loop: Header=BB82_8 Depth=1
	ds_load_2addr_stride64_b64 v[5:8], v15 offset1:1
	s_wait_dscnt 0x0
	v_dual_add_f32 v5, v7, v5 :: v_dual_add_f32 v6, v8, v6
	ds_store_b64 v15, v[5:6]
.LBB82_16:                              ;   in Loop: Header=BB82_8 Depth=1
	s_or_b32 exec_lo, exec_lo, s10
	s_wait_loadcnt_dscnt 0x0
	s_barrier_signal -1
	s_barrier_wait -1
	global_inv scope:SCOPE_SE
	s_and_saveexec_b32 s10, s4
	s_cbranch_execz .LBB82_18
; %bb.17:                               ;   in Loop: Header=BB82_8 Depth=1
	ds_load_2addr_b64 v[5:8], v15 offset1:32
	s_wait_dscnt 0x0
	v_dual_add_f32 v5, v7, v5 :: v_dual_add_f32 v6, v8, v6
	ds_store_b64 v15, v[5:6]
.LBB82_18:                              ;   in Loop: Header=BB82_8 Depth=1
	s_or_b32 exec_lo, exec_lo, s10
	s_wait_loadcnt_dscnt 0x0
	s_barrier_signal -1
	s_barrier_wait -1
	global_inv scope:SCOPE_SE
	s_and_saveexec_b32 s10, s5
	s_cbranch_execz .LBB82_20
; %bb.19:                               ;   in Loop: Header=BB82_8 Depth=1
	ds_load_2addr_b64 v[5:8], v15 offset1:16
	s_wait_dscnt 0x0
	v_dual_add_f32 v5, v7, v5 :: v_dual_add_f32 v6, v8, v6
	ds_store_b64 v15, v[5:6]
.LBB82_20:                              ;   in Loop: Header=BB82_8 Depth=1
	;; [unrolled: 13-line block ×6, first 2 shown]
	s_or_b32 exec_lo, exec_lo, s10
	s_wait_loadcnt_dscnt 0x0
	s_barrier_signal -1
	s_barrier_wait -1
	global_inv scope:SCOPE_SE
	s_and_saveexec_b32 s10, s9
	s_cbranch_execz .LBB82_7
; %bb.29:                               ;   in Loop: Header=BB82_8 Depth=1
	ds_load_b64 v[5:6], v16
	s_and_saveexec_b32 s33, s31
	s_cbranch_execz .LBB82_6
; %bb.30:                               ;   in Loop: Header=BB82_8 Depth=1
	s_lshl_b64 s[38:39], s[36:37], 3
	s_wait_alu 0xfffe
	s_add_nc_u64 s[38:39], s[20:21], s[38:39]
	global_load_b64 v[7:8], v16, s[38:39]
	s_wait_loadcnt_dscnt 0x0
	v_fma_f32 v5, v1, v7, v5
	v_fmac_f32_e32 v6, v2, v7
	s_delay_alu instid0(VALU_DEP_2) | instskip(NEXT) | instid1(VALU_DEP_2)
	v_fma_f32 v5, -v2, v8, v5
	v_fmac_f32_e32 v6, v1, v8
	s_branch .LBB82_6
.LBB82_31:
	s_mov_b32 s10, 0
.LBB82_32:
	s_delay_alu instid0(SALU_CYCLE_1)
	s_and_b32 vcc_lo, exec_lo, s10
	s_wait_alu 0xfffe
	s_cbranch_vccz .LBB82_69
; %bb.33:
	s_load_b64 s[6:7], s[0:1], 0x10
	v_mov_b32_e32 v5, 0
	v_or_b32_e32 v6, s11, v0
	s_sub_co_i32 s8, s30, s11
	s_delay_alu instid0(VALU_DEP_1)
	v_cmp_eq_u32_e32 vcc_lo, 0, v6
	v_mov_b32_e32 v6, 0
	s_wait_kmcnt 0x0
	s_add_nc_u64 s[4:5], s[6:7], s[34:35]
	global_load_b32 v12, v5, s[4:5]
	s_and_saveexec_b32 s2, vcc_lo
	s_cbranch_execz .LBB82_37
; %bb.34:
	s_wait_loadcnt_dscnt 0x100
	v_dual_mov_b32 v9, 0 :: v_dual_add_f32 v10, -1.0, v1
	s_lshl_b64 s[30:31], s[28:29], 3
	s_mov_b32 s3, exec_lo
	s_add_nc_u64 s[30:31], s[20:21], s[30:31]
	s_wait_alu 0xfffe
	v_mbcnt_lo_u32_b32 v11, s3, 0
	global_load_b64 v[7:8], v9, s[30:31]
	s_mov_b32 s10, exec_lo
	s_wait_loadcnt 0x0
	s_wait_storecnt 0x0
	global_inv scope:SCOPE_DEV
	v_mul_f32_e64 v5, v8, -v2
	v_mul_f32_e32 v6, v10, v8
	v_cmpx_eq_u32_e32 0, v11
	s_cbranch_execz .LBB82_36
; %bb.35:
	s_bcnt1_i32_b32 s3, s3
	s_ashr_i32 s9, s8, 31
	s_wait_alu 0xfffe
	s_and_b32 s3, s3, 1
	s_lshl_b64 s[30:31], s[8:9], 2
	s_wait_alu 0xfffe
	v_mov_b32_e32 v8, s3
	s_add_nc_u64 s[30:31], s[6:7], s[30:31]
	global_atomic_xor_b32 v9, v8, s[30:31] scope:SCOPE_DEV
.LBB82_36:
	s_wait_alu 0xfffe
	s_or_b32 exec_lo, exec_lo, s10
	v_fmac_f32_e32 v5, v10, v7
	v_fmac_f32_e32 v6, v2, v7
.LBB82_37:
	s_wait_alu 0xfffe
	s_or_b32 exec_lo, exec_lo, s2
	s_load_b32 s2, s[24:25], 0x4
	s_mul_i32 s3, s11, 0xc00
	s_sub_co_i32 s9, s27, s26
	s_wait_alu 0xfffe
	s_add_co_i32 s9, s9, s3
	s_mov_b32 s3, exec_lo
	v_add_nc_u32_e32 v7, s9, v0
	s_wait_kmcnt 0x0
	s_sub_co_i32 s2, s2, s26
	s_wait_alu 0xfffe
	s_delay_alu instid0(VALU_DEP_1)
	v_cmpx_gt_i32_e64 s2, v7
	s_cbranch_execz .LBB82_41
; %bb.38:
	v_ashrrev_i32_e32 v8, 31, v7
	v_dual_mul_f32 v13, 0x80000000, v4 :: v_dual_mul_f32 v14, 0, v3
	s_addk_co_i32 s9, 0xc00
	s_wait_alu 0xfffe
	s_min_i32 s10, s9, s2
	v_lshlrev_b64_e32 v[10:11], 2, v[7:8]
	s_mov_b32 s9, 0
	s_delay_alu instid0(VALU_DEP_1) | instskip(SKIP_1) | instid1(VALU_DEP_2)
	v_add_co_u32 v8, vcc_lo, s16, v10
	s_wait_alu 0xfffd
	v_add_co_ci_u32_e64 v9, null, s17, v11, vcc_lo
	v_add_co_u32 v10, vcc_lo, s14, v10
	s_wait_alu 0xfffd
	v_add_co_ci_u32_e64 v11, null, s15, v11, vcc_lo
.LBB82_39:                              ; =>This Inner Loop Header: Depth=1
	global_load_b32 v15, v[10:11], off
	global_load_b32 v17, v[8:9], off
	s_wait_loadcnt 0x1
	v_subrev_nc_u32_e32 v15, s26, v15
	s_wait_loadcnt 0x0
	v_fma_f32 v18, v3, v17, v13
	v_fma_f32 v17, v4, v17, v14
	s_delay_alu instid0(VALU_DEP_3) | instskip(NEXT) | instid1(VALU_DEP_1)
	v_ashrrev_i32_e32 v16, 31, v15
	v_lshlrev_b64_e32 v[15:16], 3, v[15:16]
	s_delay_alu instid0(VALU_DEP_1) | instskip(SKIP_1) | instid1(VALU_DEP_2)
	v_add_co_u32 v15, vcc_lo, s18, v15
	s_wait_alu 0xfffd
	v_add_co_ci_u32_e64 v16, null, s19, v16, vcc_lo
	v_add_co_u32 v8, vcc_lo, 0x400, v8
	s_wait_alu 0xfffd
	v_add_co_ci_u32_e64 v9, null, 0, v9, vcc_lo
	global_load_b64 v[15:16], v[15:16], off
	v_add_co_u32 v10, vcc_lo, 0x400, v10
	s_wait_alu 0xfffd
	v_add_co_ci_u32_e64 v11, null, 0, v11, vcc_lo
	s_wait_loadcnt 0x0
	v_fmac_f32_e32 v6, v17, v15
	v_add_nc_u32_e32 v7, 0x100, v7
	v_fmac_f32_e32 v5, v18, v15
	s_delay_alu instid0(VALU_DEP_3) | instskip(SKIP_1) | instid1(VALU_DEP_3)
	v_fmac_f32_e32 v6, v18, v16
	s_wait_alu 0xfffe
	v_cmp_le_i32_e64 s2, s10, v7
	s_delay_alu instid0(VALU_DEP_3)
	v_fma_f32 v5, -v17, v16, v5
	s_or_b32 s9, s2, s9
	s_wait_alu 0xfffe
	s_and_not1_b32 exec_lo, exec_lo, s9
	s_cbranch_execnz .LBB82_39
; %bb.40:
	s_or_b32 exec_lo, exec_lo, s9
.LBB82_41:
	s_delay_alu instid0(SALU_CYCLE_1)
	s_or_b32 exec_lo, exec_lo, s3
	v_lshlrev_b32_e32 v7, 3, v0
	s_mov_b32 s2, exec_lo
	ds_store_b64 v7, v[5:6]
	s_wait_storecnt 0x0
	s_wait_loadcnt_dscnt 0x0
	s_barrier_signal -1
	s_barrier_wait -1
	global_inv scope:SCOPE_SE
	v_cmpx_gt_u32_e32 0x80, v0
	s_cbranch_execz .LBB82_43
; %bb.42:
	ds_load_2addr_stride64_b64 v[8:11], v7 offset1:2
	s_wait_dscnt 0x0
	v_dual_add_f32 v5, v10, v8 :: v_dual_add_f32 v6, v11, v9
	ds_store_b64 v7, v[5:6]
.LBB82_43:
	s_wait_alu 0xfffe
	s_or_b32 exec_lo, exec_lo, s2
	s_delay_alu instid0(SALU_CYCLE_1)
	s_mov_b32 s2, exec_lo
	s_wait_loadcnt_dscnt 0x0
	s_barrier_signal -1
	s_barrier_wait -1
	global_inv scope:SCOPE_SE
	v_cmpx_gt_u32_e32 64, v0
	s_cbranch_execz .LBB82_45
; %bb.44:
	ds_load_2addr_stride64_b64 v[8:11], v7 offset1:1
	s_wait_dscnt 0x0
	v_dual_add_f32 v5, v10, v8 :: v_dual_add_f32 v6, v11, v9
	ds_store_b64 v7, v[5:6]
.LBB82_45:
	s_wait_alu 0xfffe
	s_or_b32 exec_lo, exec_lo, s2
	s_delay_alu instid0(SALU_CYCLE_1)
	s_mov_b32 s2, exec_lo
	s_wait_loadcnt_dscnt 0x0
	s_barrier_signal -1
	s_barrier_wait -1
	global_inv scope:SCOPE_SE
	v_cmpx_gt_u32_e32 32, v0
	s_cbranch_execz .LBB82_47
; %bb.46:
	ds_load_2addr_b64 v[8:11], v7 offset1:32
	s_wait_dscnt 0x0
	v_dual_add_f32 v5, v10, v8 :: v_dual_add_f32 v6, v11, v9
	ds_store_b64 v7, v[5:6]
.LBB82_47:
	s_wait_alu 0xfffe
	s_or_b32 exec_lo, exec_lo, s2
	s_delay_alu instid0(SALU_CYCLE_1)
	s_mov_b32 s2, exec_lo
	s_wait_loadcnt_dscnt 0x0
	s_barrier_signal -1
	s_barrier_wait -1
	global_inv scope:SCOPE_SE
	v_cmpx_gt_u32_e32 16, v0
	s_cbranch_execz .LBB82_49
; %bb.48:
	ds_load_2addr_b64 v[8:11], v7 offset1:16
	s_wait_dscnt 0x0
	v_dual_add_f32 v5, v10, v8 :: v_dual_add_f32 v6, v11, v9
	ds_store_b64 v7, v[5:6]
.LBB82_49:
	;; [unrolled: 16-line block ×5, first 2 shown]
	s_wait_alu 0xfffe
	s_or_b32 exec_lo, exec_lo, s2
	v_cmp_eq_u32_e32 vcc_lo, 0, v0
	s_wait_loadcnt_dscnt 0x0
	s_barrier_signal -1
	s_barrier_wait -1
	global_inv scope:SCOPE_SE
	s_and_saveexec_b32 s2, vcc_lo
	s_cbranch_execz .LBB82_57
; %bb.56:
	v_mov_b32_e32 v9, 0
	ds_load_2addr_b64 v[5:8], v9 offset1:1
	s_wait_dscnt 0x0
	v_dual_add_f32 v5, v7, v5 :: v_dual_add_f32 v6, v8, v6
	ds_store_b64 v9, v[5:6]
.LBB82_57:
	s_wait_alu 0xfffe
	s_or_b32 exec_lo, exec_lo, s2
	s_wait_loadcnt_dscnt 0x0
	s_barrier_signal -1
	s_barrier_wait -1
	global_inv scope:SCOPE_SE
	s_and_saveexec_b32 s10, vcc_lo
	s_cbranch_execz .LBB82_68
; %bb.58:
	s_cmp_eq_u32 s11, 0
	s_cbranch_scc1 .LBB82_64
; %bb.59:
	s_ashr_i32 s9, s8, 31
	v_mov_b32_e32 v5, 0
	s_wait_alu 0xfffe
	s_lshl_b64 s[2:3], s[8:9], 2
	s_wait_alu 0xfffe
	s_add_nc_u64 s[2:3], s[6:7], s[2:3]
	s_branch .LBB82_61
.LBB82_60:                              ;   in Loop: Header=BB82_61 Depth=1
	s_wait_alu 0xfffe
	s_or_b32 exec_lo, exec_lo, s6
	s_wait_loadcnt 0x0
	v_readfirstlane_b32 s6, v6
	s_wait_alu 0xf1ff
	s_delay_alu instid0(VALU_DEP_1)
	v_cmp_eq_u32_e32 vcc_lo, s6, v12
	s_cbranch_vccz .LBB82_63
.LBB82_61:                              ; =>This Inner Loop Header: Depth=1
	v_mbcnt_lo_u32_b32 v6, exec_lo, 0
	s_delay_alu instid0(VALU_DEP_1)
	v_cmp_eq_u32_e32 vcc_lo, 0, v6
                                        ; implicit-def: $vgpr6
	s_and_saveexec_b32 s6, vcc_lo
	s_cbranch_execz .LBB82_60
; %bb.62:                               ;   in Loop: Header=BB82_61 Depth=1
	global_load_b32 v6, v5, s[2:3] scope:SCOPE_DEV
	s_branch .LBB82_60
.LBB82_63:
	v_mov_b32_e32 v5, 0
	global_load_u16 v6, v5, s[4:5]
	s_wait_loadcnt 0x0
	v_xor_b32_e32 v6, 1, v6
	global_store_b16 v5, v6, s[4:5]
.LBB82_64:
	v_mov_b32_e32 v7, 0
	s_mov_b32 s4, exec_lo
	s_lshl_b64 s[2:3], s[28:29], 3
	v_mbcnt_lo_u32_b32 v8, s4, 0
	s_wait_alu 0xfffe
	s_add_nc_u64 s[2:3], s[20:21], s[2:3]
	ds_load_b64 v[5:6], v7
	s_mov_b32 s5, exec_lo
	v_cmpx_eq_u32_e32 0, v8
	s_cbranch_execz .LBB82_66
; %bb.65:
	s_bcnt1_i32_b32 s4, s4
	s_wait_alu 0xfffe
	v_cvt_f32_ubyte0_e32 v8, s4
	s_wait_dscnt 0x0
	s_delay_alu instid0(VALU_DEP_1)
	v_mul_f32_e32 v5, v5, v8
	global_atomic_add_f32 v7, v5, s[2:3] scope:SCOPE_DEV
.LBB82_66:
	s_wait_alu 0xfffe
	s_or_b32 exec_lo, exec_lo, s5
	s_delay_alu instid0(SALU_CYCLE_1) | instskip(SKIP_3) | instid1(VALU_DEP_1)
	s_mov_b32 s4, exec_lo
	s_wait_dscnt 0x0
	s_wait_alu 0xfffe
	v_mbcnt_lo_u32_b32 v5, s4, 0
	v_cmp_eq_u32_e32 vcc_lo, 0, v5
	s_and_b32 s5, exec_lo, vcc_lo
	s_wait_alu 0xfffe
	s_mov_b32 exec_lo, s5
	s_cbranch_execz .LBB82_68
; %bb.67:
	s_bcnt1_i32_b32 s4, s4
	s_wait_alu 0xfffe
	v_cvt_f32_ubyte0_e32 v5, s4
	s_delay_alu instid0(VALU_DEP_1)
	v_dual_mul_f32 v5, v6, v5 :: v_dual_mov_b32 v6, 0
	global_atomic_add_f32 v6, v5, s[2:3] offset:4 scope:SCOPE_DEV
.LBB82_68:
	s_wait_alu 0xfffe
	s_or_b32 exec_lo, exec_lo, s10
.LBB82_69:
	s_mov_b32 s2, 0
.LBB82_70:
	s_wait_alu 0xfffe
	s_and_not1_b32 vcc_lo, exec_lo, s2
	s_wait_alu 0xfffe
	s_cbranch_vccnz .LBB82_114
; %bb.71:
	s_load_b32 s0, s[0:1], 0x4
	v_subrev_nc_u32_e32 v5, s26, v0
	s_wait_kmcnt 0x0
	s_delay_alu instid0(VALU_DEP_1) | instskip(NEXT) | instid1(VALU_DEP_1)
	v_add_nc_u32_e32 v5, s27, v5
	v_add_nc_u32_e32 v6, 0x300, v5
	s_delay_alu instid0(VALU_DEP_1)
	v_cmp_le_i32_e32 vcc_lo, s0, v6
	s_and_saveexec_b32 s0, vcc_lo
	s_wait_alu 0xfffe
	s_xor_b32 s0, exec_lo, s0
	s_cbranch_execz .LBB82_76
; %bb.72:
	s_ashr_i32 s3, s23, 31
	s_mov_b32 s2, s23
	s_wait_alu 0xfffe
	s_lshl_b64 s[2:3], s[2:3], 2
	s_wait_alu 0xfffe
	s_add_nc_u64 s[2:3], s[12:13], s[2:3]
	s_load_b32 s1, s[2:3], 0x0
	s_mov_b32 s2, exec_lo
	s_wait_kmcnt 0x0
	s_sub_co_i32 s1, s1, s26
	s_wait_alu 0xfffe
	v_cmpx_gt_i32_e64 s1, v5
	s_cbranch_execz .LBB82_75
; %bb.73:
	v_dual_mul_f32 v7, 0x80000000, v4 :: v_dual_mul_f32 v8, 0, v3
	v_lshlrev_b32_e32 v9, 3, v0
	s_mov_b32 s3, 0
.LBB82_74:                              ; =>This Inner Loop Header: Depth=1
	v_ashrrev_i32_e32 v6, 31, v5
	s_delay_alu instid0(VALU_DEP_1) | instskip(NEXT) | instid1(VALU_DEP_1)
	v_lshlrev_b64_e32 v[10:11], 2, v[5:6]
	v_add_co_u32 v12, vcc_lo, s14, v10
	s_wait_alu 0xfffd
	s_delay_alu instid0(VALU_DEP_2)
	v_add_co_ci_u32_e64 v13, null, s15, v11, vcc_lo
	v_add_co_u32 v10, vcc_lo, s16, v10
	s_wait_alu 0xfffd
	v_add_co_ci_u32_e64 v11, null, s17, v11, vcc_lo
	global_load_b32 v6, v[12:13], off
	global_load_b32 v12, v[10:11], off
	s_wait_loadcnt 0x1
	v_subrev_nc_u32_e32 v10, s26, v6
	s_wait_loadcnt 0x0
	v_fma_f32 v6, v4, v12, v8
	v_fma_f32 v14, v3, v12, v7
	s_delay_alu instid0(VALU_DEP_3) | instskip(NEXT) | instid1(VALU_DEP_1)
	v_ashrrev_i32_e32 v11, 31, v10
	v_lshlrev_b64_e32 v[10:11], 3, v[10:11]
	s_delay_alu instid0(VALU_DEP_1) | instskip(SKIP_1) | instid1(VALU_DEP_2)
	v_add_co_u32 v10, vcc_lo, s18, v10
	s_wait_alu 0xfffd
	v_add_co_ci_u32_e64 v11, null, s19, v11, vcc_lo
	global_load_b64 v[10:11], v[10:11], off
	s_wait_loadcnt 0x0
	v_mul_f32_e64 v12, v11, -v6
	v_mul_f32_e32 v13, v14, v11
	s_delay_alu instid0(VALU_DEP_2) | instskip(NEXT) | instid1(VALU_DEP_2)
	v_dual_fmac_f32 v12, v14, v10 :: v_dual_add_nc_u32 v5, 0x100, v5
	v_fmac_f32_e32 v13, v6, v10
	s_delay_alu instid0(VALU_DEP_2)
	v_cmp_le_i32_e32 vcc_lo, s1, v5
	ds_store_b64 v9, v[12:13]
	v_add_nc_u32_e32 v9, 0x800, v9
	s_wait_alu 0xfffe
	s_or_b32 s3, vcc_lo, s3
	s_wait_alu 0xfffe
	s_and_not1_b32 exec_lo, exec_lo, s3
	s_cbranch_execnz .LBB82_74
.LBB82_75:
	s_or_b32 exec_lo, exec_lo, s2
                                        ; implicit-def: $vgpr3_vgpr4
                                        ; implicit-def: $vgpr5
.LBB82_76:
	s_wait_alu 0xfffe
	s_or_saveexec_b32 s0, s0
	v_lshlrev_b32_e32 v9, 3, v0
	s_wait_alu 0xfffe
	s_xor_b32 exec_lo, exec_lo, s0
	s_cbranch_execz .LBB82_78
; %bb.77:
	v_ashrrev_i32_e32 v6, 31, v5
	v_dual_mul_f32 v20, 0x80000000, v4 :: v_dual_mul_f32 v21, 0, v3
	s_delay_alu instid0(VALU_DEP_2) | instskip(NEXT) | instid1(VALU_DEP_1)
	v_lshlrev_b64_e32 v[5:6], 2, v[5:6]
	v_add_co_u32 v7, vcc_lo, s14, v5
	s_wait_alu 0xfffd
	s_delay_alu instid0(VALU_DEP_2)
	v_add_co_ci_u32_e64 v8, null, s15, v6, vcc_lo
	v_add_co_u32 v5, vcc_lo, s16, v5
	s_wait_alu 0xfffd
	v_add_co_ci_u32_e64 v6, null, s17, v6, vcc_lo
	s_clause 0x3
	global_load_b32 v10, v[7:8], off
	global_load_b32 v11, v[7:8], off offset:1024
	global_load_b32 v12, v[7:8], off offset:2048
	;; [unrolled: 1-line block ×3, first 2 shown]
	s_clause 0x3
	global_load_b32 v16, v[5:6], off
	global_load_b32 v17, v[5:6], off offset:1024
	global_load_b32 v18, v[5:6], off offset:2048
	;; [unrolled: 1-line block ×3, first 2 shown]
	s_wait_loadcnt 0x7
	v_subrev_nc_u32_e32 v7, s26, v10
	s_wait_loadcnt 0x6
	v_subrev_nc_u32_e32 v10, s26, v11
	;; [unrolled: 2-line block ×4, first 2 shown]
	s_wait_loadcnt 0x3
	v_fma_f32 v22, v3, v16, v20
	v_ashrrev_i32_e32 v8, 31, v7
	v_ashrrev_i32_e32 v11, 31, v10
	;; [unrolled: 1-line block ×4, first 2 shown]
	v_fma_f32 v23, v4, v16, v21
	v_lshlrev_b64_e32 v[7:8], 3, v[7:8]
	v_lshlrev_b64_e32 v[5:6], 3, v[10:11]
	;; [unrolled: 1-line block ×4, first 2 shown]
	s_wait_loadcnt 0x2
	v_fma_f32 v24, v3, v17, v20
	v_fma_f32 v25, v4, v17, v21
	v_add_co_u32 v7, vcc_lo, s18, v7
	s_wait_alu 0xfffd
	v_add_co_ci_u32_e64 v8, null, s19, v8, vcc_lo
	v_add_co_u32 v5, vcc_lo, s18, v5
	s_wait_alu 0xfffd
	v_add_co_ci_u32_e64 v6, null, s19, v6, vcc_lo
	;; [unrolled: 3-line block ×4, first 2 shown]
	s_clause 0x3
	global_load_b64 v[7:8], v[7:8], off
	global_load_b64 v[5:6], v[5:6], off
	;; [unrolled: 1-line block ×4, first 2 shown]
	s_wait_loadcnt 0x5
	v_fma_f32 v26, v3, v18, v20
	v_fma_f32 v27, v4, v18, v21
	s_wait_loadcnt 0x4
	v_fmac_f32_e32 v20, v3, v19
	v_fmac_f32_e32 v21, v4, v19
	s_wait_loadcnt 0x2
	v_mul_f32_e64 v14, v6, -v25
	v_mul_f32_e64 v3, v8, -v23
	v_dual_mul_f32 v4, v22, v8 :: v_dual_mul_f32 v15, v24, v6
	s_wait_loadcnt 0x1
	v_mul_f32_e64 v16, v11, -v27
	v_dual_mul_f32 v17, v26, v11 :: v_dual_fmac_f32 v14, v24, v5
	s_wait_loadcnt 0x0
	v_mul_f32_e64 v18, v13, -v21
	v_dual_mul_f32 v19, v20, v13 :: v_dual_fmac_f32 v4, v23, v7
	v_fmac_f32_e32 v3, v22, v7
	v_dual_fmac_f32 v15, v25, v5 :: v_dual_fmac_f32 v16, v26, v10
	s_delay_alu instid0(VALU_DEP_4) | instskip(NEXT) | instid1(VALU_DEP_4)
	v_dual_fmac_f32 v17, v27, v10 :: v_dual_fmac_f32 v18, v20, v12
	v_fmac_f32_e32 v19, v21, v12
	ds_store_2addr_stride64_b64 v9, v[3:4], v[14:15] offset1:4
	ds_store_2addr_stride64_b64 v9, v[16:17], v[18:19] offset0:8 offset1:12
.LBB82_78:
	s_or_b32 exec_lo, exec_lo, s0
	s_cmp_lt_i32 s11, 2
	s_mov_b32 s0, -1
	s_wait_storecnt 0x0
	s_wait_loadcnt_dscnt 0x0
	s_barrier_signal -1
	s_barrier_wait -1
	global_inv scope:SCOPE_SE
	s_cbranch_scc0 .LBB82_89
; %bb.79:
	v_add_nc_u32_e32 v3, s22, v0
	s_mov_b32 s1, exec_lo
	s_delay_alu instid0(VALU_DEP_1)
	v_cmpx_gt_i32_e64 s23, v3
	s_cbranch_execz .LBB82_88
; %bb.80:
	v_cmp_neq_f32_e32 vcc_lo, 0, v1
	v_cmp_neq_f32_e64 s0, 0, v2
	s_lshl_b32 s4, s27, 3
	s_mov_b32 s2, 0
	s_wait_alu 0xfffe
	s_sub_co_i32 s4, 0, s4
	s_or_b32 s3, vcc_lo, s0
	s_branch .LBB82_82
.LBB82_81:                              ;   in Loop: Header=BB82_82 Depth=1
	s_wait_alu 0xfffe
	s_or_b32 exec_lo, exec_lo, s0
	v_add_nc_u32_e32 v3, 0x100, v3
	v_add_co_u32 v7, s0, s20, v7
	s_wait_alu 0xf1ff
	v_add_co_ci_u32_e64 v8, null, s21, v8, s0
	s_delay_alu instid0(VALU_DEP_3)
	v_cmp_le_i32_e32 vcc_lo, s23, v3
	global_store_b64 v[7:8], v[5:6], off
	s_or_b32 s2, vcc_lo, s2
	s_wait_alu 0xfffe
	s_and_not1_b32 exec_lo, exec_lo, s2
	s_cbranch_execz .LBB82_88
.LBB82_82:                              ; =>This Loop Header: Depth=1
                                        ;     Child Loop BB82_84 Depth 2
	v_ashrrev_i32_e32 v4, 31, v3
	s_mov_b32 s0, exec_lo
	s_delay_alu instid0(VALU_DEP_1) | instskip(NEXT) | instid1(VALU_DEP_1)
	v_lshlrev_b64_e32 v[5:6], 2, v[3:4]
	v_add_co_u32 v5, vcc_lo, s12, v5
	s_wait_alu 0xfffd
	s_delay_alu instid0(VALU_DEP_2)
	v_add_co_ci_u32_e64 v6, null, s13, v6, vcc_lo
	global_load_b64 v[7:8], v[5:6], off
	v_dual_mov_b32 v6, 0 :: v_dual_mov_b32 v5, 0
	s_wait_loadcnt 0x0
	v_cmpx_lt_i32_e64 v7, v8
	s_cbranch_execz .LBB82_86
; %bb.83:                               ;   in Loop: Header=BB82_82 Depth=1
	v_mov_b32_e32 v6, 0
	v_subrev_nc_u32_e32 v8, s27, v8
	v_subrev_nc_u32_e32 v10, s27, v7
	s_wait_alu 0xfffe
	v_lshl_add_u32 v7, v7, 3, s4
	s_mov_b32 s5, 0
	v_mov_b32_e32 v5, v6
.LBB82_84:                              ;   Parent Loop BB82_82 Depth=1
                                        ; =>  This Inner Loop Header: Depth=2
	ds_load_b64 v[11:12], v7
	v_add_nc_u32_e32 v10, 1, v10
	s_wait_dscnt 0x0
	v_dual_add_f32 v6, v6, v12 :: v_dual_add_nc_u32 v7, 8, v7
	v_add_f32_e32 v5, v5, v11
	s_delay_alu instid0(VALU_DEP_3)
	v_cmp_ge_i32_e32 vcc_lo, v10, v8
	s_wait_alu 0xfffe
	s_or_b32 s5, vcc_lo, s5
	s_wait_alu 0xfffe
	s_and_not1_b32 exec_lo, exec_lo, s5
	s_cbranch_execnz .LBB82_84
; %bb.85:                               ;   in Loop: Header=BB82_82 Depth=1
	s_or_b32 exec_lo, exec_lo, s5
.LBB82_86:                              ;   in Loop: Header=BB82_82 Depth=1
	s_wait_alu 0xfffe
	s_or_b32 exec_lo, exec_lo, s0
	v_lshlrev_b64_e32 v[7:8], 3, v[3:4]
	s_and_saveexec_b32 s0, s3
	s_cbranch_execz .LBB82_81
; %bb.87:                               ;   in Loop: Header=BB82_82 Depth=1
	s_delay_alu instid0(VALU_DEP_1) | instskip(SKIP_1) | instid1(VALU_DEP_2)
	v_add_co_u32 v10, vcc_lo, s20, v7
	s_wait_alu 0xfffd
	v_add_co_ci_u32_e64 v11, null, s21, v8, vcc_lo
	global_load_b64 v[10:11], v[10:11], off
	s_wait_loadcnt 0x0
	v_fmac_f32_e32 v5, v1, v10
	v_fmac_f32_e32 v6, v2, v10
	s_delay_alu instid0(VALU_DEP_2) | instskip(NEXT) | instid1(VALU_DEP_2)
	v_fma_f32 v5, -v2, v11, v5
	v_fmac_f32_e32 v6, v1, v11
	s_branch .LBB82_81
.LBB82_88:
	s_wait_alu 0xfffe
	s_or_b32 exec_lo, exec_lo, s1
	s_mov_b32 s0, 0
.LBB82_89:
	s_wait_alu 0xfffe
	s_and_not1_b32 vcc_lo, exec_lo, s0
	s_wait_alu 0xfffe
	s_cbranch_vccnz .LBB82_114
; %bb.90:
	s_clz_i32_u32 s0, s11
	s_mov_b32 s1, exec_lo
	s_wait_alu 0xfffe
	s_xor_b32 s0, s0, 31
	v_mov_b32_e32 v4, 0
	s_wait_alu 0xfffe
	v_lshrrev_b32_e32 v6, s0, v0
	s_add_co_i32 s0, s11, -1
	s_wait_alu 0xfffe
	v_dual_mov_b32 v5, v4 :: v_dual_and_b32 v0, s0, v0
	s_delay_alu instid0(VALU_DEP_2) | instskip(NEXT) | instid1(VALU_DEP_1)
	v_add_nc_u32_e32 v3, s22, v6
	v_cmp_le_i32_e32 vcc_lo, s23, v3
	v_cmpx_gt_i32_e64 s23, v3
	s_cbranch_execz .LBB82_96
; %bb.91:
	v_lshlrev_b32_e32 v4, 2, v6
	v_subrev_nc_u32_e32 v7, s27, v0
	s_mov_b32 s2, exec_lo
	global_load_b64 v[4:5], v4, s[24:25]
	s_wait_loadcnt 0x0
	v_subrev_nc_u32_e32 v6, s27, v5
	v_dual_mov_b32 v4, 0 :: v_dual_add_nc_u32 v7, v4, v7
	v_mov_b32_e32 v5, 0
	s_delay_alu instid0(VALU_DEP_2)
	v_cmpx_lt_i32_e64 v7, v6
	s_cbranch_execz .LBB82_95
; %bb.92:
	v_dual_mov_b32 v5, 0 :: v_dual_lshlrev_b32 v8, 3, v7
	s_lshl_b32 s4, s11, 3
	s_mov_b32 s3, 0
	s_delay_alu instid0(VALU_DEP_1)
	v_mov_b32_e32 v4, v5
.LBB82_93:                              ; =>This Inner Loop Header: Depth=1
	ds_load_b64 v[10:11], v8
	v_add_nc_u32_e32 v7, s11, v7
	s_wait_dscnt 0x0
	s_wait_alu 0xfffe
	v_dual_add_f32 v5, v5, v11 :: v_dual_add_nc_u32 v8, s4, v8
	v_add_f32_e32 v4, v4, v10
	v_cmp_ge_i32_e64 s0, v7, v6
	s_or_b32 s3, s0, s3
	s_wait_alu 0xfffe
	s_and_not1_b32 exec_lo, exec_lo, s3
	s_cbranch_execnz .LBB82_93
; %bb.94:
	s_or_b32 exec_lo, exec_lo, s3
.LBB82_95:
	s_wait_alu 0xfffe
	s_or_b32 exec_lo, exec_lo, s2
.LBB82_96:
	s_delay_alu instid0(SALU_CYCLE_1)
	s_or_b32 exec_lo, exec_lo, s1
	s_cmp_lt_u32 s11, 0x81
	s_wait_loadcnt 0x0
	s_wait_storecnt 0x0
	s_barrier_signal -1
	s_barrier_wait -1
	global_inv scope:SCOPE_SE
	ds_store_b64 v9, v[4:5]
	s_wait_loadcnt_dscnt 0x0
	s_barrier_signal -1
	s_barrier_wait -1
	global_inv scope:SCOPE_SE
	s_cbranch_scc1 .LBB82_98
; %bb.97:
	ds_load_b64 v[6:7], v9 offset:1024
	s_wait_loadcnt_dscnt 0x0
	s_barrier_signal -1
	s_barrier_wait -1
	global_inv scope:SCOPE_SE
	v_dual_add_f32 v4, v4, v6 :: v_dual_add_f32 v5, v5, v7
	ds_store_b64 v9, v[4:5]
.LBB82_98:
	s_cmp_lt_u32 s11, 0x41
	s_wait_loadcnt_dscnt 0x0
	s_barrier_signal -1
	s_barrier_wait -1
	global_inv scope:SCOPE_SE
	s_cbranch_scc1 .LBB82_100
; %bb.99:
	ds_load_b64 v[6:7], v9 offset:512
	s_wait_loadcnt_dscnt 0x0
	s_barrier_signal -1
	s_barrier_wait -1
	global_inv scope:SCOPE_SE
	v_dual_add_f32 v4, v4, v6 :: v_dual_add_f32 v5, v5, v7
	ds_store_b64 v9, v[4:5]
.LBB82_100:
	s_cmp_lt_u32 s11, 33
	;; [unrolled: 15-line block ×5, first 2 shown]
	s_wait_loadcnt_dscnt 0x0
	s_barrier_signal -1
	s_barrier_wait -1
	global_inv scope:SCOPE_SE
	s_cbranch_scc1 .LBB82_108
; %bb.107:
	ds_load_b64 v[6:7], v9 offset:32
	s_wait_loadcnt_dscnt 0x0
	s_barrier_signal -1
	s_barrier_wait -1
	global_inv scope:SCOPE_SE
	v_dual_add_f32 v4, v4, v6 :: v_dual_add_f32 v5, v5, v7
	ds_store_b64 v9, v[4:5]
.LBB82_108:
	s_cmp_eq_u32 s11, 2
	s_wait_loadcnt_dscnt 0x0
	s_barrier_signal -1
	s_barrier_wait -1
	global_inv scope:SCOPE_SE
	s_cbranch_scc1 .LBB82_110
; %bb.109:
	ds_load_b64 v[6:7], v9 offset:16
	s_wait_loadcnt_dscnt 0x0
	s_barrier_signal -1
	s_barrier_wait -1
	global_inv scope:SCOPE_SE
	v_dual_add_f32 v4, v4, v6 :: v_dual_add_f32 v5, v5, v7
	ds_store_b64 v9, v[4:5]
.LBB82_110:
	s_wait_loadcnt_dscnt 0x0
	s_barrier_signal -1
	s_barrier_wait -1
	global_inv scope:SCOPE_SE
	ds_load_b64 v[6:7], v9 offset:8
	v_cmp_eq_u32_e64 s0, 0, v0
	s_xor_b32 s1, vcc_lo, -1
	s_wait_loadcnt_dscnt 0x0
	s_barrier_signal -1
	s_barrier_wait -1
	s_wait_alu 0xfffe
	s_and_b32 s0, s0, s1
	global_inv scope:SCOPE_SE
	v_dual_add_f32 v6, v4, v6 :: v_dual_add_f32 v7, v5, v7
	ds_store_b64 v9, v[6:7]
	s_wait_alu 0xfffe
	s_and_b32 exec_lo, exec_lo, s0
	s_cbranch_execz .LBB82_114
; %bb.111:
	v_ashrrev_i32_e32 v4, 31, v3
	v_cmp_neq_f32_e32 vcc_lo, 0, v1
	v_cmp_neq_f32_e64 s0, 0, v2
	s_delay_alu instid0(VALU_DEP_3)
	v_lshlrev_b64_e32 v[3:4], 3, v[3:4]
	s_or_b32 s1, vcc_lo, s0
	s_wait_alu 0xfffe
	s_and_saveexec_b32 s0, s1
	s_cbranch_execz .LBB82_113
; %bb.112:
	s_delay_alu instid0(VALU_DEP_1)
	v_add_co_u32 v8, vcc_lo, s20, v3
	s_wait_alu 0xfffd
	v_add_co_ci_u32_e64 v9, null, s21, v4, vcc_lo
	global_load_b64 v[8:9], v[8:9], off
	s_wait_loadcnt 0x0
	v_fmac_f32_e32 v6, v1, v8
	v_fmac_f32_e32 v7, v2, v8
	s_delay_alu instid0(VALU_DEP_2) | instskip(NEXT) | instid1(VALU_DEP_2)
	v_fma_f32 v6, -v2, v9, v6
	v_fmac_f32_e32 v7, v1, v9
.LBB82_113:
	s_wait_alu 0xfffe
	s_or_b32 exec_lo, exec_lo, s0
	v_add_co_u32 v0, vcc_lo, s20, v3
	s_wait_alu 0xfffd
	v_add_co_ci_u32_e64 v1, null, s21, v4, vcc_lo
	global_store_b64 v[0:1], v[6:7], off
.LBB82_114:
	s_endpgm
	.section	.rodata,"a",@progbits
	.p2align	6, 0x0
	.amdhsa_kernel _ZN9rocsparseL22csrmvn_adaptive_kernelIiif21rocsparse_complex_numIfES2_S2_EEvbT_PKS3_PjPKT0_NS_24const_host_device_scalarIT4_EES5_S9_PKT1_PKT2_SC_PT3_21rocsparse_index_base_b
		.amdhsa_group_segment_fixed_size 8192
		.amdhsa_private_segment_fixed_size 0
		.amdhsa_kernarg_size 96
		.amdhsa_user_sgpr_count 2
		.amdhsa_user_sgpr_dispatch_ptr 0
		.amdhsa_user_sgpr_queue_ptr 0
		.amdhsa_user_sgpr_kernarg_segment_ptr 1
		.amdhsa_user_sgpr_dispatch_id 0
		.amdhsa_user_sgpr_private_segment_size 0
		.amdhsa_wavefront_size32 1
		.amdhsa_uses_dynamic_stack 0
		.amdhsa_enable_private_segment 0
		.amdhsa_system_sgpr_workgroup_id_x 1
		.amdhsa_system_sgpr_workgroup_id_y 0
		.amdhsa_system_sgpr_workgroup_id_z 0
		.amdhsa_system_sgpr_workgroup_info 0
		.amdhsa_system_vgpr_workitem_id 0
		.amdhsa_next_free_vgpr 28
		.amdhsa_next_free_sgpr 40
		.amdhsa_reserve_vcc 1
		.amdhsa_float_round_mode_32 0
		.amdhsa_float_round_mode_16_64 0
		.amdhsa_float_denorm_mode_32 3
		.amdhsa_float_denorm_mode_16_64 3
		.amdhsa_fp16_overflow 0
		.amdhsa_workgroup_processor_mode 1
		.amdhsa_memory_ordered 1
		.amdhsa_forward_progress 1
		.amdhsa_inst_pref_size 45
		.amdhsa_round_robin_scheduling 0
		.amdhsa_exception_fp_ieee_invalid_op 0
		.amdhsa_exception_fp_denorm_src 0
		.amdhsa_exception_fp_ieee_div_zero 0
		.amdhsa_exception_fp_ieee_overflow 0
		.amdhsa_exception_fp_ieee_underflow 0
		.amdhsa_exception_fp_ieee_inexact 0
		.amdhsa_exception_int_div_zero 0
	.end_amdhsa_kernel
	.section	.text._ZN9rocsparseL22csrmvn_adaptive_kernelIiif21rocsparse_complex_numIfES2_S2_EEvbT_PKS3_PjPKT0_NS_24const_host_device_scalarIT4_EES5_S9_PKT1_PKT2_SC_PT3_21rocsparse_index_base_b,"axG",@progbits,_ZN9rocsparseL22csrmvn_adaptive_kernelIiif21rocsparse_complex_numIfES2_S2_EEvbT_PKS3_PjPKT0_NS_24const_host_device_scalarIT4_EES5_S9_PKT1_PKT2_SC_PT3_21rocsparse_index_base_b,comdat
.Lfunc_end82:
	.size	_ZN9rocsparseL22csrmvn_adaptive_kernelIiif21rocsparse_complex_numIfES2_S2_EEvbT_PKS3_PjPKT0_NS_24const_host_device_scalarIT4_EES5_S9_PKT1_PKT2_SC_PT3_21rocsparse_index_base_b, .Lfunc_end82-_ZN9rocsparseL22csrmvn_adaptive_kernelIiif21rocsparse_complex_numIfES2_S2_EEvbT_PKS3_PjPKT0_NS_24const_host_device_scalarIT4_EES5_S9_PKT1_PKT2_SC_PT3_21rocsparse_index_base_b
                                        ; -- End function
	.set _ZN9rocsparseL22csrmvn_adaptive_kernelIiif21rocsparse_complex_numIfES2_S2_EEvbT_PKS3_PjPKT0_NS_24const_host_device_scalarIT4_EES5_S9_PKT1_PKT2_SC_PT3_21rocsparse_index_base_b.num_vgpr, 28
	.set _ZN9rocsparseL22csrmvn_adaptive_kernelIiif21rocsparse_complex_numIfES2_S2_EEvbT_PKS3_PjPKT0_NS_24const_host_device_scalarIT4_EES5_S9_PKT1_PKT2_SC_PT3_21rocsparse_index_base_b.num_agpr, 0
	.set _ZN9rocsparseL22csrmvn_adaptive_kernelIiif21rocsparse_complex_numIfES2_S2_EEvbT_PKS3_PjPKT0_NS_24const_host_device_scalarIT4_EES5_S9_PKT1_PKT2_SC_PT3_21rocsparse_index_base_b.numbered_sgpr, 40
	.set _ZN9rocsparseL22csrmvn_adaptive_kernelIiif21rocsparse_complex_numIfES2_S2_EEvbT_PKS3_PjPKT0_NS_24const_host_device_scalarIT4_EES5_S9_PKT1_PKT2_SC_PT3_21rocsparse_index_base_b.num_named_barrier, 0
	.set _ZN9rocsparseL22csrmvn_adaptive_kernelIiif21rocsparse_complex_numIfES2_S2_EEvbT_PKS3_PjPKT0_NS_24const_host_device_scalarIT4_EES5_S9_PKT1_PKT2_SC_PT3_21rocsparse_index_base_b.private_seg_size, 0
	.set _ZN9rocsparseL22csrmvn_adaptive_kernelIiif21rocsparse_complex_numIfES2_S2_EEvbT_PKS3_PjPKT0_NS_24const_host_device_scalarIT4_EES5_S9_PKT1_PKT2_SC_PT3_21rocsparse_index_base_b.uses_vcc, 1
	.set _ZN9rocsparseL22csrmvn_adaptive_kernelIiif21rocsparse_complex_numIfES2_S2_EEvbT_PKS3_PjPKT0_NS_24const_host_device_scalarIT4_EES5_S9_PKT1_PKT2_SC_PT3_21rocsparse_index_base_b.uses_flat_scratch, 0
	.set _ZN9rocsparseL22csrmvn_adaptive_kernelIiif21rocsparse_complex_numIfES2_S2_EEvbT_PKS3_PjPKT0_NS_24const_host_device_scalarIT4_EES5_S9_PKT1_PKT2_SC_PT3_21rocsparse_index_base_b.has_dyn_sized_stack, 0
	.set _ZN9rocsparseL22csrmvn_adaptive_kernelIiif21rocsparse_complex_numIfES2_S2_EEvbT_PKS3_PjPKT0_NS_24const_host_device_scalarIT4_EES5_S9_PKT1_PKT2_SC_PT3_21rocsparse_index_base_b.has_recursion, 0
	.set _ZN9rocsparseL22csrmvn_adaptive_kernelIiif21rocsparse_complex_numIfES2_S2_EEvbT_PKS3_PjPKT0_NS_24const_host_device_scalarIT4_EES5_S9_PKT1_PKT2_SC_PT3_21rocsparse_index_base_b.has_indirect_call, 0
	.section	.AMDGPU.csdata,"",@progbits
; Kernel info:
; codeLenInByte = 5640
; TotalNumSgprs: 42
; NumVgprs: 28
; ScratchSize: 0
; MemoryBound: 0
; FloatMode: 240
; IeeeMode: 1
; LDSByteSize: 8192 bytes/workgroup (compile time only)
; SGPRBlocks: 0
; VGPRBlocks: 3
; NumSGPRsForWavesPerEU: 42
; NumVGPRsForWavesPerEU: 28
; Occupancy: 16
; WaveLimiterHint : 1
; COMPUTE_PGM_RSRC2:SCRATCH_EN: 0
; COMPUTE_PGM_RSRC2:USER_SGPR: 2
; COMPUTE_PGM_RSRC2:TRAP_HANDLER: 0
; COMPUTE_PGM_RSRC2:TGID_X_EN: 1
; COMPUTE_PGM_RSRC2:TGID_Y_EN: 0
; COMPUTE_PGM_RSRC2:TGID_Z_EN: 0
; COMPUTE_PGM_RSRC2:TIDIG_COMP_CNT: 0
	.section	.text._ZN9rocsparseL27csrmvn_symm_adaptive_kernelIiif21rocsparse_complex_numIfES2_S2_EEvbT_S3_PKS3_NS_24const_host_device_scalarIT4_EES5_PKT0_PKT1_PKT2_S8_PT3_21rocsparse_index_base_b,"axG",@progbits,_ZN9rocsparseL27csrmvn_symm_adaptive_kernelIiif21rocsparse_complex_numIfES2_S2_EEvbT_S3_PKS3_NS_24const_host_device_scalarIT4_EES5_PKT0_PKT1_PKT2_S8_PT3_21rocsparse_index_base_b,comdat
	.globl	_ZN9rocsparseL27csrmvn_symm_adaptive_kernelIiif21rocsparse_complex_numIfES2_S2_EEvbT_S3_PKS3_NS_24const_host_device_scalarIT4_EES5_PKT0_PKT1_PKT2_S8_PT3_21rocsparse_index_base_b ; -- Begin function _ZN9rocsparseL27csrmvn_symm_adaptive_kernelIiif21rocsparse_complex_numIfES2_S2_EEvbT_S3_PKS3_NS_24const_host_device_scalarIT4_EES5_PKT0_PKT1_PKT2_S8_PT3_21rocsparse_index_base_b
	.p2align	8
	.type	_ZN9rocsparseL27csrmvn_symm_adaptive_kernelIiif21rocsparse_complex_numIfES2_S2_EEvbT_S3_PKS3_NS_24const_host_device_scalarIT4_EES5_PKT0_PKT1_PKT2_S8_PT3_21rocsparse_index_base_b,@function
_ZN9rocsparseL27csrmvn_symm_adaptive_kernelIiif21rocsparse_complex_numIfES2_S2_EEvbT_S3_PKS3_NS_24const_host_device_scalarIT4_EES5_PKT0_PKT1_PKT2_S8_PT3_21rocsparse_index_base_b: ; @_ZN9rocsparseL27csrmvn_symm_adaptive_kernelIiif21rocsparse_complex_numIfES2_S2_EEvbT_S3_PKS3_NS_24const_host_device_scalarIT4_EES5_PKT0_PKT1_PKT2_S8_PT3_21rocsparse_index_base_b
; %bb.0:
	s_clause 0x1
	s_load_b64 s[20:21], s[0:1], 0x50
	s_load_b64 s[4:5], s[0:1], 0x18
	s_add_nc_u64 s[6:7], s[0:1], 24
	s_wait_kmcnt 0x0
	s_bitcmp1_b32 s21, 0
	s_cselect_b32 s3, -1, 0
	s_delay_alu instid0(SALU_CYCLE_1) | instskip(SKIP_2) | instid1(SALU_CYCLE_1)
	s_and_b32 s2, s3, exec_lo
	s_cselect_b32 s2, s6, s4
	s_cselect_b32 s4, s7, s5
	v_dual_mov_b32 v1, s2 :: v_dual_mov_b32 v2, s4
	flat_load_b64 v[3:4], v[1:2]
	s_wait_loadcnt_dscnt 0x0
	v_cmp_eq_f32_e32 vcc_lo, 0, v3
	v_cmp_eq_f32_e64 s2, 0, v4
	s_and_b32 s5, vcc_lo, s2
	s_mov_b32 s2, -1
	s_wait_alu 0xfffe
	s_and_saveexec_b32 s4, s5
	s_cbranch_execz .LBB83_2
; %bb.1:
	s_load_b64 s[6:7], s[0:1], 0x40
	s_add_nc_u64 s[8:9], s[0:1], 64
	s_and_b32 s2, s3, exec_lo
	s_wait_kmcnt 0x0
	s_cselect_b32 s2, s8, s6
	s_cselect_b32 s3, s9, s7
	s_wait_alu 0xfffe
	v_dual_mov_b32 v1, s2 :: v_dual_mov_b32 v2, s3
	flat_load_b64 v[1:2], v[1:2]
	s_wait_loadcnt_dscnt 0x0
	v_cmp_neq_f32_e32 vcc_lo, 1.0, v1
	v_cmp_neq_f32_e64 s2, 0, v2
	s_or_b32 s2, vcc_lo, s2
	s_wait_alu 0xfffe
	s_or_not1_b32 s2, s2, exec_lo
.LBB83_2:
	s_wait_alu 0xfffe
	s_or_b32 exec_lo, exec_lo, s4
	s_and_saveexec_b32 s3, s2
	s_cbranch_execz .LBB83_133
; %bb.3:
	s_load_b64 s[4:5], s[0:1], 0x10
	s_mov_b32 s6, 0
	s_mov_b32 s2, ttmp9
	s_mov_b32 s7, s6
	v_mov_b32_e32 v1, s6
	s_ashr_i32 s3, ttmp9, 31
	v_dual_mov_b32 v2, s7 :: v_dual_lshlrev_b32 v11, 3, v0
	s_wait_alu 0xfffe
	s_lshl_b64 s[2:3], s[2:3], 2
	ds_store_2addr_stride64_b64 v11, v[1:2], v[1:2] offset1:4
	ds_store_2addr_stride64_b64 v11, v[1:2], v[1:2] offset0:8 offset1:12
	s_wait_dscnt 0x0
	s_barrier_signal -1
	s_barrier_wait -1
	global_inv scope:SCOPE_SE
	v_subrev_nc_u32_e32 v12, s20, v0
	s_wait_kmcnt 0x0
	s_wait_alu 0xfffe
	s_add_nc_u64 s[2:3], s[4:5], s[2:3]
	s_load_b64 s[18:19], s[2:3], 0x0
	s_clause 0x1
	s_load_b256 s[8:15], s[0:1], 0x20
	s_load_b64 s[16:17], s[0:1], 0x48
	s_mov_b32 s2, -1
	s_wait_kmcnt 0x0
	s_sub_co_i32 s21, s19, s18
	s_wait_alu 0xfffe
	s_cmp_gt_i32 s21, 2
	s_cbranch_scc1 .LBB83_38
; %bb.4:
	s_cmp_le_i32 s19, s18
	s_cbranch_scc1 .LBB83_28
; %bb.5:
	v_cmp_gt_u32_e64 s2, 16, v0
	v_cmp_gt_u32_e64 s3, 4, v0
	v_cmp_eq_u32_e64 s4, 0, v0
	v_mov_b32_e32 v13, 0
	s_mov_b32 s22, s18
	v_cmp_gt_u32_e32 vcc_lo, 64, v0
	s_branch .LBB83_7
.LBB83_6:                               ;   in Loop: Header=BB83_7 Depth=1
	s_wait_alu 0xfffe
	s_or_b32 exec_lo, exec_lo, s24
	s_add_co_i32 s22, s22, 1
	s_wait_alu 0xfffe
	s_cmp_ge_i32 s22, s19
	s_cbranch_scc1 .LBB83_28
.LBB83_7:                               ; =>This Loop Header: Depth=1
                                        ;     Child Loop BB83_9 Depth 2
                                        ;     Child Loop BB83_21 Depth 2
	;; [unrolled: 1-line block ×3, first 2 shown]
	s_ashr_i32 s23, s22, 31
	v_mov_b32_e32 v5, 0
	s_wait_alu 0xfffe
	s_lshl_b64 s[6:7], s[22:23], 2
	v_mov_b32_e32 v6, 0
	s_wait_alu 0xfffe
	s_add_nc_u64 s[6:7], s[8:9], s[6:7]
	s_load_b64 s[6:7], s[6:7], 0x0
	s_wait_kmcnt 0x0
	v_add_nc_u32_e32 v1, s6, v12
	s_sub_co_i32 s24, s7, s20
	s_mov_b32 s7, exec_lo
	s_wait_alu 0xfffe
	s_delay_alu instid0(VALU_DEP_1)
	v_cmpx_gt_i32_e64 s24, v1
	s_cbranch_execz .LBB83_11
; %bb.8:                                ;   in Loop: Header=BB83_7 Depth=1
	v_ashrrev_i32_e32 v2, 31, v1
	v_mov_b32_e32 v6, 0
	s_mov_b32 s25, 0
	s_delay_alu instid0(VALU_DEP_2) | instskip(NEXT) | instid1(VALU_DEP_2)
	v_lshlrev_b64_e32 v[9:10], 2, v[1:2]
	v_mov_b32_e32 v5, v6
	s_delay_alu instid0(VALU_DEP_2) | instskip(SKIP_1) | instid1(VALU_DEP_3)
	v_add_co_u32 v7, s5, s10, v9
	s_wait_alu 0xf1ff
	v_add_co_ci_u32_e64 v8, null, s11, v10, s5
	v_add_co_u32 v9, s5, s12, v9
	s_wait_alu 0xf1ff
	v_add_co_ci_u32_e64 v10, null, s13, v10, s5
.LBB83_9:                               ;   Parent Loop BB83_7 Depth=1
                                        ; =>  This Inner Loop Header: Depth=2
	global_load_b32 v2, v[7:8], off
	s_wait_loadcnt 0x0
	v_subrev_nc_u32_e32 v14, s20, v2
	s_delay_alu instid0(VALU_DEP_1) | instskip(NEXT) | instid1(VALU_DEP_1)
	v_ashrrev_i32_e32 v15, 31, v14
	v_lshlrev_b64_e32 v[14:15], 3, v[14:15]
	s_delay_alu instid0(VALU_DEP_1) | instskip(SKIP_1) | instid1(VALU_DEP_2)
	v_add_co_u32 v14, s5, s14, v14
	s_wait_alu 0xf1ff
	v_add_co_ci_u32_e64 v15, null, s15, v15, s5
	v_add_co_u32 v7, s5, 0x400, v7
	global_load_b32 v2, v[9:10], off
	global_load_b64 v[14:15], v[14:15], off
	v_add_nc_u32_e32 v1, 0x100, v1
	s_wait_alu 0xf1ff
	v_add_co_ci_u32_e64 v8, null, 0, v8, s5
	v_add_co_u32 v9, s5, 0x400, v9
	s_wait_alu 0xf1ff
	v_add_co_ci_u32_e64 v10, null, 0, v10, s5
	s_wait_loadcnt 0x0
	v_fmac_f32_e32 v5, v2, v14
	v_fmac_f32_e32 v6, 0, v14
	v_cmp_le_i32_e64 s6, s24, v1
	s_delay_alu instid0(VALU_DEP_3) | instskip(NEXT) | instid1(VALU_DEP_3)
	v_fmac_f32_e32 v5, 0x80000000, v15
	v_fmac_f32_e32 v6, v2, v15
	s_wait_alu 0xfffe
	s_or_b32 s25, s6, s25
	s_wait_alu 0xfffe
	s_and_not1_b32 exec_lo, exec_lo, s25
	s_cbranch_execnz .LBB83_9
; %bb.10:                               ;   in Loop: Header=BB83_7 Depth=1
	s_or_b32 exec_lo, exec_lo, s25
.LBB83_11:                              ;   in Loop: Header=BB83_7 Depth=1
	s_wait_alu 0xfffe
	s_or_b32 exec_lo, exec_lo, s7
	ds_store_b64 v11, v[5:6]
	s_wait_loadcnt_dscnt 0x0
	s_barrier_signal -1
	s_barrier_wait -1
	global_inv scope:SCOPE_SE
	ds_load_2addr_stride64_b64 v[5:8], v11 offset1:4
	ds_load_2addr_stride64_b64 v[14:17], v11 offset0:8 offset1:12
	s_wait_dscnt 0x0
	v_dual_add_f32 v1, v14, v7 :: v_dual_add_f32 v2, v15, v8
	s_delay_alu instid0(VALU_DEP_1) | instskip(NEXT) | instid1(VALU_DEP_1)
	v_dual_add_f32 v1, v16, v1 :: v_dual_add_f32 v2, v17, v2
	v_dual_add_f32 v1, v1, v5 :: v_dual_add_f32 v2, v2, v6
	ds_store_b64 v11, v[1:2]
	s_wait_loadcnt_dscnt 0x0
	s_barrier_signal -1
	s_barrier_wait -1
	global_inv scope:SCOPE_SE
	s_and_saveexec_b32 s5, vcc_lo
	s_cbranch_execz .LBB83_13
; %bb.12:                               ;   in Loop: Header=BB83_7 Depth=1
	ds_load_2addr_stride64_b64 v[5:8], v11 offset1:1
	ds_load_2addr_stride64_b64 v[14:17], v11 offset0:2 offset1:3
	s_wait_dscnt 0x0
	v_dual_add_f32 v1, v14, v7 :: v_dual_add_f32 v2, v15, v8
	s_delay_alu instid0(VALU_DEP_1) | instskip(NEXT) | instid1(VALU_DEP_1)
	v_dual_add_f32 v1, v16, v1 :: v_dual_add_f32 v2, v17, v2
	v_dual_add_f32 v1, v1, v5 :: v_dual_add_f32 v2, v2, v6
	ds_store_b64 v11, v[1:2]
.LBB83_13:                              ;   in Loop: Header=BB83_7 Depth=1
	s_wait_alu 0xfffe
	s_or_b32 exec_lo, exec_lo, s5
	s_wait_loadcnt_dscnt 0x0
	s_barrier_signal -1
	s_barrier_wait -1
	global_inv scope:SCOPE_SE
	s_and_saveexec_b32 s5, s2
	s_cbranch_execz .LBB83_15
; %bb.14:                               ;   in Loop: Header=BB83_7 Depth=1
	ds_load_2addr_b64 v[5:8], v11 offset1:16
	ds_load_2addr_b64 v[14:17], v11 offset0:32 offset1:48
	s_wait_dscnt 0x0
	v_dual_add_f32 v1, v14, v7 :: v_dual_add_f32 v2, v15, v8
	s_delay_alu instid0(VALU_DEP_1) | instskip(NEXT) | instid1(VALU_DEP_1)
	v_dual_add_f32 v1, v16, v1 :: v_dual_add_f32 v2, v17, v2
	v_dual_add_f32 v1, v1, v5 :: v_dual_add_f32 v2, v2, v6
	ds_store_b64 v11, v[1:2]
.LBB83_15:                              ;   in Loop: Header=BB83_7 Depth=1
	s_wait_alu 0xfffe
	s_or_b32 exec_lo, exec_lo, s5
	s_wait_loadcnt_dscnt 0x0
	s_barrier_signal -1
	s_barrier_wait -1
	global_inv scope:SCOPE_SE
	s_and_saveexec_b32 s5, s3
	s_cbranch_execz .LBB83_17
; %bb.16:                               ;   in Loop: Header=BB83_7 Depth=1
	ds_load_2addr_b64 v[5:8], v11 offset1:4
	ds_load_2addr_b64 v[14:17], v11 offset0:8 offset1:12
	s_wait_dscnt 0x0
	v_dual_add_f32 v1, v14, v7 :: v_dual_add_f32 v2, v15, v8
	s_delay_alu instid0(VALU_DEP_1) | instskip(NEXT) | instid1(VALU_DEP_1)
	v_dual_add_f32 v1, v16, v1 :: v_dual_add_f32 v2, v17, v2
	v_dual_add_f32 v1, v1, v5 :: v_dual_add_f32 v2, v2, v6
	ds_store_b64 v11, v[1:2]
.LBB83_17:                              ;   in Loop: Header=BB83_7 Depth=1
	s_wait_alu 0xfffe
	s_or_b32 exec_lo, exec_lo, s5
	s_wait_loadcnt_dscnt 0x0
	s_barrier_signal -1
	s_barrier_wait -1
	global_inv scope:SCOPE_SE
	s_and_saveexec_b32 s5, s4
	s_cbranch_execz .LBB83_19
; %bb.18:                               ;   in Loop: Header=BB83_7 Depth=1
	ds_load_b128 v[5:8], v13 offset:16
	ds_load_b64 v[1:2], v13 offset:8
	ds_load_b64 v[9:10], v11
	s_wait_dscnt 0x1
	v_dual_add_f32 v1, v5, v1 :: v_dual_add_f32 v2, v6, v2
	s_delay_alu instid0(VALU_DEP_1) | instskip(SKIP_1) | instid1(VALU_DEP_1)
	v_dual_add_f32 v1, v7, v1 :: v_dual_add_f32 v2, v8, v2
	s_wait_dscnt 0x0
	v_dual_add_f32 v1, v1, v9 :: v_dual_add_f32 v2, v2, v10
	ds_store_b64 v11, v[1:2]
.LBB83_19:                              ;   in Loop: Header=BB83_7 Depth=1
	s_wait_alu 0xfffe
	s_or_b32 exec_lo, exec_lo, s5
	s_wait_loadcnt_dscnt 0x0
	s_barrier_signal -1
	s_barrier_wait -1
	global_inv scope:SCOPE_SE
	s_and_saveexec_b32 s24, s4
	s_cbranch_execz .LBB83_6
; %bb.20:                               ;   in Loop: Header=BB83_7 Depth=1
	ds_load_b64 v[1:2], v13
	s_mov_b32 s5, exec_lo
	s_brev_b32 s25, 1
	s_wait_dscnt 0x0
	v_mul_f32_e64 v5, v2, -v4
	s_delay_alu instid0(VALU_DEP_1)
	v_fmac_f32_e32 v5, v3, v1
.LBB83_21:                              ;   Parent Loop BB83_7 Depth=1
                                        ; =>  This Inner Loop Header: Depth=2
	s_wait_alu 0xfffe
	s_ctz_i32_b32 s6, s5
	s_wait_alu 0xfffe
	s_delay_alu instid0(VALU_DEP_1)
	v_readlane_b32 s7, v5, s6
	s_lshl_b32 s6, 1, s6
	s_wait_alu 0xfffe
	s_and_not1_b32 s5, s5, s6
	s_wait_alu 0xfffe
	s_cmp_lg_u32 s5, 0
	s_add_f32 s25, s25, s7
	s_cbranch_scc1 .LBB83_21
; %bb.22:                               ;   in Loop: Header=BB83_7 Depth=1
	v_mbcnt_lo_u32_b32 v5, exec_lo, 0
	s_lshl_b64 s[6:7], s[22:23], 3
	s_wait_alu 0xfffe
	s_add_nc_u64 s[6:7], s[16:17], s[6:7]
	s_delay_alu instid0(VALU_DEP_1)
	v_cmp_eq_u32_e64 s5, 0, v5
	s_and_saveexec_b32 s23, s5
	s_wait_alu 0xfffe
	s_xor_b32 s5, exec_lo, s23
	s_cbranch_execz .LBB83_24
; %bb.23:                               ;   in Loop: Header=BB83_7 Depth=1
	v_mov_b32_e32 v5, s25
	global_atomic_add_f32 v13, v5, s[6:7] scope:SCOPE_DEV
.LBB83_24:                              ;   in Loop: Header=BB83_7 Depth=1
	s_wait_alu 0xfffe
	s_or_b32 exec_lo, exec_lo, s5
	v_mul_f32_e32 v2, v3, v2
	s_mov_b32 s5, exec_lo
	s_brev_b32 s23, 1
	s_delay_alu instid0(VALU_DEP_1)
	v_fmac_f32_e32 v2, v4, v1
.LBB83_25:                              ;   Parent Loop BB83_7 Depth=1
                                        ; =>  This Inner Loop Header: Depth=2
	s_wait_alu 0xfffe
	s_ctz_i32_b32 s25, s5
	s_wait_alu 0xfffe
	s_delay_alu instid0(VALU_DEP_1)
	v_readlane_b32 s26, v2, s25
	s_lshl_b32 s25, 1, s25
	s_wait_alu 0xfffe
	s_and_not1_b32 s5, s5, s25
	s_wait_alu 0xfffe
	s_cmp_lg_u32 s5, 0
	s_add_f32 s23, s23, s26
	s_cbranch_scc1 .LBB83_25
; %bb.26:                               ;   in Loop: Header=BB83_7 Depth=1
	v_mbcnt_lo_u32_b32 v1, exec_lo, 0
	s_mov_b32 s25, exec_lo
	s_delay_alu instid0(VALU_DEP_1)
	v_cmpx_eq_u32_e32 0, v1
	s_wait_alu 0xfffe
	s_xor_b32 s25, exec_lo, s25
	s_cbranch_execz .LBB83_6
; %bb.27:                               ;   in Loop: Header=BB83_7 Depth=1
	v_mov_b32_e32 v1, s23
	global_atomic_add_f32 v13, v1, s[6:7] offset:4 scope:SCOPE_DEV
	s_branch .LBB83_6
.LBB83_28:
	s_ashr_i32 s3, s18, 31
	s_mov_b32 s2, s18
	s_ashr_i32 s5, s19, 31
	s_wait_alu 0xfffe
	s_lshl_b64 s[2:3], s[2:3], 2
	s_mov_b32 s4, s19
	s_wait_alu 0xfffe
	s_add_nc_u64 s[2:3], s[8:9], s[2:3]
	s_lshl_b64 s[4:5], s[4:5], 2
	s_load_b32 s6, s[2:3], 0x0
	s_add_nc_u64 s[2:3], s[8:9], s[4:5]
	s_mov_b32 s4, exec_lo
	s_load_b32 s2, s[2:3], 0x0
	s_wait_kmcnt 0x0
	v_add_nc_u32_e32 v1, s6, v12
	s_sub_co_i32 s3, s2, s20
	s_wait_alu 0xfffe
	s_delay_alu instid0(VALU_DEP_1)
	v_cmpx_gt_i32_e64 s3, v1
	s_cbranch_execz .LBB83_37
; %bb.29:
	s_add_co_i32 s5, s19, -1
	v_dual_mul_f32 v10, 0x80000000, v4 :: v_dual_mul_f32 v13, 0, v3
	s_wait_alu 0xfffe
	s_cmp_lt_i32 s18, s5
	s_mov_b32 s7, 0
	s_cselect_b32 s2, -1, 0
	s_add_co_i32 s6, s19, -2
	s_wait_alu 0xfffe
	s_cmp_lg_u32 s18, s6
	s_cselect_b32 s6, -1, 0
	s_wait_alu 0xfffe
	s_and_b32 s6, s2, s6
	s_branch .LBB83_31
.LBB83_30:                              ;   in Loop: Header=BB83_31 Depth=1
	s_wait_alu 0xfffe
	s_or_b32 exec_lo, exec_lo, s2
	v_add_nc_u32_e32 v1, 0x100, v1
	s_delay_alu instid0(VALU_DEP_1)
	v_cmp_le_i32_e32 vcc_lo, s3, v1
	s_or_b32 s7, vcc_lo, s7
	s_wait_alu 0xfffe
	s_and_not1_b32 exec_lo, exec_lo, s7
	s_cbranch_execz .LBB83_37
.LBB83_31:                              ; =>This Loop Header: Depth=1
                                        ;     Child Loop BB83_33 Depth 2
	v_dual_mov_b32 v8, s18 :: v_dual_mov_b32 v5, s5
	s_wait_alu 0xfffe
	s_and_not1_b32 vcc_lo, exec_lo, s6
	s_wait_alu 0xfffe
	s_cbranch_vccnz .LBB83_35
; %bb.32:                               ;   in Loop: Header=BB83_31 Depth=1
	v_dual_mov_b32 v8, s18 :: v_dual_mov_b32 v5, s5
	s_mov_b32 s22, 0
.LBB83_33:                              ;   Parent Loop BB83_31 Depth=1
                                        ; =>  This Inner Loop Header: Depth=2
	s_delay_alu instid0(VALU_DEP_1) | instskip(NEXT) | instid1(VALU_DEP_1)
	v_add_nc_u32_e32 v2, v5, v8
	v_lshrrev_b32_e32 v6, 31, v2
	s_delay_alu instid0(VALU_DEP_1) | instskip(NEXT) | instid1(VALU_DEP_1)
	v_add_nc_u32_e32 v2, v2, v6
	v_ashrrev_i32_e32 v6, 1, v2
	s_delay_alu instid0(VALU_DEP_1) | instskip(NEXT) | instid1(VALU_DEP_1)
	v_ashrrev_i32_e32 v7, 31, v6
	v_lshlrev_b64_e32 v[14:15], 2, v[6:7]
	s_delay_alu instid0(VALU_DEP_1) | instskip(SKIP_1) | instid1(VALU_DEP_2)
	v_add_co_u32 v14, vcc_lo, s8, v14
	s_wait_alu 0xfffd
	v_add_co_ci_u32_e64 v15, null, s9, v15, vcc_lo
	global_load_b32 v2, v[14:15], off
	s_wait_loadcnt 0x0
	v_subrev_nc_u32_e32 v2, s20, v2
	s_delay_alu instid0(VALU_DEP_1) | instskip(SKIP_2) | instid1(VALU_DEP_1)
	v_cmp_lt_i32_e32 vcc_lo, v1, v2
	s_wait_alu 0xfffd
	v_dual_cndmask_b32 v5, v5, v6 :: v_dual_cndmask_b32 v8, v6, v8
	v_add_nc_u32_e32 v2, -1, v5
	s_delay_alu instid0(VALU_DEP_2) | instskip(NEXT) | instid1(VALU_DEP_2)
	v_cmp_ge_i32_e32 vcc_lo, v8, v5
	v_cmp_eq_u32_e64 s2, v8, v2
	s_or_b32 s2, vcc_lo, s2
	s_wait_alu 0xfffe
	s_and_b32 s2, exec_lo, s2
	s_wait_alu 0xfffe
	s_or_b32 s22, s2, s22
	s_wait_alu 0xfffe
	s_and_not1_b32 exec_lo, exec_lo, s22
	s_cbranch_execnz .LBB83_33
; %bb.34:                               ;   in Loop: Header=BB83_31 Depth=1
	s_or_b32 exec_lo, exec_lo, s22
.LBB83_35:                              ;   in Loop: Header=BB83_31 Depth=1
	v_ashrrev_i32_e32 v6, 31, v5
	v_ashrrev_i32_e32 v2, 31, v1
	s_mov_b32 s2, exec_lo
	s_delay_alu instid0(VALU_DEP_2) | instskip(NEXT) | instid1(VALU_DEP_1)
	v_lshlrev_b64_e32 v[6:7], 2, v[5:6]
	v_add_co_u32 v14, vcc_lo, s8, v6
	s_wait_alu 0xfffd
	s_delay_alu instid0(VALU_DEP_2)
	v_add_co_ci_u32_e64 v15, null, s9, v7, vcc_lo
	v_lshlrev_b64_e32 v[6:7], 2, v[1:2]
	global_load_b32 v2, v[14:15], off
	v_add_co_u32 v14, vcc_lo, s10, v6
	s_wait_alu 0xfffd
	v_add_co_ci_u32_e64 v15, null, s11, v7, vcc_lo
	global_load_b32 v9, v[14:15], off
	s_wait_loadcnt 0x1
	v_subrev_nc_u32_e32 v2, s20, v2
	s_delay_alu instid0(VALU_DEP_1) | instskip(SKIP_4) | instid1(VALU_DEP_1)
	v_cmp_lt_i32_e32 vcc_lo, v1, v2
	s_wait_alu 0xfffd
	v_cndmask_b32_e32 v8, v5, v8, vcc_lo
	s_wait_loadcnt 0x0
	v_subrev_nc_u32_e32 v5, s20, v9
	v_cmpx_ne_u32_e64 v5, v8
	s_cbranch_execz .LBB83_30
; %bb.36:                               ;   in Loop: Header=BB83_31 Depth=1
	v_ashrrev_i32_e32 v9, 31, v8
	v_add_co_u32 v6, vcc_lo, s12, v6
	s_wait_alu 0xfffd
	v_add_co_ci_u32_e64 v7, null, s13, v7, vcc_lo
	s_delay_alu instid0(VALU_DEP_3)
	v_lshlrev_b64_e32 v[8:9], 3, v[8:9]
	global_load_b32 v2, v[6:7], off
	v_add_co_u32 v6, vcc_lo, s14, v8
	s_wait_alu 0xfffd
	v_add_co_ci_u32_e64 v7, null, s15, v9, vcc_lo
	global_load_b64 v[7:8], v[6:7], off
	v_ashrrev_i32_e32 v6, 31, v5
	s_delay_alu instid0(VALU_DEP_1) | instskip(NEXT) | instid1(VALU_DEP_1)
	v_lshlrev_b64_e32 v[5:6], 3, v[5:6]
	v_add_co_u32 v5, vcc_lo, s16, v5
	s_wait_alu 0xfffd
	s_delay_alu instid0(VALU_DEP_2) | instskip(SKIP_4) | instid1(VALU_DEP_2)
	v_add_co_ci_u32_e64 v6, null, s17, v6, vcc_lo
	s_wait_loadcnt 0x1
	v_fma_f32 v9, v4, v2, v13
	v_fma_f32 v2, v3, v2, v10
	s_wait_loadcnt 0x0
	v_mul_f32_e64 v14, v8, -v9
	s_delay_alu instid0(VALU_DEP_2) | instskip(NEXT) | instid1(VALU_DEP_2)
	v_mul_f32_e32 v8, v2, v8
	v_fmac_f32_e32 v14, v2, v7
	s_delay_alu instid0(VALU_DEP_2)
	v_fmac_f32_e32 v8, v9, v7
	s_clause 0x1
	global_atomic_add_f32 v[5:6], v14, off scope:SCOPE_DEV
	global_atomic_add_f32 v[5:6], v8, off offset:4 scope:SCOPE_DEV
	s_branch .LBB83_30
.LBB83_37:
	s_or_b32 exec_lo, exec_lo, s4
	s_mov_b32 s2, 0
.LBB83_38:
	s_wait_alu 0xfffe
	s_and_b32 vcc_lo, exec_lo, s2
	s_wait_alu 0xfffe
	s_cbranch_vccz .LBB83_133
; %bb.39:
	s_ashr_i32 s3, s18, 31
	s_mov_b32 s2, s18
	s_cvt_f32_u32 s4, s21
	s_wait_alu 0xfffe
	s_lshl_b64 s[2:3], s[2:3], 2
	s_mov_b32 s5, 0
	s_wait_alu 0xfffe
	s_add_nc_u64 s[2:3], s[8:9], s[2:3]
	v_rcp_iflag_f32_e32 v1, s4
	s_load_b32 s24, s[2:3], 0x0
	s_clause 0x1
	s_load_b64 s[6:7], s[0:1], 0x4
	s_load_b32 s1, s[0:1], 0x64
	s_delay_alu instid0(TRANS32_DEP_1) | instskip(SKIP_1) | instid1(SALU_CYCLE_3)
	v_readfirstlane_b32 s0, v1
	s_mul_f32 s0, s0, 0x4f7ffffe
	s_cvt_u32_f32 s22, s0
	s_sub_co_i32 s0, 0, s21
	s_wait_kmcnt 0x0
	v_add_nc_u32_e32 v1, s24, v12
	s_wait_alu 0xfffe
	s_mul_i32 s0, s0, s22
	s_delay_alu instid0(VALU_DEP_1) | instskip(NEXT) | instid1(VALU_DEP_1)
	v_add_nc_u32_e32 v7, 0x300, v1
	v_cmp_le_i32_e32 vcc_lo, s6, v7
	s_mul_hi_u32 s6, s22, s0
	s_and_saveexec_b32 s0, vcc_lo
	s_delay_alu instid0(SALU_CYCLE_1)
	s_xor_b32 s4, exec_lo, s0
	s_cbranch_execz .LBB83_44
; %bb.40:
	s_ashr_i32 s27, s19, 31
	s_mov_b32 s26, s19
	s_mov_b32 s25, exec_lo
	s_lshl_b64 s[26:27], s[26:27], 2
	s_delay_alu instid0(SALU_CYCLE_1)
	s_add_nc_u64 s[26:27], s[8:9], s[26:27]
	s_load_b32 s0, s[26:27], 0x0
	s_wait_kmcnt 0x0
	s_sub_co_i32 s23, s0, s24
	s_wait_alu 0xfffe
	v_cmpx_gt_i32_e64 s23, v0
	s_cbranch_execz .LBB83_43
; %bb.41:
	v_dual_mul_f32 v2, 0x80000000, v4 :: v_dual_mul_f32 v5, 0, v3
	v_mov_b32_e32 v6, v11
	v_mov_b32_e32 v8, v0
	s_mov_b32 s26, 0
	s_sub_co_i32 s27, s24, s20
.LBB83_42:                              ; =>This Inner Loop Header: Depth=1
	s_delay_alu instid0(VALU_DEP_1) | instid1(SALU_CYCLE_1)
	v_add_nc_u32_e32 v9, s27, v8
	v_add_nc_u32_e32 v8, 0x100, v8
	s_delay_alu instid0(VALU_DEP_2) | instskip(NEXT) | instid1(VALU_DEP_1)
	v_ashrrev_i32_e32 v10, 31, v9
	v_lshlrev_b64_e32 v[9:10], 2, v[9:10]
	s_delay_alu instid0(VALU_DEP_1) | instskip(SKIP_1) | instid1(VALU_DEP_2)
	v_add_co_u32 v9, s0, s12, v9
	s_wait_alu 0xf1ff
	v_add_co_ci_u32_e64 v10, null, s13, v10, s0
	v_cmp_le_i32_e64 s0, s23, v8
	global_load_b32 v10, v[9:10], off
	s_or_b32 s26, s0, s26
	s_wait_loadcnt 0x0
	v_fma_f32 v9, v3, v10, v2
	v_fma_f32 v10, v4, v10, v5
	ds_store_b64 v6, v[9:10]
	v_add_nc_u32_e32 v6, 0x800, v6
	s_wait_alu 0xfffe
	s_and_not1_b32 exec_lo, exec_lo, s26
	s_cbranch_execnz .LBB83_42
.LBB83_43:
	s_or_b32 exec_lo, exec_lo, s25
                                        ; implicit-def: $vgpr3_vgpr4
.LBB83_44:
	s_wait_alu 0xfffe
	s_or_saveexec_b32 s23, s4
	v_ashrrev_i32_e32 v2, 31, v1
	s_and_b32 s4, s1, 0xffff
	s_add_co_i32 s22, s22, s6
	s_wait_alu 0xfffe
	s_xor_b32 exec_lo, exec_lo, s23
	s_cbranch_execz .LBB83_46
; %bb.45:
	v_lshlrev_b64_e32 v[5:6], 2, v[1:2]
	s_delay_alu instid0(VALU_DEP_1) | instskip(SKIP_1) | instid1(VALU_DEP_2)
	v_add_co_u32 v5, s0, s12, v5
	s_wait_alu 0xf1ff
	v_add_co_ci_u32_e64 v6, null, s13, v6, s0
	s_clause 0x3
	global_load_b32 v9, v[5:6], off
	global_load_b32 v10, v[5:6], off offset:1024
	global_load_b32 v15, v[5:6], off offset:2048
	;; [unrolled: 1-line block ×3, first 2 shown]
	v_dual_mul_f32 v5, 0x80000000, v4 :: v_dual_mul_f32 v6, 0, v3
	s_wait_loadcnt 0x3
	s_delay_alu instid0(VALU_DEP_1) | instskip(NEXT) | instid1(VALU_DEP_2)
	v_fma_f32 v8, v3, v9, v5
	v_fma_f32 v9, v4, v9, v6
	s_wait_loadcnt 0x2
	v_fma_f32 v12, v3, v10, v5
	v_fma_f32 v13, v4, v10, v6
	s_wait_loadcnt 0x1
	v_fma_f32 v14, v3, v15, v5
	v_fma_f32 v15, v4, v15, v6
	s_wait_loadcnt 0x0
	v_fmac_f32_e32 v5, v3, v16
	v_fmac_f32_e32 v6, v4, v16
	ds_store_2addr_stride64_b64 v11, v[8:9], v[12:13] offset1:4
	ds_store_2addr_stride64_b64 v11, v[14:15], v[5:6] offset0:8 offset1:12
.LBB83_46:
	s_or_b32 exec_lo, exec_lo, s23
	v_lshl_add_u32 v8, v0, 3, 0x2000
	s_mov_b32 s23, s5
	s_mov_b32 s1, exec_lo
	v_cmpx_gt_i32_e64 s7, v0
	s_cbranch_execz .LBB83_49
; %bb.47:
	v_lshl_add_u32 v3, v0, 3, 0x2000
	v_dual_mov_b32 v4, 0 :: v_dual_mov_b32 v5, v0
	s_mov_b32 s6, 0
.LBB83_48:                              ; =>This Inner Loop Header: Depth=1
	s_delay_alu instid0(VALU_DEP_1)
	v_add_nc_u32_e32 v5, 0x100, v5
	ds_store_2addr_b32 v3, v4, v4 offset1:1
	v_add_nc_u32_e32 v3, 0x800, v3
	v_cmp_le_i32_e64 s0, s7, v5
	s_wait_alu 0xfffe
	s_or_b32 s6, s0, s6
	s_wait_alu 0xfffe
	s_and_not1_b32 exec_lo, exec_lo, s6
	s_cbranch_execnz .LBB83_48
.LBB83_49:
	s_wait_alu 0xfffe
	s_or_b32 exec_lo, exec_lo, s1
	s_mul_u64 s[0:1], s[4:5], s[22:23]
	s_sub_co_i32 s0, s19, s7
	s_cmp_ge_i32 s19, s7
	s_wait_storecnt 0x0
	s_wait_loadcnt_dscnt 0x0
	s_wait_alu 0xfffe
	s_cselect_b32 s5, s0, 0
	s_barrier_signal -1
	s_barrier_wait -1
	global_inv scope:SCOPE_SE
	s_and_saveexec_b32 s0, vcc_lo
	s_wait_alu 0xfffe
	s_xor_b32 s6, exec_lo, s0
	s_cbranch_execz .LBB83_66
; %bb.50:
	s_ashr_i32 s13, s19, 31
	s_mov_b32 s12, s19
	s_wait_alu 0xfffe
	s_lshl_b64 s[12:13], s[12:13], 2
	s_wait_alu 0xfffe
	s_add_nc_u64 s[12:13], s[8:9], s[12:13]
	s_load_b32 s0, s[12:13], 0x0
	s_mov_b32 s13, exec_lo
	s_wait_kmcnt 0x0
	s_sub_co_i32 s12, s0, s24
	s_wait_alu 0xfffe
	v_cmpx_gt_i32_e64 s12, v0
	s_cbranch_execz .LBB83_65
; %bb.51:
	s_add_co_i32 s23, s19, -2
	s_add_co_i32 s22, s19, -1
	s_wait_alu 0xfffe
	s_cmp_lg_u32 s18, s23
	s_mov_b32 s26, 0
	s_cselect_b32 s23, -1, 0
	s_sub_co_i32 s25, s0, s20
	s_mov_b32 s27, 0
	s_branch .LBB83_54
.LBB83_52:                              ;   in Loop: Header=BB83_54 Depth=1
	s_wait_alu 0xfffe
	s_or_b32 exec_lo, exec_lo, s0
	v_xor_b32_e32 v7, 0x80000000, v5
.LBB83_53:                              ;   in Loop: Header=BB83_54 Depth=1
	s_or_b32 exec_lo, exec_lo, s28
	v_ashrrev_i32_e32 v3, 31, v2
	s_addk_co_i32 s27, 0x100
	s_delay_alu instid0(VALU_DEP_1) | instskip(NEXT) | instid1(VALU_DEP_1)
	v_lshlrev_b64_e32 v[2:3], 3, v[2:3]
	v_add_co_u32 v2, vcc_lo, s14, v2
	s_wait_alu 0xfffd
	s_delay_alu instid0(VALU_DEP_2) | instskip(SKIP_3) | instid1(VALU_DEP_1)
	v_add_co_ci_u32_e64 v3, null, s15, v3, vcc_lo
	global_load_b64 v[2:3], v[2:3], off
	s_wait_loadcnt 0x0
	v_mul_f32_e32 v6, v3, v7
	v_dual_mul_f32 v7, v3, v4 :: v_dual_fmac_f32 v6, v4, v2
	s_wait_alu 0xfffe
	s_delay_alu instid0(VALU_DEP_1) | instskip(NEXT) | instid1(VALU_DEP_1)
	v_dual_fmac_f32 v7, v5, v2 :: v_dual_add_nc_u32 v10, s27, v0
	v_cmp_le_i32_e32 vcc_lo, s12, v10
	ds_store_b64 v9, v[6:7]
	s_or_b32 s26, vcc_lo, s26
	s_wait_alu 0xfffe
	s_and_not1_b32 exec_lo, exec_lo, s26
	s_cbranch_execz .LBB83_65
.LBB83_54:                              ; =>This Loop Header: Depth=1
                                        ;     Child Loop BB83_56 Depth 2
	s_wait_alu 0xfffe
	v_add_nc_u32_e32 v3, s27, v1
	v_mov_b32_e32 v7, s18
	v_mov_b32_e32 v5, s22
	s_and_not1_b32 vcc_lo, exec_lo, s23
	s_wait_alu 0xfffe
	s_cbranch_vccnz .LBB83_58
; %bb.55:                               ;   in Loop: Header=BB83_54 Depth=1
	v_mov_b32_e32 v7, s18
	v_mov_b32_e32 v5, s22
	s_mov_b32 s28, 0
.LBB83_56:                              ;   Parent Loop BB83_54 Depth=1
                                        ; =>  This Inner Loop Header: Depth=2
	s_delay_alu instid0(VALU_DEP_1) | instskip(NEXT) | instid1(VALU_DEP_1)
	v_add_nc_u32_e32 v2, v5, v7
	v_lshrrev_b32_e32 v4, 31, v2
	s_delay_alu instid0(VALU_DEP_1) | instskip(NEXT) | instid1(VALU_DEP_1)
	v_add_nc_u32_e32 v2, v2, v4
	v_ashrrev_i32_e32 v9, 1, v2
	s_delay_alu instid0(VALU_DEP_1) | instskip(NEXT) | instid1(VALU_DEP_1)
	v_ashrrev_i32_e32 v10, 31, v9
	v_lshlrev_b64_e32 v[12:13], 2, v[9:10]
	s_delay_alu instid0(VALU_DEP_1) | instskip(SKIP_1) | instid1(VALU_DEP_2)
	v_add_co_u32 v12, vcc_lo, s8, v12
	s_wait_alu 0xfffd
	v_add_co_ci_u32_e64 v13, null, s9, v13, vcc_lo
	global_load_b32 v2, v[12:13], off
	s_wait_loadcnt 0x0
	v_subrev_nc_u32_e32 v2, s20, v2
	s_delay_alu instid0(VALU_DEP_1) | instskip(SKIP_2) | instid1(VALU_DEP_1)
	v_cmp_lt_i32_e32 vcc_lo, v3, v2
	s_wait_alu 0xfffd
	v_cndmask_b32_e32 v5, v5, v9, vcc_lo
	v_dual_cndmask_b32 v7, v9, v7 :: v_dual_add_nc_u32 v2, -1, v5
	s_delay_alu instid0(VALU_DEP_1) | instskip(NEXT) | instid1(VALU_DEP_2)
	v_cmp_ge_i32_e32 vcc_lo, v7, v5
	v_cmp_eq_u32_e64 s0, v7, v2
	s_or_b32 s0, vcc_lo, s0
	s_wait_alu 0xfffe
	s_and_b32 s0, exec_lo, s0
	s_wait_alu 0xfffe
	s_or_b32 s28, s0, s28
	s_delay_alu instid0(SALU_CYCLE_1)
	s_and_not1_b32 exec_lo, exec_lo, s28
	s_cbranch_execnz .LBB83_56
; %bb.57:                               ;   in Loop: Header=BB83_54 Depth=1
	s_or_b32 exec_lo, exec_lo, s28
.LBB83_58:                              ;   in Loop: Header=BB83_54 Depth=1
	s_delay_alu instid0(VALU_DEP_1) | instskip(SKIP_2) | instid1(VALU_DEP_3)
	v_ashrrev_i32_e32 v6, 31, v5
	v_ashrrev_i32_e32 v4, 31, v3
	v_cmp_le_i32_e64 s0, s25, v3
	v_lshlrev_b64_e32 v[9:10], 2, v[5:6]
	s_delay_alu instid0(VALU_DEP_3) | instskip(NEXT) | instid1(VALU_DEP_2)
	v_lshlrev_b64_e32 v[12:13], 2, v[3:4]
	v_add_co_u32 v9, vcc_lo, s8, v9
	s_wait_alu 0xfffd
	s_delay_alu instid0(VALU_DEP_3) | instskip(NEXT) | instid1(VALU_DEP_3)
	v_add_co_ci_u32_e64 v10, null, s9, v10, vcc_lo
	v_add_co_u32 v12, vcc_lo, s10, v12
	s_wait_alu 0xfffd
	v_add_co_ci_u32_e64 v13, null, s11, v13, vcc_lo
	global_load_b32 v2, v[9:10], off
	global_load_b32 v4, v[12:13], off
	v_lshl_add_u32 v9, s27, 3, v11
	s_wait_loadcnt 0x1
	v_subrev_nc_u32_e32 v6, s20, v2
	s_wait_loadcnt 0x0
	v_subrev_nc_u32_e32 v2, s20, v4
	s_delay_alu instid0(VALU_DEP_2) | instskip(SKIP_2) | instid1(VALU_DEP_1)
	v_cmp_lt_i32_e32 vcc_lo, v3, v6
	s_wait_alu 0xfffd
	v_cndmask_b32_e32 v6, v5, v7, vcc_lo
                                        ; implicit-def: $vgpr4
                                        ; implicit-def: $vgpr7
	v_cmp_eq_u32_e32 vcc_lo, v2, v6
	s_or_b32 s0, vcc_lo, s0
	s_wait_alu 0xfffe
	s_and_saveexec_b32 s28, s0
	s_delay_alu instid0(SALU_CYCLE_1)
	s_xor_b32 s0, exec_lo, s28
	s_cbranch_execz .LBB83_60
; %bb.59:                               ;   in Loop: Header=BB83_54 Depth=1
	ds_load_b64 v[4:5], v9
                                        ; implicit-def: $vgpr6
	s_wait_dscnt 0x0
	v_xor_b32_e32 v7, 0x80000000, v5
.LBB83_60:                              ;   in Loop: Header=BB83_54 Depth=1
	s_wait_alu 0xfffe
	s_and_not1_saveexec_b32 s28, s0
	s_cbranch_execz .LBB83_53
; %bb.61:                               ;   in Loop: Header=BB83_54 Depth=1
	v_ashrrev_i32_e32 v7, 31, v6
	v_cmp_le_i32_e64 s0, s19, v2
	s_delay_alu instid0(VALU_DEP_2) | instskip(NEXT) | instid1(VALU_DEP_1)
	v_lshlrev_b64_e32 v[3:4], 3, v[6:7]
	v_add_co_u32 v3, vcc_lo, s14, v3
	s_wait_alu 0xfffd
	s_delay_alu instid0(VALU_DEP_2)
	v_add_co_ci_u32_e64 v4, null, s15, v4, vcc_lo
	v_cmp_gt_i32_e32 vcc_lo, s5, v2
	global_load_b64 v[12:13], v[3:4], off
	ds_load_b64 v[4:5], v9
	s_or_b32 s0, vcc_lo, s0
	s_wait_loadcnt_dscnt 0x0
	v_mul_f32_e64 v6, v13, -v5
	v_mul_f32_e32 v7, v13, v4
	s_delay_alu instid0(VALU_DEP_2) | instskip(NEXT) | instid1(VALU_DEP_2)
	v_fmac_f32_e32 v6, v4, v12
	v_fmac_f32_e32 v7, v5, v12
	s_wait_alu 0xfffe
	s_and_saveexec_b32 s29, s0
	s_delay_alu instid0(SALU_CYCLE_1)
	s_xor_b32 s0, exec_lo, s29
	s_cbranch_execz .LBB83_63
; %bb.62:                               ;   in Loop: Header=BB83_54 Depth=1
	v_ashrrev_i32_e32 v3, 31, v2
	s_delay_alu instid0(VALU_DEP_1) | instskip(NEXT) | instid1(VALU_DEP_1)
	v_lshlrev_b64_e32 v[12:13], 3, v[2:3]
	v_add_co_u32 v12, vcc_lo, s16, v12
	s_wait_alu 0xfffd
	s_delay_alu instid0(VALU_DEP_2)
	v_add_co_ci_u32_e64 v13, null, s17, v13, vcc_lo
	s_clause 0x1
	global_atomic_add_f32 v[12:13], v6, off scope:SCOPE_DEV
	global_atomic_add_f32 v[12:13], v7, off offset:4 scope:SCOPE_DEV
                                        ; implicit-def: $vgpr6
                                        ; implicit-def: $vgpr7
.LBB83_63:                              ;   in Loop: Header=BB83_54 Depth=1
	s_wait_alu 0xfffe
	s_and_not1_saveexec_b32 s0, s0
	s_cbranch_execz .LBB83_52
; %bb.64:                               ;   in Loop: Header=BB83_54 Depth=1
	v_subrev_nc_u32_e32 v3, s5, v2
	s_delay_alu instid0(VALU_DEP_1)
	v_lshl_add_u32 v3, v3, 3, 0x2000
	ds_add_f32 v3, v6
	ds_add_f32 v3, v7 offset:4
	s_branch .LBB83_52
.LBB83_65:
	s_or_b32 exec_lo, exec_lo, s13
                                        ; implicit-def: $vgpr7
                                        ; implicit-def: $vgpr1
.LBB83_66:
	s_wait_alu 0xfffe
	s_and_not1_saveexec_b32 s6, s6
	s_cbranch_execz .LBB83_108
; %bb.67:
	s_add_co_i32 s12, s19, -1
	s_add_co_i32 s0, s19, -2
	v_mov_b32_e32 v6, s18
	s_wait_alu 0xfffe
	v_mov_b32_e32 v4, s12
	s_cmp_lg_u32 s18, s0
	s_cselect_b32 s13, -1, 0
	s_cmp_eq_u32 s18, s0
	s_cbranch_scc1 .LBB83_71
; %bb.68:
	v_mov_b32_e32 v6, s18
	v_mov_b32_e32 v4, s12
	s_mov_b32 s22, 0
.LBB83_69:                              ; =>This Inner Loop Header: Depth=1
	s_delay_alu instid0(VALU_DEP_1) | instskip(NEXT) | instid1(VALU_DEP_1)
	v_add_nc_u32_e32 v3, v4, v6
	v_lshrrev_b32_e32 v5, 31, v3
	s_delay_alu instid0(VALU_DEP_1) | instskip(NEXT) | instid1(VALU_DEP_1)
	v_add_nc_u32_e32 v3, v3, v5
	v_ashrrev_i32_e32 v9, 1, v3
	s_delay_alu instid0(VALU_DEP_1) | instskip(NEXT) | instid1(VALU_DEP_1)
	v_ashrrev_i32_e32 v10, 31, v9
	v_lshlrev_b64_e32 v[12:13], 2, v[9:10]
	s_delay_alu instid0(VALU_DEP_1) | instskip(SKIP_1) | instid1(VALU_DEP_2)
	v_add_co_u32 v12, vcc_lo, s8, v12
	s_wait_alu 0xfffd
	v_add_co_ci_u32_e64 v13, null, s9, v13, vcc_lo
	global_load_b32 v3, v[12:13], off
	s_wait_loadcnt 0x0
	v_subrev_nc_u32_e32 v3, s20, v3
	s_delay_alu instid0(VALU_DEP_1) | instskip(SKIP_2) | instid1(VALU_DEP_1)
	v_cmp_lt_i32_e32 vcc_lo, v1, v3
	s_wait_alu 0xfffd
	v_cndmask_b32_e32 v4, v4, v9, vcc_lo
	v_dual_cndmask_b32 v6, v9, v6 :: v_dual_add_nc_u32 v3, -1, v4
	s_delay_alu instid0(VALU_DEP_1) | instskip(NEXT) | instid1(VALU_DEP_2)
	v_cmp_ge_i32_e32 vcc_lo, v6, v4
	v_cmp_eq_u32_e64 s0, v6, v3
	s_or_b32 s0, vcc_lo, s0
	s_wait_alu 0xfffe
	s_and_b32 s0, exec_lo, s0
	s_wait_alu 0xfffe
	s_or_b32 s22, s0, s22
	s_wait_alu 0xfffe
	s_and_not1_b32 exec_lo, exec_lo, s22
	s_cbranch_execnz .LBB83_69
; %bb.70:
	s_or_b32 exec_lo, exec_lo, s22
.LBB83_71:
	v_ashrrev_i32_e32 v5, 31, v4
	v_lshlrev_b64_e32 v[2:3], 2, v[1:2]
	s_mov_b32 s22, exec_lo
	s_delay_alu instid0(VALU_DEP_2) | instskip(NEXT) | instid1(VALU_DEP_1)
	v_lshlrev_b64_e32 v[9:10], 2, v[4:5]
	v_add_co_u32 v9, vcc_lo, s8, v9
	s_wait_alu 0xfffd
	s_delay_alu instid0(VALU_DEP_2)
	v_add_co_ci_u32_e64 v10, null, s9, v10, vcc_lo
	v_add_co_u32 v2, vcc_lo, s10, v2
	s_wait_alu 0xfffd
	v_add_co_ci_u32_e64 v3, null, s11, v3, vcc_lo
	global_load_b32 v5, v[9:10], off
	s_ashr_i32 s11, s19, 31
	s_mov_b32 s10, s19
	global_load_b32 v9, v[2:3], off
	s_wait_alu 0xfffe
	s_lshl_b64 s[10:11], s[10:11], 2
	s_wait_alu 0xfffe
	s_add_nc_u64 s[10:11], s[8:9], s[10:11]
	s_wait_loadcnt 0x1
	v_subrev_nc_u32_e32 v5, s20, v5
	s_delay_alu instid0(VALU_DEP_1) | instskip(SKIP_4) | instid1(VALU_DEP_1)
	v_cmp_lt_i32_e32 vcc_lo, v1, v5
	s_wait_alu 0xfffd
	v_cndmask_b32_e32 v5, v4, v6, vcc_lo
	s_wait_loadcnt 0x0
	v_subrev_nc_u32_e32 v4, s20, v9
	v_cmpx_ne_u32_e64 v4, v5
	s_cbranch_execz .LBB83_77
; %bb.72:
	s_load_b32 s0, s[10:11], 0x0
	s_wait_kmcnt 0x0
	s_sub_co_i32 s0, s0, s20
	s_wait_alu 0xfffe
	v_cmp_gt_i32_e32 vcc_lo, s0, v1
	s_and_b32 exec_lo, exec_lo, vcc_lo
	s_cbranch_execz .LBB83_77
; %bb.73:
	v_ashrrev_i32_e32 v6, 31, v5
	ds_load_b64 v[14:15], v11
	v_cmp_le_i32_e64 s0, s19, v4
	v_lshlrev_b64_e32 v[5:6], 3, v[5:6]
	s_delay_alu instid0(VALU_DEP_1) | instskip(SKIP_1) | instid1(VALU_DEP_2)
	v_add_co_u32 v5, vcc_lo, s14, v5
	s_wait_alu 0xfffd
	v_add_co_ci_u32_e64 v6, null, s15, v6, vcc_lo
	v_cmp_gt_i32_e32 vcc_lo, s5, v4
	global_load_b64 v[12:13], v[5:6], off
	s_or_b32 s0, vcc_lo, s0
	s_wait_loadcnt_dscnt 0x0
	v_mul_f32_e64 v6, v13, -v15
	s_delay_alu instid0(VALU_DEP_1) | instskip(NEXT) | instid1(VALU_DEP_1)
	v_dual_mul_f32 v9, v13, v14 :: v_dual_fmac_f32 v6, v14, v12
	v_fmac_f32_e32 v9, v15, v12
	s_wait_alu 0xfffe
	s_and_saveexec_b32 s23, s0
	s_wait_alu 0xfffe
	s_xor_b32 s0, exec_lo, s23
	s_cbranch_execz .LBB83_75
; %bb.74:
	v_ashrrev_i32_e32 v5, 31, v4
	s_delay_alu instid0(VALU_DEP_1) | instskip(NEXT) | instid1(VALU_DEP_1)
	v_lshlrev_b64_e32 v[12:13], 3, v[4:5]
	v_add_co_u32 v12, vcc_lo, s16, v12
	s_wait_alu 0xfffd
	s_delay_alu instid0(VALU_DEP_2)
	v_add_co_ci_u32_e64 v13, null, s17, v13, vcc_lo
	s_clause 0x1
	global_atomic_add_f32 v[12:13], v6, off scope:SCOPE_DEV
	global_atomic_add_f32 v[12:13], v9, off offset:4 scope:SCOPE_DEV
                                        ; implicit-def: $vgpr6
                                        ; implicit-def: $vgpr9
.LBB83_75:
	s_wait_alu 0xfffe
	s_and_not1_saveexec_b32 s0, s0
	s_cbranch_execz .LBB83_77
; %bb.76:
	v_subrev_nc_u32_e32 v5, s5, v4
	s_delay_alu instid0(VALU_DEP_1)
	v_lshl_add_u32 v5, v5, 3, 0x2000
	ds_add_f32 v5, v6
	ds_add_f32 v5, v9 offset:4
.LBB83_77:
	s_or_b32 exec_lo, exec_lo, s22
	v_ashrrev_i32_e32 v5, 31, v4
	ds_load_b64 v[12:13], v11
	v_cndmask_b32_e64 v9, 0, 1, s13
	v_add_nc_u32_e32 v6, 0x100, v1
	v_mov_b32_e32 v10, s18
	v_lshlrev_b64_e32 v[4:5], 3, v[4:5]
	s_delay_alu instid0(VALU_DEP_1) | instskip(SKIP_1) | instid1(VALU_DEP_2)
	v_add_co_u32 v4, vcc_lo, s14, v4
	s_wait_alu 0xfffd
	v_add_co_ci_u32_e64 v5, null, s15, v5, vcc_lo
	s_and_not1_b32 vcc_lo, exec_lo, s13
	global_load_b64 v[4:5], v[4:5], off
	s_wait_loadcnt_dscnt 0x0
	v_mul_f32_e64 v14, v5, -v13
	v_mul_f32_e32 v15, v5, v12
	s_delay_alu instid0(VALU_DEP_2) | instskip(NEXT) | instid1(VALU_DEP_2)
	v_fmac_f32_e32 v14, v12, v4
	v_dual_fmac_f32 v15, v13, v4 :: v_dual_mov_b32 v4, s12
	ds_store_b64 v11, v[14:15]
	s_wait_alu 0xfffe
	s_cbranch_vccnz .LBB83_81
; %bb.78:
	v_mov_b32_e32 v10, s18
	v_mov_b32_e32 v4, s12
	s_mov_b32 s13, 0
.LBB83_79:                              ; =>This Inner Loop Header: Depth=1
	s_delay_alu instid0(VALU_DEP_1) | instskip(NEXT) | instid1(VALU_DEP_1)
	v_add_nc_u32_e32 v5, v4, v10
	v_lshrrev_b32_e32 v12, 31, v5
	s_delay_alu instid0(VALU_DEP_1) | instskip(NEXT) | instid1(VALU_DEP_1)
	v_add_nc_u32_e32 v5, v5, v12
	v_ashrrev_i32_e32 v12, 1, v5
	s_delay_alu instid0(VALU_DEP_1) | instskip(NEXT) | instid1(VALU_DEP_1)
	v_ashrrev_i32_e32 v13, 31, v12
	v_lshlrev_b64_e32 v[13:14], 2, v[12:13]
	s_delay_alu instid0(VALU_DEP_1) | instskip(SKIP_1) | instid1(VALU_DEP_2)
	v_add_co_u32 v13, vcc_lo, s8, v13
	s_wait_alu 0xfffd
	v_add_co_ci_u32_e64 v14, null, s9, v14, vcc_lo
	global_load_b32 v5, v[13:14], off
	s_wait_loadcnt 0x0
	v_subrev_nc_u32_e32 v5, s20, v5
	s_delay_alu instid0(VALU_DEP_1) | instskip(SKIP_2) | instid1(VALU_DEP_1)
	v_cmp_lt_i32_e32 vcc_lo, v6, v5
	s_wait_alu 0xfffd
	v_cndmask_b32_e32 v4, v4, v12, vcc_lo
	v_dual_cndmask_b32 v10, v12, v10 :: v_dual_add_nc_u32 v5, -1, v4
	s_delay_alu instid0(VALU_DEP_1) | instskip(NEXT) | instid1(VALU_DEP_2)
	v_cmp_ge_i32_e32 vcc_lo, v10, v4
	v_cmp_eq_u32_e64 s0, v10, v5
	s_or_b32 s0, vcc_lo, s0
	s_wait_alu 0xfffe
	s_and_b32 s0, exec_lo, s0
	s_wait_alu 0xfffe
	s_or_b32 s13, s0, s13
	s_wait_alu 0xfffe
	s_and_not1_b32 exec_lo, exec_lo, s13
	s_cbranch_execnz .LBB83_79
; %bb.80:
	s_or_b32 exec_lo, exec_lo, s13
.LBB83_81:
	v_ashrrev_i32_e32 v5, 31, v4
	s_mov_b32 s13, exec_lo
	s_delay_alu instid0(VALU_DEP_1) | instskip(NEXT) | instid1(VALU_DEP_1)
	v_lshlrev_b64_e32 v[12:13], 2, v[4:5]
	v_add_co_u32 v12, vcc_lo, s8, v12
	s_wait_alu 0xfffd
	s_delay_alu instid0(VALU_DEP_2) | instskip(SKIP_4) | instid1(VALU_DEP_1)
	v_add_co_ci_u32_e64 v13, null, s9, v13, vcc_lo
	global_load_b32 v5, v[12:13], off
	global_load_b32 v12, v[2:3], off offset:1024
	s_wait_loadcnt 0x1
	v_subrev_nc_u32_e32 v5, s20, v5
	v_cmp_lt_i32_e32 vcc_lo, v6, v5
	s_wait_alu 0xfffd
	v_cndmask_b32_e32 v5, v4, v10, vcc_lo
	s_wait_loadcnt 0x0
	v_subrev_nc_u32_e32 v4, s20, v12
	s_delay_alu instid0(VALU_DEP_1)
	v_cmpx_ne_u32_e64 v4, v5
	s_cbranch_execz .LBB83_87
; %bb.82:
	s_load_b32 s0, s[10:11], 0x0
	s_wait_kmcnt 0x0
	s_sub_co_i32 s0, s0, s20
	s_wait_alu 0xfffe
	v_cmp_gt_i32_e32 vcc_lo, s0, v6
	s_and_b32 exec_lo, exec_lo, vcc_lo
	s_cbranch_execz .LBB83_87
; %bb.83:
	v_ashrrev_i32_e32 v6, 31, v5
	ds_load_b64 v[14:15], v11 offset:2048
	v_cmp_le_i32_e64 s0, s19, v4
	v_lshlrev_b64_e32 v[5:6], 3, v[5:6]
	s_delay_alu instid0(VALU_DEP_1) | instskip(SKIP_1) | instid1(VALU_DEP_2)
	v_add_co_u32 v5, vcc_lo, s14, v5
	s_wait_alu 0xfffd
	v_add_co_ci_u32_e64 v6, null, s15, v6, vcc_lo
	v_cmp_gt_i32_e32 vcc_lo, s5, v4
	global_load_b64 v[12:13], v[5:6], off
	s_or_b32 s0, vcc_lo, s0
	s_wait_loadcnt_dscnt 0x0
	v_mul_f32_e64 v6, v13, -v15
	v_mul_f32_e32 v10, v13, v14
	s_delay_alu instid0(VALU_DEP_2) | instskip(NEXT) | instid1(VALU_DEP_2)
	v_fmac_f32_e32 v6, v14, v12
	v_fmac_f32_e32 v10, v15, v12
	s_wait_alu 0xfffe
	s_and_saveexec_b32 s22, s0
	s_wait_alu 0xfffe
	s_xor_b32 s0, exec_lo, s22
	s_cbranch_execz .LBB83_85
; %bb.84:
	v_ashrrev_i32_e32 v5, 31, v4
	s_delay_alu instid0(VALU_DEP_1) | instskip(NEXT) | instid1(VALU_DEP_1)
	v_lshlrev_b64_e32 v[12:13], 3, v[4:5]
	v_add_co_u32 v12, vcc_lo, s16, v12
	s_wait_alu 0xfffd
	s_delay_alu instid0(VALU_DEP_2)
	v_add_co_ci_u32_e64 v13, null, s17, v13, vcc_lo
	s_clause 0x1
	global_atomic_add_f32 v[12:13], v6, off scope:SCOPE_DEV
	global_atomic_add_f32 v[12:13], v10, off offset:4 scope:SCOPE_DEV
                                        ; implicit-def: $vgpr6
                                        ; implicit-def: $vgpr10
.LBB83_85:
	s_wait_alu 0xfffe
	s_and_not1_saveexec_b32 s0, s0
	s_cbranch_execz .LBB83_87
; %bb.86:
	v_subrev_nc_u32_e32 v5, s5, v4
	s_delay_alu instid0(VALU_DEP_1)
	v_lshl_add_u32 v5, v5, 3, 0x2000
	ds_add_f32 v5, v6
	ds_add_f32 v5, v10 offset:4
.LBB83_87:
	s_wait_alu 0xfffe
	s_or_b32 exec_lo, exec_lo, s13
	v_ashrrev_i32_e32 v5, 31, v4
	ds_load_b64 v[12:13], v11 offset:2048
	v_mov_b32_e32 v6, s18
	v_lshlrev_b64_e32 v[4:5], 3, v[4:5]
	s_delay_alu instid0(VALU_DEP_1) | instskip(SKIP_1) | instid1(VALU_DEP_2)
	v_add_co_u32 v4, vcc_lo, s14, v4
	s_wait_alu 0xfffd
	v_add_co_ci_u32_e64 v5, null, s15, v5, vcc_lo
	v_cmp_ne_u32_e32 vcc_lo, 1, v9
	global_load_b64 v[4:5], v[4:5], off
	s_and_b32 vcc_lo, exec_lo, vcc_lo
	s_wait_loadcnt_dscnt 0x0
	v_mul_f32_e64 v14, v5, -v13
	v_mul_f32_e32 v15, v5, v12
	s_delay_alu instid0(VALU_DEP_2) | instskip(NEXT) | instid1(VALU_DEP_2)
	v_dual_fmac_f32 v14, v12, v4 :: v_dual_add_nc_u32 v1, 0x200, v1
	v_dual_fmac_f32 v15, v13, v4 :: v_dual_mov_b32 v4, s12
	ds_store_b64 v11, v[14:15] offset:2048
	s_wait_alu 0xfffe
	s_cbranch_vccnz .LBB83_91
; %bb.88:
	v_mov_b32_e32 v6, s18
	v_mov_b32_e32 v4, s12
	s_mov_b32 s13, 0
.LBB83_89:                              ; =>This Inner Loop Header: Depth=1
	s_delay_alu instid0(VALU_DEP_1) | instskip(NEXT) | instid1(VALU_DEP_1)
	v_add_nc_u32_e32 v5, v4, v6
	v_lshrrev_b32_e32 v10, 31, v5
	s_delay_alu instid0(VALU_DEP_1) | instskip(NEXT) | instid1(VALU_DEP_1)
	v_add_nc_u32_e32 v5, v5, v10
	v_ashrrev_i32_e32 v12, 1, v5
	s_delay_alu instid0(VALU_DEP_1) | instskip(NEXT) | instid1(VALU_DEP_1)
	v_ashrrev_i32_e32 v13, 31, v12
	v_lshlrev_b64_e32 v[13:14], 2, v[12:13]
	s_delay_alu instid0(VALU_DEP_1) | instskip(SKIP_1) | instid1(VALU_DEP_2)
	v_add_co_u32 v13, vcc_lo, s8, v13
	s_wait_alu 0xfffd
	v_add_co_ci_u32_e64 v14, null, s9, v14, vcc_lo
	global_load_b32 v5, v[13:14], off
	s_wait_loadcnt 0x0
	v_subrev_nc_u32_e32 v5, s20, v5
	s_delay_alu instid0(VALU_DEP_1) | instskip(SKIP_2) | instid1(VALU_DEP_1)
	v_cmp_lt_i32_e32 vcc_lo, v1, v5
	s_wait_alu 0xfffd
	v_cndmask_b32_e32 v4, v4, v12, vcc_lo
	v_dual_cndmask_b32 v6, v12, v6 :: v_dual_add_nc_u32 v5, -1, v4
	s_delay_alu instid0(VALU_DEP_1) | instskip(NEXT) | instid1(VALU_DEP_2)
	v_cmp_ge_i32_e32 vcc_lo, v6, v4
	v_cmp_eq_u32_e64 s0, v6, v5
	s_or_b32 s0, vcc_lo, s0
	s_wait_alu 0xfffe
	s_and_b32 s0, exec_lo, s0
	s_wait_alu 0xfffe
	s_or_b32 s13, s0, s13
	s_wait_alu 0xfffe
	s_and_not1_b32 exec_lo, exec_lo, s13
	s_cbranch_execnz .LBB83_89
; %bb.90:
	s_or_b32 exec_lo, exec_lo, s13
.LBB83_91:
	v_ashrrev_i32_e32 v5, 31, v4
	s_mov_b32 s13, exec_lo
	s_delay_alu instid0(VALU_DEP_1) | instskip(NEXT) | instid1(VALU_DEP_1)
	v_lshlrev_b64_e32 v[12:13], 2, v[4:5]
	v_add_co_u32 v12, vcc_lo, s8, v12
	s_wait_alu 0xfffd
	s_delay_alu instid0(VALU_DEP_2) | instskip(SKIP_4) | instid1(VALU_DEP_1)
	v_add_co_ci_u32_e64 v13, null, s9, v13, vcc_lo
	global_load_b32 v5, v[12:13], off
	global_load_b32 v10, v[2:3], off offset:2048
	s_wait_loadcnt 0x1
	v_subrev_nc_u32_e32 v5, s20, v5
	v_cmp_lt_i32_e32 vcc_lo, v1, v5
	s_wait_alu 0xfffd
	v_cndmask_b32_e32 v5, v4, v6, vcc_lo
	s_wait_loadcnt 0x0
	v_subrev_nc_u32_e32 v4, s20, v10
	s_delay_alu instid0(VALU_DEP_1)
	v_cmpx_ne_u32_e64 v4, v5
	s_cbranch_execz .LBB83_97
; %bb.92:
	s_load_b32 s0, s[10:11], 0x0
	s_wait_kmcnt 0x0
	s_sub_co_i32 s0, s0, s20
	s_wait_alu 0xfffe
	v_cmp_gt_i32_e32 vcc_lo, s0, v1
	s_and_b32 exec_lo, exec_lo, vcc_lo
	s_cbranch_execz .LBB83_97
; %bb.93:
	v_ashrrev_i32_e32 v6, 31, v5
	ds_load_b64 v[12:13], v11 offset:4096
	v_cmp_le_i32_e64 s0, s19, v4
	v_lshlrev_b64_e32 v[5:6], 3, v[5:6]
	s_delay_alu instid0(VALU_DEP_1) | instskip(SKIP_1) | instid1(VALU_DEP_2)
	v_add_co_u32 v5, vcc_lo, s14, v5
	s_wait_alu 0xfffd
	v_add_co_ci_u32_e64 v6, null, s15, v6, vcc_lo
	v_cmp_gt_i32_e32 vcc_lo, s5, v4
	global_load_b64 v[5:6], v[5:6], off
	s_or_b32 s0, vcc_lo, s0
	s_wait_loadcnt_dscnt 0x0
	v_mul_f32_e64 v1, v6, -v13
	s_delay_alu instid0(VALU_DEP_1) | instskip(NEXT) | instid1(VALU_DEP_1)
	v_dual_mul_f32 v6, v6, v12 :: v_dual_fmac_f32 v1, v12, v5
	v_fmac_f32_e32 v6, v13, v5
	s_wait_alu 0xfffe
	s_and_saveexec_b32 s22, s0
	s_wait_alu 0xfffe
	s_xor_b32 s0, exec_lo, s22
	s_cbranch_execz .LBB83_95
; %bb.94:
	v_ashrrev_i32_e32 v5, 31, v4
	s_delay_alu instid0(VALU_DEP_1) | instskip(NEXT) | instid1(VALU_DEP_1)
	v_lshlrev_b64_e32 v[12:13], 3, v[4:5]
	v_add_co_u32 v12, vcc_lo, s16, v12
	s_wait_alu 0xfffd
	s_delay_alu instid0(VALU_DEP_2)
	v_add_co_ci_u32_e64 v13, null, s17, v13, vcc_lo
	s_clause 0x1
	global_atomic_add_f32 v[12:13], v1, off scope:SCOPE_DEV
	global_atomic_add_f32 v[12:13], v6, off offset:4 scope:SCOPE_DEV
                                        ; implicit-def: $vgpr1
                                        ; implicit-def: $vgpr6
.LBB83_95:
	s_wait_alu 0xfffe
	s_and_not1_saveexec_b32 s0, s0
	s_cbranch_execz .LBB83_97
; %bb.96:
	v_subrev_nc_u32_e32 v5, s5, v4
	s_delay_alu instid0(VALU_DEP_1)
	v_lshl_add_u32 v5, v5, 3, 0x2000
	ds_add_f32 v5, v1
	ds_add_f32 v5, v6 offset:4
.LBB83_97:
	s_wait_alu 0xfffe
	s_or_b32 exec_lo, exec_lo, s13
	v_ashrrev_i32_e32 v5, 31, v4
	ds_load_b64 v[12:13], v11 offset:4096
	v_mov_b32_e32 v1, s18
	v_lshlrev_b64_e32 v[4:5], 3, v[4:5]
	s_delay_alu instid0(VALU_DEP_1) | instskip(SKIP_1) | instid1(VALU_DEP_2)
	v_add_co_u32 v4, vcc_lo, s14, v4
	s_wait_alu 0xfffd
	v_add_co_ci_u32_e64 v5, null, s15, v5, vcc_lo
	v_cmp_ne_u32_e32 vcc_lo, 1, v9
	global_load_b64 v[4:5], v[4:5], off
	s_and_b32 vcc_lo, exec_lo, vcc_lo
	s_wait_loadcnt_dscnt 0x0
	v_mul_f32_e64 v14, v5, -v13
	v_mul_f32_e32 v15, v5, v12
	s_delay_alu instid0(VALU_DEP_2) | instskip(NEXT) | instid1(VALU_DEP_2)
	v_fmac_f32_e32 v14, v12, v4
	v_dual_fmac_f32 v15, v13, v4 :: v_dual_mov_b32 v4, s12
	ds_store_b64 v11, v[14:15] offset:4096
	s_wait_alu 0xfffe
	s_cbranch_vccnz .LBB83_101
; %bb.98:
	v_dual_mov_b32 v1, s18 :: v_dual_mov_b32 v4, s12
	s_mov_b32 s12, 0
.LBB83_99:                              ; =>This Inner Loop Header: Depth=1
	s_delay_alu instid0(VALU_DEP_1) | instskip(NEXT) | instid1(VALU_DEP_1)
	v_add_nc_u32_e32 v5, v4, v1
	v_lshrrev_b32_e32 v6, 31, v5
	s_delay_alu instid0(VALU_DEP_1) | instskip(NEXT) | instid1(VALU_DEP_1)
	v_add_nc_u32_e32 v5, v5, v6
	v_ashrrev_i32_e32 v5, 1, v5
	s_delay_alu instid0(VALU_DEP_1) | instskip(NEXT) | instid1(VALU_DEP_1)
	v_ashrrev_i32_e32 v6, 31, v5
	v_lshlrev_b64_e32 v[9:10], 2, v[5:6]
	s_delay_alu instid0(VALU_DEP_1) | instskip(SKIP_1) | instid1(VALU_DEP_2)
	v_add_co_u32 v9, vcc_lo, s8, v9
	s_wait_alu 0xfffd
	v_add_co_ci_u32_e64 v10, null, s9, v10, vcc_lo
	global_load_b32 v6, v[9:10], off
	s_wait_loadcnt 0x0
	v_subrev_nc_u32_e32 v6, s20, v6
	s_delay_alu instid0(VALU_DEP_1) | instskip(SKIP_3) | instid1(VALU_DEP_2)
	v_cmp_lt_i32_e32 vcc_lo, v7, v6
	s_wait_alu 0xfffd
	v_cndmask_b32_e32 v4, v4, v5, vcc_lo
	v_cndmask_b32_e32 v1, v5, v1, vcc_lo
	v_add_nc_u32_e32 v5, -1, v4
	s_delay_alu instid0(VALU_DEP_2) | instskip(NEXT) | instid1(VALU_DEP_2)
	v_cmp_ge_i32_e32 vcc_lo, v1, v4
	v_cmp_eq_u32_e64 s0, v1, v5
	s_or_b32 s0, vcc_lo, s0
	s_wait_alu 0xfffe
	s_and_b32 s0, exec_lo, s0
	s_wait_alu 0xfffe
	s_or_b32 s12, s0, s12
	s_wait_alu 0xfffe
	s_and_not1_b32 exec_lo, exec_lo, s12
	s_cbranch_execnz .LBB83_99
; %bb.100:
	s_or_b32 exec_lo, exec_lo, s12
.LBB83_101:
	v_ashrrev_i32_e32 v5, 31, v4
	s_mov_b32 s12, exec_lo
	s_delay_alu instid0(VALU_DEP_1) | instskip(NEXT) | instid1(VALU_DEP_1)
	v_lshlrev_b64_e32 v[5:6], 2, v[4:5]
	v_add_co_u32 v5, vcc_lo, s8, v5
	s_wait_alu 0xfffd
	s_delay_alu instid0(VALU_DEP_2) | instskip(SKIP_4) | instid1(VALU_DEP_1)
	v_add_co_ci_u32_e64 v6, null, s9, v6, vcc_lo
	global_load_b32 v5, v[5:6], off
	global_load_b32 v3, v[2:3], off offset:3072
	s_wait_loadcnt 0x1
	v_subrev_nc_u32_e32 v2, s20, v5
	v_cmp_lt_i32_e32 vcc_lo, v7, v2
	s_wait_alu 0xfffd
	v_cndmask_b32_e32 v2, v4, v1, vcc_lo
	s_wait_loadcnt 0x0
	v_subrev_nc_u32_e32 v1, s20, v3
	s_delay_alu instid0(VALU_DEP_1)
	v_cmpx_ne_u32_e64 v1, v2
	s_cbranch_execz .LBB83_107
; %bb.102:
	s_load_b32 s0, s[10:11], 0x0
	s_wait_kmcnt 0x0
	s_sub_co_i32 s0, s0, s20
	s_wait_alu 0xfffe
	v_cmp_gt_i32_e32 vcc_lo, s0, v7
	s_and_b32 exec_lo, exec_lo, vcc_lo
	s_cbranch_execz .LBB83_107
; %bb.103:
	v_ashrrev_i32_e32 v3, 31, v2
	ds_load_b64 v[9:10], v11 offset:6144
	v_cmp_le_i32_e64 s0, s19, v1
	v_lshlrev_b64_e32 v[2:3], 3, v[2:3]
	s_delay_alu instid0(VALU_DEP_1) | instskip(SKIP_1) | instid1(VALU_DEP_2)
	v_add_co_u32 v2, vcc_lo, s14, v2
	s_wait_alu 0xfffd
	v_add_co_ci_u32_e64 v3, null, s15, v3, vcc_lo
	v_cmp_gt_i32_e32 vcc_lo, s5, v1
	global_load_b64 v[5:6], v[2:3], off
	s_or_b32 s0, vcc_lo, s0
	s_wait_loadcnt_dscnt 0x0
	v_mul_f32_e64 v3, v6, -v10
	v_mul_f32_e32 v4, v6, v9
	s_delay_alu instid0(VALU_DEP_2) | instskip(NEXT) | instid1(VALU_DEP_2)
	v_fmac_f32_e32 v3, v9, v5
	v_fmac_f32_e32 v4, v10, v5
	s_wait_alu 0xfffe
	s_and_saveexec_b32 s10, s0
	s_wait_alu 0xfffe
	s_xor_b32 s0, exec_lo, s10
	s_cbranch_execz .LBB83_105
; %bb.104:
	v_ashrrev_i32_e32 v2, 31, v1
	s_delay_alu instid0(VALU_DEP_1) | instskip(NEXT) | instid1(VALU_DEP_1)
	v_lshlrev_b64_e32 v[5:6], 3, v[1:2]
	v_add_co_u32 v5, vcc_lo, s16, v5
	s_wait_alu 0xfffd
	s_delay_alu instid0(VALU_DEP_2)
	v_add_co_ci_u32_e64 v6, null, s17, v6, vcc_lo
	s_clause 0x1
	global_atomic_add_f32 v[5:6], v3, off scope:SCOPE_DEV
	global_atomic_add_f32 v[5:6], v4, off offset:4 scope:SCOPE_DEV
                                        ; implicit-def: $vgpr3
                                        ; implicit-def: $vgpr4
.LBB83_105:
	s_wait_alu 0xfffe
	s_and_not1_saveexec_b32 s0, s0
	s_cbranch_execz .LBB83_107
; %bb.106:
	v_subrev_nc_u32_e32 v2, s5, v1
	s_delay_alu instid0(VALU_DEP_1)
	v_lshl_add_u32 v2, v2, 3, 0x2000
	ds_add_f32 v2, v3
	ds_add_f32 v2, v4 offset:4
.LBB83_107:
	s_wait_alu 0xfffe
	s_or_b32 exec_lo, exec_lo, s12
	v_ashrrev_i32_e32 v2, 31, v1
	ds_load_b64 v[3:4], v11 offset:6144
	v_lshlrev_b64_e32 v[1:2], 3, v[1:2]
	s_delay_alu instid0(VALU_DEP_1) | instskip(SKIP_1) | instid1(VALU_DEP_2)
	v_add_co_u32 v1, vcc_lo, s14, v1
	s_wait_alu 0xfffd
	v_add_co_ci_u32_e64 v2, null, s15, v2, vcc_lo
	global_load_b64 v[1:2], v[1:2], off
	s_wait_loadcnt_dscnt 0x0
	v_mul_f32_e64 v5, v2, -v4
	s_delay_alu instid0(VALU_DEP_1) | instskip(NEXT) | instid1(VALU_DEP_1)
	v_dual_mul_f32 v6, v2, v3 :: v_dual_fmac_f32 v5, v3, v1
	v_fmac_f32_e32 v6, v4, v1
	ds_store_b64 v11, v[5:6] offset:6144
.LBB83_108:
	s_wait_alu 0xfffe
	s_or_b32 exec_lo, exec_lo, s6
	s_min_i32 s6, s19, s7
	s_mov_b32 s7, exec_lo
	s_wait_alu 0xfffe
	s_sub_co_i32 s0, s6, s21
	s_wait_storecnt 0x0
	s_wait_loadcnt_dscnt 0x0
	s_barrier_signal -1
	s_barrier_wait -1
	global_inv scope:SCOPE_SE
	s_wait_alu 0xfffe
	v_cmpx_gt_i32_e64 s0, v0
	s_cbranch_execz .LBB83_111
; %bb.109:
	v_mov_b32_e32 v1, v0
	s_mov_b32 s10, 0
.LBB83_110:                             ; =>This Inner Loop Header: Depth=1
	s_delay_alu instid0(VALU_DEP_1) | instskip(SKIP_4) | instid1(VALU_DEP_1)
	v_add_nc_u32_e32 v2, s5, v1
	ds_load_2addr_b32 v[4:5], v8 offset1:1
	v_add_nc_u32_e32 v1, 0x100, v1
	v_add_nc_u32_e32 v8, 0x800, v8
	v_ashrrev_i32_e32 v3, 31, v2
	v_lshlrev_b64_e32 v[2:3], 3, v[2:3]
	s_delay_alu instid0(VALU_DEP_1) | instskip(SKIP_1) | instid1(VALU_DEP_2)
	v_add_co_u32 v2, vcc_lo, s16, v2
	s_wait_alu 0xfffd
	v_add_co_ci_u32_e64 v3, null, s17, v3, vcc_lo
	v_cmp_le_i32_e32 vcc_lo, s0, v1
	s_wait_dscnt 0x0
	s_clause 0x1
	global_atomic_add_f32 v[2:3], v4, off scope:SCOPE_DEV
	global_atomic_add_f32 v[2:3], v5, off offset:4 scope:SCOPE_DEV
	s_wait_alu 0xfffe
	s_or_b32 s10, vcc_lo, s10
	s_wait_alu 0xfffe
	s_and_not1_b32 exec_lo, exec_lo, s10
	s_cbranch_execnz .LBB83_110
.LBB83_111:
	s_or_b32 exec_lo, exec_lo, s7
	s_mul_i32 s5, s1, s21
	s_add_co_i32 s7, s1, 1
	s_wait_alu 0xfffe
	s_sub_co_i32 s5, s4, s5
	v_add_nc_u32_e32 v1, s18, v0
	s_wait_alu 0xfffe
	s_sub_co_i32 s10, s5, s21
	s_cmp_ge_u32 s5, s21
	s_wait_loadcnt 0x0
	s_wait_storecnt 0x0
	s_cselect_b32 s1, s7, s1
	s_wait_alu 0xfffe
	s_cselect_b32 s5, s10, s5
	s_add_co_i32 s7, s1, 1
	s_wait_alu 0xfffe
	s_cmp_ge_u32 s5, s21
	s_barrier_signal -1
	s_cselect_b32 s1, s7, s1
	s_barrier_wait -1
	s_wait_alu 0xfffe
	s_add_co_i32 s1, s1, -1
	global_inv scope:SCOPE_SE
	s_wait_alu 0xfffe
	s_ashr_i32 s5, s1, 1
	s_wait_alu 0xfffe
	s_or_b32 s1, s5, s1
	s_wait_alu 0xfffe
	s_ashr_i32 s5, s1, 2
	s_wait_alu 0xfffe
	s_or_b32 s1, s5, s1
	;; [unrolled: 4-line block ×5, first 2 shown]
	s_mov_b32 s5, -1
	s_wait_alu 0xfffe
	s_add_co_i32 s1, s1, 1
	s_wait_alu 0xfffe
	s_ashr_i32 s1, s1, 1
	s_wait_alu 0xfffe
	s_cmp_gt_i32 s1, 1
	s_cbranch_scc1 .LBB83_120
; %bb.112:
	s_mov_b32 s5, exec_lo
	v_cmpx_gt_i32_e64 s19, v1
	s_cbranch_execz .LBB83_119
; %bb.113:
	s_sub_co_i32 s6, s6, s19
	v_mov_b32_e32 v2, v1
	s_lshl_b32 s10, s24, 3
	s_wait_alu 0xfffe
	s_lshl_b32 s6, s6, 3
	s_mov_b32 s7, 0
	s_wait_alu 0xfffe
	s_addk_co_i32 s6, 0x2000
	s_sub_co_i32 s10, 0, s10
	s_branch .LBB83_115
.LBB83_114:                             ;   in Loop: Header=BB83_115 Depth=1
	s_wait_alu 0xfffe
	s_or_b32 exec_lo, exec_lo, s11
	v_lshl_add_u32 v4, v2, 3, s6
	v_lshlrev_b64_e32 v[8:9], 3, v[2:3]
	v_add_nc_u32_e32 v2, s4, v2
	ds_load_2addr_b32 v[4:5], v4 offset1:1
	v_add_co_u32 v3, vcc_lo, s16, v8
	s_wait_dscnt 0x0
	v_add_f32_e32 v7, v7, v4
	s_wait_alu 0xfffd
	v_add_co_ci_u32_e64 v4, null, s17, v9, vcc_lo
	v_add_f32_e32 v5, v6, v5
	s_clause 0x1
	global_atomic_add_f32 v[3:4], v7, off scope:SCOPE_DEV
	global_atomic_add_f32 v[3:4], v5, off offset:4 scope:SCOPE_DEV
	v_cmp_le_i32_e32 vcc_lo, s19, v2
	s_or_b32 s7, vcc_lo, s7
	s_wait_alu 0xfffe
	s_and_not1_b32 exec_lo, exec_lo, s7
	s_cbranch_execz .LBB83_119
.LBB83_115:                             ; =>This Loop Header: Depth=1
                                        ;     Child Loop BB83_117 Depth 2
	v_ashrrev_i32_e32 v3, 31, v2
	v_dual_mov_b32 v6, 0 :: v_dual_mov_b32 v7, 0
	s_mov_b32 s11, exec_lo
	s_delay_alu instid0(VALU_DEP_2) | instskip(NEXT) | instid1(VALU_DEP_1)
	v_lshlrev_b64_e32 v[4:5], 2, v[2:3]
	v_add_co_u32 v4, vcc_lo, s8, v4
	s_wait_alu 0xfffd
	s_delay_alu instid0(VALU_DEP_2)
	v_add_co_ci_u32_e64 v5, null, s9, v5, vcc_lo
	global_load_b64 v[4:5], v[4:5], off
	s_wait_loadcnt 0x0
	v_cmpx_lt_i32_e64 v4, v5
	s_cbranch_execz .LBB83_114
; %bb.116:                              ;   in Loop: Header=BB83_115 Depth=1
	v_subrev_nc_u32_e32 v5, s24, v5
	v_subrev_nc_u32_e32 v8, s24, v4
	s_wait_alu 0xfffe
	v_lshl_add_u32 v4, v4, 3, s10
	v_dual_mov_b32 v6, 0 :: v_dual_mov_b32 v7, 0
	s_mov_b32 s12, 0
.LBB83_117:                             ;   Parent Loop BB83_115 Depth=1
                                        ; =>  This Inner Loop Header: Depth=2
	ds_load_b64 v[9:10], v4
	v_add_nc_u32_e32 v8, 1, v8
	s_wait_dscnt 0x0
	v_dual_add_f32 v7, v7, v9 :: v_dual_add_nc_u32 v4, 8, v4
	s_delay_alu instid0(VALU_DEP_2)
	v_cmp_ge_i32_e32 vcc_lo, v8, v5
	v_add_f32_e32 v6, v6, v10
	s_wait_alu 0xfffe
	s_or_b32 s12, vcc_lo, s12
	s_wait_alu 0xfffe
	s_and_not1_b32 exec_lo, exec_lo, s12
	s_cbranch_execnz .LBB83_117
; %bb.118:                              ;   in Loop: Header=BB83_115 Depth=1
	s_or_b32 exec_lo, exec_lo, s12
	s_branch .LBB83_114
.LBB83_119:
	s_wait_alu 0xfffe
	s_or_b32 exec_lo, exec_lo, s5
	s_mov_b32 s5, 0
.LBB83_120:
	s_wait_alu 0xfffe
	s_and_not1_b32 vcc_lo, exec_lo, s5
	s_wait_alu 0xfffe
	s_cbranch_vccnz .LBB83_133
; %bb.121:
	s_cvt_f32_u32 s4, s1
	s_sub_co_i32 s5, 0, s1
	s_wait_alu 0xfffe
	s_delay_alu instid0(SALU_CYCLE_1) | instskip(NEXT) | instid1(TRANS32_DEP_1)
	v_rcp_iflag_f32_e32 v2, s4
	v_readfirstlane_b32 s4, v2
	s_mul_f32 s4, s4, 0x4f7ffffe
	s_wait_alu 0xfffe
	s_delay_alu instid0(SALU_CYCLE_2) | instskip(SKIP_1) | instid1(SALU_CYCLE_2)
	s_cvt_u32_f32 s4, s4
	s_wait_alu 0xfffe
	s_mul_i32 s5, s5, s4
	s_wait_alu 0xfffe
	s_mul_hi_u32 s5, s4, s5
	s_wait_alu 0xfffe
	s_add_co_i32 s4, s4, s5
	s_wait_alu 0xfffe
	v_mul_hi_u32 v2, v0, s4
	s_delay_alu instid0(VALU_DEP_1) | instskip(NEXT) | instid1(VALU_DEP_1)
	v_mul_lo_u32 v3, v2, s1
	v_sub_nc_u32_e32 v3, v0, v3
	s_delay_alu instid0(VALU_DEP_1) | instskip(SKIP_2) | instid1(VALU_DEP_2)
	v_subrev_nc_u32_e32 v5, s1, v3
	v_cmp_le_u32_e32 vcc_lo, s1, v3
	s_wait_alu 0xfffd
	v_dual_cndmask_b32 v3, v3, v5 :: v_dual_add_nc_u32 v4, 1, v2
	s_delay_alu instid0(VALU_DEP_1) | instskip(NEXT) | instid1(VALU_DEP_2)
	v_cndmask_b32_e32 v2, v2, v4, vcc_lo
	v_cmp_le_u32_e32 vcc_lo, s1, v3
	s_delay_alu instid0(VALU_DEP_2) | instskip(SKIP_1) | instid1(VALU_DEP_1)
	v_add_nc_u32_e32 v4, 1, v2
	s_wait_alu 0xfffd
	v_cndmask_b32_e32 v2, v2, v4, vcc_lo
	s_delay_alu instid0(VALU_DEP_1)
	v_lshlrev_b32_e32 v3, 2, v2
	v_cmp_gt_i32_e32 vcc_lo, s21, v2
	v_mov_b32_e32 v2, 0
	global_load_b64 v[4:5], v3, s[2:3]
	s_abs_i32 s3, s1
	s_wait_alu 0xfffe
	s_cvt_f32_u32 s2, s3
	s_wait_alu 0xfffe
	s_delay_alu instid0(SALU_CYCLE_2) | instskip(NEXT) | instid1(TRANS32_DEP_1)
	v_rcp_iflag_f32_e32 v3, s2
	v_readfirstlane_b32 s4, v3
	v_mov_b32_e32 v3, 0
	s_and_saveexec_b32 s2, vcc_lo
	s_cbranch_execz .LBB83_129
; %bb.122:
	s_wait_loadcnt 0x0
	v_subrev_nc_u32_e32 v4, s24, v4
	v_subrev_nc_u32_e32 v6, s24, v5
	s_mul_f32 s4, s4, 0x4f7ffffe
	s_sub_co_i32 s5, 0, s3
	s_wait_alu 0xfffe
	s_delay_alu instid0(SALU_CYCLE_1) | instskip(SKIP_2) | instid1(SALU_CYCLE_1)
	s_cvt_u32_f32 s4, s4
	v_sub_nc_u32_e32 v5, v6, v4
	s_wait_alu 0xfffe
	s_mul_i32 s5, s5, s4
	s_delay_alu instid0(VALU_DEP_1)
	v_sub_nc_u32_e32 v2, 0, v5
	s_wait_alu 0xfffe
	s_mul_hi_u32 s5, s4, s5
	s_wait_alu 0xfffe
	s_add_co_i32 s4, s4, s5
	v_max_i32_e32 v7, v5, v2
	v_ashrrev_i32_e32 v5, 31, v5
	s_wait_alu 0xfffe
	s_delay_alu instid0(VALU_DEP_2) | instskip(SKIP_4) | instid1(VALU_DEP_1)
	v_mad_co_u64_u32 v[2:3], null, v7, s4, 0
	s_ashr_i32 s4, s1, 31
	s_wait_alu 0xfffe
	v_xor_b32_e32 v5, s4, v5
	v_mul_lo_u32 v2, v3, s3
	v_sub_nc_u32_e32 v2, v7, v2
	s_delay_alu instid0(VALU_DEP_1) | instskip(SKIP_2) | instid1(VALU_DEP_2)
	v_subrev_nc_u32_e32 v8, s3, v2
	v_cmp_le_u32_e32 vcc_lo, s3, v2
	s_wait_alu 0xfffd
	v_dual_cndmask_b32 v2, v2, v8 :: v_dual_add_nc_u32 v7, 1, v3
	s_delay_alu instid0(VALU_DEP_1) | instskip(NEXT) | instid1(VALU_DEP_2)
	v_cndmask_b32_e32 v3, v3, v7, vcc_lo
	v_cmp_le_u32_e32 vcc_lo, s3, v2
	s_add_co_i32 s3, s1, -1
	s_wait_alu 0xfffe
	v_and_b32_e32 v8, s3, v0
	v_add_nc_u32_e32 v7, 1, v3
	s_mov_b32 s3, exec_lo
	s_wait_alu 0xfffd
	s_delay_alu instid0(VALU_DEP_1) | instskip(SKIP_1) | instid1(VALU_DEP_2)
	v_dual_cndmask_b32 v2, v3, v7 :: v_dual_mov_b32 v3, 0
	v_lshlrev_b32_e32 v7, 3, v8
	v_xor_b32_e32 v2, v2, v5
	s_delay_alu instid0(VALU_DEP_1) | instskip(SKIP_1) | instid1(VALU_DEP_2)
	v_sub_nc_u32_e32 v5, v2, v5
	v_mov_b32_e32 v2, 0
	v_cmpx_lt_i32_e32 0, v5
	s_cbranch_execz .LBB83_126
; %bb.123:
	v_dual_mov_b32 v3, 0 :: v_dual_mov_b32 v10, v5
	v_lshl_add_u32 v9, v4, 3, v7
	s_lshl_b32 s5, s1, 3
	s_mov_b32 s4, 0
	s_delay_alu instid0(VALU_DEP_2)
	v_mov_b32_e32 v2, v3
.LBB83_124:                             ; =>This Inner Loop Header: Depth=1
	ds_load_b64 v[12:13], v9
	v_add_nc_u32_e32 v10, -1, v10
	s_wait_dscnt 0x0
	s_wait_alu 0xfffe
	v_dual_add_f32 v2, v2, v12 :: v_dual_add_nc_u32 v9, s5, v9
	v_add_f32_e32 v3, v3, v13
	v_cmp_eq_u32_e32 vcc_lo, 0, v10
	s_or_b32 s4, vcc_lo, s4
	s_wait_alu 0xfffe
	s_and_not1_b32 exec_lo, exec_lo, s4
	s_cbranch_execnz .LBB83_124
; %bb.125:
	s_or_b32 exec_lo, exec_lo, s4
.LBB83_126:
	s_wait_alu 0xfffe
	s_or_b32 exec_lo, exec_lo, s3
	v_mad_co_u64_u32 v[4:5], null, v5, s1, v[4:5]
	s_mov_b32 s3, exec_lo
	v_sub_nc_u32_e32 v5, v6, v4
	s_delay_alu instid0(VALU_DEP_1)
	v_cmpx_lt_i32_e64 v8, v5
	s_cbranch_execz .LBB83_128
; %bb.127:
	v_lshl_add_u32 v4, v4, 3, v7
	ds_load_b64 v[4:5], v4
	s_wait_dscnt 0x0
	v_dual_add_f32 v2, v2, v4 :: v_dual_add_f32 v3, v3, v5
.LBB83_128:
	s_wait_alu 0xfffe
	s_or_b32 exec_lo, exec_lo, s3
.LBB83_129:
	s_wait_alu 0xfffe
	s_or_b32 exec_lo, exec_lo, s2
	v_cmp_gt_i32_e32 vcc_lo, s21, v0
	s_wait_loadcnt 0x0
	s_wait_storecnt 0x0
	s_barrier_signal -1
	s_barrier_wait -1
	global_inv scope:SCOPE_SE
	ds_store_b64 v11, v[2:3]
	s_wait_loadcnt_dscnt 0x0
	s_barrier_signal -1
	s_barrier_wait -1
	global_inv scope:SCOPE_SE
	s_and_b32 exec_lo, exec_lo, vcc_lo
	s_cbranch_execz .LBB83_133
; %bb.130:
	v_mul_lo_u32 v2, s1, v0
	v_dual_mov_b32 v3, 0 :: v_dual_mov_b32 v4, 0
	s_delay_alu instid0(VALU_DEP_2)
	v_lshlrev_b32_e32 v2, 3, v2
.LBB83_131:                             ; =>This Inner Loop Header: Depth=1
	ds_load_b64 v[5:6], v2
	v_add_nc_u32_e32 v2, 8, v2
	s_add_co_i32 s1, s1, -1
	s_wait_alu 0xfffe
	s_cmp_eq_u32 s1, 0
	s_wait_dscnt 0x0
	v_dual_add_f32 v4, v4, v5 :: v_dual_add_f32 v3, v3, v6
	s_cbranch_scc0 .LBB83_131
; %bb.132:
	v_lshlrev_b32_e32 v0, 3, v0
	s_lshl_b32 s0, s0, 3
	v_ashrrev_i32_e32 v2, 31, v1
	s_wait_alu 0xfffe
	s_delay_alu instid0(VALU_DEP_2) | instskip(SKIP_2) | instid1(VALU_DEP_1)
	v_add3_u32 v0, 0x2000, s0, v0
	ds_load_2addr_b32 v[5:6], v0 offset1:1
	v_lshlrev_b64_e32 v[0:1], 3, v[1:2]
	v_add_co_u32 v0, vcc_lo, s16, v0
	s_wait_alu 0xfffd
	s_delay_alu instid0(VALU_DEP_2)
	v_add_co_ci_u32_e64 v1, null, s17, v1, vcc_lo
	s_wait_dscnt 0x0
	v_dual_add_f32 v2, v4, v5 :: v_dual_add_f32 v3, v3, v6
	s_clause 0x1
	global_atomic_add_f32 v[0:1], v2, off scope:SCOPE_DEV
	global_atomic_add_f32 v[0:1], v3, off offset:4 scope:SCOPE_DEV
.LBB83_133:
	s_endpgm
	.section	.rodata,"a",@progbits
	.p2align	6, 0x0
	.amdhsa_kernel _ZN9rocsparseL27csrmvn_symm_adaptive_kernelIiif21rocsparse_complex_numIfES2_S2_EEvbT_S3_PKS3_NS_24const_host_device_scalarIT4_EES5_PKT0_PKT1_PKT2_S8_PT3_21rocsparse_index_base_b
		.amdhsa_group_segment_fixed_size 8192
		.amdhsa_private_segment_fixed_size 0
		.amdhsa_kernarg_size 344
		.amdhsa_user_sgpr_count 2
		.amdhsa_user_sgpr_dispatch_ptr 0
		.amdhsa_user_sgpr_queue_ptr 0
		.amdhsa_user_sgpr_kernarg_segment_ptr 1
		.amdhsa_user_sgpr_dispatch_id 0
		.amdhsa_user_sgpr_private_segment_size 0
		.amdhsa_wavefront_size32 1
		.amdhsa_uses_dynamic_stack 0
		.amdhsa_enable_private_segment 0
		.amdhsa_system_sgpr_workgroup_id_x 1
		.amdhsa_system_sgpr_workgroup_id_y 0
		.amdhsa_system_sgpr_workgroup_id_z 0
		.amdhsa_system_sgpr_workgroup_info 0
		.amdhsa_system_vgpr_workitem_id 0
		.amdhsa_next_free_vgpr 18
		.amdhsa_next_free_sgpr 30
		.amdhsa_reserve_vcc 1
		.amdhsa_float_round_mode_32 0
		.amdhsa_float_round_mode_16_64 0
		.amdhsa_float_denorm_mode_32 3
		.amdhsa_float_denorm_mode_16_64 3
		.amdhsa_fp16_overflow 0
		.amdhsa_workgroup_processor_mode 1
		.amdhsa_memory_ordered 1
		.amdhsa_forward_progress 1
		.amdhsa_inst_pref_size 65
		.amdhsa_round_robin_scheduling 0
		.amdhsa_exception_fp_ieee_invalid_op 0
		.amdhsa_exception_fp_denorm_src 0
		.amdhsa_exception_fp_ieee_div_zero 0
		.amdhsa_exception_fp_ieee_overflow 0
		.amdhsa_exception_fp_ieee_underflow 0
		.amdhsa_exception_fp_ieee_inexact 0
		.amdhsa_exception_int_div_zero 0
	.end_amdhsa_kernel
	.section	.text._ZN9rocsparseL27csrmvn_symm_adaptive_kernelIiif21rocsparse_complex_numIfES2_S2_EEvbT_S3_PKS3_NS_24const_host_device_scalarIT4_EES5_PKT0_PKT1_PKT2_S8_PT3_21rocsparse_index_base_b,"axG",@progbits,_ZN9rocsparseL27csrmvn_symm_adaptive_kernelIiif21rocsparse_complex_numIfES2_S2_EEvbT_S3_PKS3_NS_24const_host_device_scalarIT4_EES5_PKT0_PKT1_PKT2_S8_PT3_21rocsparse_index_base_b,comdat
.Lfunc_end83:
	.size	_ZN9rocsparseL27csrmvn_symm_adaptive_kernelIiif21rocsparse_complex_numIfES2_S2_EEvbT_S3_PKS3_NS_24const_host_device_scalarIT4_EES5_PKT0_PKT1_PKT2_S8_PT3_21rocsparse_index_base_b, .Lfunc_end83-_ZN9rocsparseL27csrmvn_symm_adaptive_kernelIiif21rocsparse_complex_numIfES2_S2_EEvbT_S3_PKS3_NS_24const_host_device_scalarIT4_EES5_PKT0_PKT1_PKT2_S8_PT3_21rocsparse_index_base_b
                                        ; -- End function
	.set _ZN9rocsparseL27csrmvn_symm_adaptive_kernelIiif21rocsparse_complex_numIfES2_S2_EEvbT_S3_PKS3_NS_24const_host_device_scalarIT4_EES5_PKT0_PKT1_PKT2_S8_PT3_21rocsparse_index_base_b.num_vgpr, 18
	.set _ZN9rocsparseL27csrmvn_symm_adaptive_kernelIiif21rocsparse_complex_numIfES2_S2_EEvbT_S3_PKS3_NS_24const_host_device_scalarIT4_EES5_PKT0_PKT1_PKT2_S8_PT3_21rocsparse_index_base_b.num_agpr, 0
	.set _ZN9rocsparseL27csrmvn_symm_adaptive_kernelIiif21rocsparse_complex_numIfES2_S2_EEvbT_S3_PKS3_NS_24const_host_device_scalarIT4_EES5_PKT0_PKT1_PKT2_S8_PT3_21rocsparse_index_base_b.numbered_sgpr, 30
	.set _ZN9rocsparseL27csrmvn_symm_adaptive_kernelIiif21rocsparse_complex_numIfES2_S2_EEvbT_S3_PKS3_NS_24const_host_device_scalarIT4_EES5_PKT0_PKT1_PKT2_S8_PT3_21rocsparse_index_base_b.num_named_barrier, 0
	.set _ZN9rocsparseL27csrmvn_symm_adaptive_kernelIiif21rocsparse_complex_numIfES2_S2_EEvbT_S3_PKS3_NS_24const_host_device_scalarIT4_EES5_PKT0_PKT1_PKT2_S8_PT3_21rocsparse_index_base_b.private_seg_size, 0
	.set _ZN9rocsparseL27csrmvn_symm_adaptive_kernelIiif21rocsparse_complex_numIfES2_S2_EEvbT_S3_PKS3_NS_24const_host_device_scalarIT4_EES5_PKT0_PKT1_PKT2_S8_PT3_21rocsparse_index_base_b.uses_vcc, 1
	.set _ZN9rocsparseL27csrmvn_symm_adaptive_kernelIiif21rocsparse_complex_numIfES2_S2_EEvbT_S3_PKS3_NS_24const_host_device_scalarIT4_EES5_PKT0_PKT1_PKT2_S8_PT3_21rocsparse_index_base_b.uses_flat_scratch, 0
	.set _ZN9rocsparseL27csrmvn_symm_adaptive_kernelIiif21rocsparse_complex_numIfES2_S2_EEvbT_S3_PKS3_NS_24const_host_device_scalarIT4_EES5_PKT0_PKT1_PKT2_S8_PT3_21rocsparse_index_base_b.has_dyn_sized_stack, 0
	.set _ZN9rocsparseL27csrmvn_symm_adaptive_kernelIiif21rocsparse_complex_numIfES2_S2_EEvbT_S3_PKS3_NS_24const_host_device_scalarIT4_EES5_PKT0_PKT1_PKT2_S8_PT3_21rocsparse_index_base_b.has_recursion, 0
	.set _ZN9rocsparseL27csrmvn_symm_adaptive_kernelIiif21rocsparse_complex_numIfES2_S2_EEvbT_S3_PKS3_NS_24const_host_device_scalarIT4_EES5_PKT0_PKT1_PKT2_S8_PT3_21rocsparse_index_base_b.has_indirect_call, 0
	.section	.AMDGPU.csdata,"",@progbits
; Kernel info:
; codeLenInByte = 8280
; TotalNumSgprs: 32
; NumVgprs: 18
; ScratchSize: 0
; MemoryBound: 0
; FloatMode: 240
; IeeeMode: 1
; LDSByteSize: 8192 bytes/workgroup (compile time only)
; SGPRBlocks: 0
; VGPRBlocks: 2
; NumSGPRsForWavesPerEU: 32
; NumVGPRsForWavesPerEU: 18
; Occupancy: 16
; WaveLimiterHint : 1
; COMPUTE_PGM_RSRC2:SCRATCH_EN: 0
; COMPUTE_PGM_RSRC2:USER_SGPR: 2
; COMPUTE_PGM_RSRC2:TRAP_HANDLER: 0
; COMPUTE_PGM_RSRC2:TGID_X_EN: 1
; COMPUTE_PGM_RSRC2:TGID_Y_EN: 0
; COMPUTE_PGM_RSRC2:TGID_Z_EN: 0
; COMPUTE_PGM_RSRC2:TIDIG_COMP_CNT: 0
	.section	.text._ZL33csrmvn_symm_large_adaptive_kernelIiif21rocsparse_complex_numIfES1_S1_EvbT_PKS2_N9rocsparse24const_host_device_scalarIT4_EES4_PKT0_PKT1_PKT2_S8_PT3_21rocsparse_index_base_b,"axG",@progbits,_ZL33csrmvn_symm_large_adaptive_kernelIiif21rocsparse_complex_numIfES1_S1_EvbT_PKS2_N9rocsparse24const_host_device_scalarIT4_EES4_PKT0_PKT1_PKT2_S8_PT3_21rocsparse_index_base_b,comdat
	.globl	_ZL33csrmvn_symm_large_adaptive_kernelIiif21rocsparse_complex_numIfES1_S1_EvbT_PKS2_N9rocsparse24const_host_device_scalarIT4_EES4_PKT0_PKT1_PKT2_S8_PT3_21rocsparse_index_base_b ; -- Begin function _ZL33csrmvn_symm_large_adaptive_kernelIiif21rocsparse_complex_numIfES1_S1_EvbT_PKS2_N9rocsparse24const_host_device_scalarIT4_EES4_PKT0_PKT1_PKT2_S8_PT3_21rocsparse_index_base_b
	.p2align	8
	.type	_ZL33csrmvn_symm_large_adaptive_kernelIiif21rocsparse_complex_numIfES1_S1_EvbT_PKS2_N9rocsparse24const_host_device_scalarIT4_EES4_PKT0_PKT1_PKT2_S8_PT3_21rocsparse_index_base_b,@function
_ZL33csrmvn_symm_large_adaptive_kernelIiif21rocsparse_complex_numIfES1_S1_EvbT_PKS2_N9rocsparse24const_host_device_scalarIT4_EES4_PKT0_PKT1_PKT2_S8_PT3_21rocsparse_index_base_b: ; @_ZL33csrmvn_symm_large_adaptive_kernelIiif21rocsparse_complex_numIfES1_S1_EvbT_PKS2_N9rocsparse24const_host_device_scalarIT4_EES4_PKT0_PKT1_PKT2_S8_PT3_21rocsparse_index_base_b
; %bb.0:
	s_clause 0x1
	s_load_b64 s[6:7], s[0:1], 0x48
	s_load_b64 s[4:5], s[0:1], 0x10
	s_add_nc_u64 s[8:9], s[0:1], 16
	s_wait_kmcnt 0x0
	s_bitcmp1_b32 s7, 0
	s_cselect_b32 s3, -1, 0
	s_delay_alu instid0(SALU_CYCLE_1) | instskip(SKIP_2) | instid1(SALU_CYCLE_1)
	s_and_b32 s2, s3, exec_lo
	s_cselect_b32 s2, s8, s4
	s_cselect_b32 s4, s9, s5
	v_dual_mov_b32 v1, s2 :: v_dual_mov_b32 v2, s4
	flat_load_b64 v[1:2], v[1:2]
	s_wait_loadcnt_dscnt 0x0
	v_cmp_eq_f32_e32 vcc_lo, 0, v1
	v_cmp_eq_f32_e64 s2, 0, v2
	s_and_b32 s5, vcc_lo, s2
	s_mov_b32 s2, -1
	s_wait_alu 0xfffe
	s_and_saveexec_b32 s4, s5
	s_cbranch_execz .LBB84_2
; %bb.1:
	s_load_b64 s[8:9], s[0:1], 0x38
	s_add_nc_u64 s[10:11], s[0:1], 56
	s_and_b32 s2, s3, exec_lo
	s_wait_kmcnt 0x0
	s_cselect_b32 s2, s10, s8
	s_cselect_b32 s3, s11, s9
	s_wait_alu 0xfffe
	v_dual_mov_b32 v3, s2 :: v_dual_mov_b32 v4, s3
	flat_load_b64 v[3:4], v[3:4]
	s_wait_loadcnt_dscnt 0x0
	v_cmp_neq_f32_e32 vcc_lo, 1.0, v3
	v_cmp_neq_f32_e64 s2, 0, v4
	s_or_b32 s2, vcc_lo, s2
	s_wait_alu 0xfffe
	s_or_not1_b32 s2, s2, exec_lo
.LBB84_2:
	s_wait_alu 0xfffe
	s_or_b32 exec_lo, exec_lo, s4
	s_and_saveexec_b32 s3, s2
	s_cbranch_execz .LBB84_36
; %bb.3:
	s_load_b64 s[4:5], s[0:1], 0x8
	s_mov_b32 s8, 0
	s_mov_b32 s2, ttmp9
	s_mov_b32 s9, s8
	v_dual_mov_b32 v3, s8 :: v_dual_lshlrev_b32 v10, 3, v0
	s_ashr_i32 s3, ttmp9, 31
	v_mov_b32_e32 v4, s9
	s_wait_alu 0xfffe
	s_lshl_b64 s[2:3], s[2:3], 2
	ds_store_2addr_stride64_b64 v10, v[3:4], v[3:4] offset1:4
	ds_store_2addr_stride64_b64 v10, v[3:4], v[3:4] offset0:8 offset1:12
	s_wait_dscnt 0x0
	s_barrier_signal -1
	s_barrier_wait -1
	global_inv scope:SCOPE_SE
	v_subrev_nc_u32_e32 v11, s6, v0
	s_wait_kmcnt 0x0
	s_wait_alu 0xfffe
	s_add_nc_u64 s[2:3], s[4:5], s[2:3]
	s_load_b64 s[16:17], s[2:3], 0x0
	s_clause 0x1
	s_load_b256 s[8:15], s[0:1], 0x18
	s_load_b64 s[18:19], s[0:1], 0x40
	s_wait_kmcnt 0x0
	s_cmp_ge_i32 s16, s17
	s_cbranch_scc1 .LBB84_27
; %bb.4:
	v_cmp_gt_u32_e32 vcc_lo, 64, v0
	v_cmp_gt_u32_e64 s0, 16, v0
	v_cmp_gt_u32_e64 s1, 4, v0
	v_cmp_eq_u32_e64 s2, 0, v0
	v_mov_b32_e32 v0, 0
	s_mov_b32 s20, s16
	s_branch .LBB84_6
.LBB84_5:                               ;   in Loop: Header=BB84_6 Depth=1
	s_wait_alu 0xfffe
	s_or_b32 exec_lo, exec_lo, s7
	s_add_co_i32 s20, s20, 1
	s_wait_alu 0xfffe
	s_cmp_ge_i32 s20, s17
	s_cbranch_scc1 .LBB84_27
.LBB84_6:                               ; =>This Loop Header: Depth=1
                                        ;     Child Loop BB84_8 Depth 2
                                        ;     Child Loop BB84_20 Depth 2
                                        ;     Child Loop BB84_24 Depth 2
	s_ashr_i32 s21, s20, 31
	v_mov_b32_e32 v5, 0
	s_wait_alu 0xfffe
	s_lshl_b64 s[4:5], s[20:21], 2
	v_mov_b32_e32 v4, 0
	s_wait_alu 0xfffe
	s_add_nc_u64 s[4:5], s[8:9], s[4:5]
	s_load_b64 s[4:5], s[4:5], 0x0
	s_wait_kmcnt 0x0
	v_add_nc_u32_e32 v3, s4, v11
	s_sub_co_i32 s7, s5, s6
	s_mov_b32 s5, exec_lo
	s_wait_alu 0xfffe
	s_delay_alu instid0(VALU_DEP_1)
	v_cmpx_gt_i32_e64 s7, v3
	s_cbranch_execz .LBB84_10
; %bb.7:                                ;   in Loop: Header=BB84_6 Depth=1
	v_ashrrev_i32_e32 v4, 31, v3
	v_mov_b32_e32 v5, 0
	s_mov_b32 s22, 0
	s_delay_alu instid0(VALU_DEP_2) | instskip(NEXT) | instid1(VALU_DEP_2)
	v_lshlrev_b64_e32 v[8:9], 2, v[3:4]
	v_mov_b32_e32 v4, v5
	s_delay_alu instid0(VALU_DEP_2) | instskip(SKIP_1) | instid1(VALU_DEP_3)
	v_add_co_u32 v6, s3, s10, v8
	s_wait_alu 0xf1ff
	v_add_co_ci_u32_e64 v7, null, s11, v9, s3
	v_add_co_u32 v8, s3, s12, v8
	s_wait_alu 0xf1ff
	v_add_co_ci_u32_e64 v9, null, s13, v9, s3
.LBB84_8:                               ;   Parent Loop BB84_6 Depth=1
                                        ; =>  This Inner Loop Header: Depth=2
	global_load_b32 v12, v[6:7], off
	s_wait_loadcnt 0x0
	v_subrev_nc_u32_e32 v12, s6, v12
	s_delay_alu instid0(VALU_DEP_1) | instskip(NEXT) | instid1(VALU_DEP_1)
	v_ashrrev_i32_e32 v13, 31, v12
	v_lshlrev_b64_e32 v[12:13], 3, v[12:13]
	s_delay_alu instid0(VALU_DEP_1) | instskip(SKIP_1) | instid1(VALU_DEP_2)
	v_add_co_u32 v12, s3, s14, v12
	s_wait_alu 0xf1ff
	v_add_co_ci_u32_e64 v13, null, s15, v13, s3
	v_add_co_u32 v6, s3, 0x400, v6
	global_load_b32 v14, v[8:9], off
	global_load_b64 v[12:13], v[12:13], off
	v_add_nc_u32_e32 v3, 0x100, v3
	s_wait_alu 0xf1ff
	v_add_co_ci_u32_e64 v7, null, 0, v7, s3
	v_add_co_u32 v8, s3, 0x400, v8
	s_wait_alu 0xf1ff
	v_add_co_ci_u32_e64 v9, null, 0, v9, s3
	s_wait_loadcnt 0x0
	v_fmac_f32_e32 v4, v14, v12
	v_fmac_f32_e32 v5, 0, v12
	v_cmp_le_i32_e64 s4, s7, v3
	s_delay_alu instid0(VALU_DEP_3) | instskip(NEXT) | instid1(VALU_DEP_3)
	v_fmac_f32_e32 v4, 0x80000000, v13
	v_fmac_f32_e32 v5, v14, v13
	s_wait_alu 0xfffe
	s_or_b32 s22, s4, s22
	s_wait_alu 0xfffe
	s_and_not1_b32 exec_lo, exec_lo, s22
	s_cbranch_execnz .LBB84_8
; %bb.9:                                ;   in Loop: Header=BB84_6 Depth=1
	s_or_b32 exec_lo, exec_lo, s22
.LBB84_10:                              ;   in Loop: Header=BB84_6 Depth=1
	s_delay_alu instid0(SALU_CYCLE_1)
	s_or_b32 exec_lo, exec_lo, s5
	ds_store_b64 v10, v[4:5]
	s_wait_loadcnt_dscnt 0x0
	s_barrier_signal -1
	s_barrier_wait -1
	global_inv scope:SCOPE_SE
	ds_load_2addr_stride64_b64 v[3:6], v10 offset1:4
	ds_load_2addr_stride64_b64 v[12:15], v10 offset0:8 offset1:12
	s_wait_dscnt 0x0
	v_dual_add_f32 v5, v12, v5 :: v_dual_add_f32 v6, v13, v6
	s_delay_alu instid0(VALU_DEP_1) | instskip(NEXT) | instid1(VALU_DEP_1)
	v_dual_add_f32 v5, v14, v5 :: v_dual_add_f32 v6, v15, v6
	v_dual_add_f32 v3, v5, v3 :: v_dual_add_f32 v4, v6, v4
	ds_store_b64 v10, v[3:4]
	s_wait_loadcnt_dscnt 0x0
	s_barrier_signal -1
	s_barrier_wait -1
	global_inv scope:SCOPE_SE
	s_and_saveexec_b32 s3, vcc_lo
	s_cbranch_execz .LBB84_12
; %bb.11:                               ;   in Loop: Header=BB84_6 Depth=1
	ds_load_2addr_stride64_b64 v[3:6], v10 offset1:1
	ds_load_2addr_stride64_b64 v[12:15], v10 offset0:2 offset1:3
	s_wait_dscnt 0x0
	v_dual_add_f32 v5, v12, v5 :: v_dual_add_f32 v6, v13, v6
	s_delay_alu instid0(VALU_DEP_1) | instskip(NEXT) | instid1(VALU_DEP_1)
	v_dual_add_f32 v5, v14, v5 :: v_dual_add_f32 v6, v15, v6
	v_dual_add_f32 v3, v5, v3 :: v_dual_add_f32 v4, v6, v4
	ds_store_b64 v10, v[3:4]
.LBB84_12:                              ;   in Loop: Header=BB84_6 Depth=1
	s_wait_alu 0xfffe
	s_or_b32 exec_lo, exec_lo, s3
	s_wait_loadcnt_dscnt 0x0
	s_barrier_signal -1
	s_barrier_wait -1
	global_inv scope:SCOPE_SE
	s_and_saveexec_b32 s3, s0
	s_cbranch_execz .LBB84_14
; %bb.13:                               ;   in Loop: Header=BB84_6 Depth=1
	ds_load_2addr_b64 v[3:6], v10 offset1:16
	ds_load_2addr_b64 v[12:15], v10 offset0:32 offset1:48
	s_wait_dscnt 0x0
	v_dual_add_f32 v5, v12, v5 :: v_dual_add_f32 v6, v13, v6
	s_delay_alu instid0(VALU_DEP_1) | instskip(NEXT) | instid1(VALU_DEP_1)
	v_dual_add_f32 v5, v14, v5 :: v_dual_add_f32 v6, v15, v6
	v_dual_add_f32 v3, v5, v3 :: v_dual_add_f32 v4, v6, v4
	ds_store_b64 v10, v[3:4]
.LBB84_14:                              ;   in Loop: Header=BB84_6 Depth=1
	s_wait_alu 0xfffe
	s_or_b32 exec_lo, exec_lo, s3
	s_wait_loadcnt_dscnt 0x0
	s_barrier_signal -1
	s_barrier_wait -1
	global_inv scope:SCOPE_SE
	s_and_saveexec_b32 s3, s1
	s_cbranch_execz .LBB84_16
; %bb.15:                               ;   in Loop: Header=BB84_6 Depth=1
	ds_load_2addr_b64 v[3:6], v10 offset1:4
	ds_load_2addr_b64 v[12:15], v10 offset0:8 offset1:12
	s_wait_dscnt 0x0
	v_dual_add_f32 v5, v12, v5 :: v_dual_add_f32 v6, v13, v6
	s_delay_alu instid0(VALU_DEP_1) | instskip(NEXT) | instid1(VALU_DEP_1)
	v_dual_add_f32 v5, v14, v5 :: v_dual_add_f32 v6, v15, v6
	v_dual_add_f32 v3, v5, v3 :: v_dual_add_f32 v4, v6, v4
	ds_store_b64 v10, v[3:4]
.LBB84_16:                              ;   in Loop: Header=BB84_6 Depth=1
	s_wait_alu 0xfffe
	s_or_b32 exec_lo, exec_lo, s3
	s_wait_loadcnt_dscnt 0x0
	s_barrier_signal -1
	s_barrier_wait -1
	global_inv scope:SCOPE_SE
	s_and_saveexec_b32 s3, s2
	s_cbranch_execz .LBB84_18
; %bb.17:                               ;   in Loop: Header=BB84_6 Depth=1
	ds_load_b128 v[3:6], v0 offset:16
	ds_load_b64 v[7:8], v0 offset:8
	ds_load_b64 v[12:13], v10
	s_wait_dscnt 0x1
	v_dual_add_f32 v3, v3, v7 :: v_dual_add_f32 v4, v4, v8
	s_delay_alu instid0(VALU_DEP_1) | instskip(SKIP_1) | instid1(VALU_DEP_1)
	v_dual_add_f32 v3, v5, v3 :: v_dual_add_f32 v4, v6, v4
	s_wait_dscnt 0x0
	v_dual_add_f32 v3, v3, v12 :: v_dual_add_f32 v4, v4, v13
	ds_store_b64 v10, v[3:4]
.LBB84_18:                              ;   in Loop: Header=BB84_6 Depth=1
	s_wait_alu 0xfffe
	s_or_b32 exec_lo, exec_lo, s3
	s_wait_loadcnt_dscnt 0x0
	s_barrier_signal -1
	s_barrier_wait -1
	global_inv scope:SCOPE_SE
	s_and_saveexec_b32 s7, s2
	s_cbranch_execz .LBB84_5
; %bb.19:                               ;   in Loop: Header=BB84_6 Depth=1
	ds_load_b64 v[3:4], v0
	s_mov_b32 s3, exec_lo
	s_brev_b32 s22, 1
	s_wait_dscnt 0x0
	v_mul_f32_e64 v5, v4, -v2
	s_delay_alu instid0(VALU_DEP_1)
	v_fmac_f32_e32 v5, v1, v3
.LBB84_20:                              ;   Parent Loop BB84_6 Depth=1
                                        ; =>  This Inner Loop Header: Depth=2
	s_wait_alu 0xfffe
	s_ctz_i32_b32 s4, s3
	s_wait_alu 0xfffe
	s_delay_alu instid0(VALU_DEP_1)
	v_readlane_b32 s5, v5, s4
	s_lshl_b32 s4, 1, s4
	s_wait_alu 0xfffe
	s_and_not1_b32 s3, s3, s4
	s_wait_alu 0xfffe
	s_cmp_lg_u32 s3, 0
	s_add_f32 s22, s22, s5
	s_cbranch_scc1 .LBB84_20
; %bb.21:                               ;   in Loop: Header=BB84_6 Depth=1
	v_mbcnt_lo_u32_b32 v5, exec_lo, 0
	s_lshl_b64 s[4:5], s[20:21], 3
	s_wait_alu 0xfffe
	s_add_nc_u64 s[4:5], s[18:19], s[4:5]
	s_delay_alu instid0(VALU_DEP_1)
	v_cmp_eq_u32_e64 s3, 0, v5
	s_and_saveexec_b32 s21, s3
	s_wait_alu 0xfffe
	s_xor_b32 s3, exec_lo, s21
	s_cbranch_execz .LBB84_23
; %bb.22:                               ;   in Loop: Header=BB84_6 Depth=1
	v_mov_b32_e32 v5, s22
	global_atomic_add_f32 v0, v5, s[4:5] scope:SCOPE_DEV
.LBB84_23:                              ;   in Loop: Header=BB84_6 Depth=1
	s_wait_alu 0xfffe
	s_or_b32 exec_lo, exec_lo, s3
	v_mul_f32_e32 v4, v1, v4
	s_mov_b32 s3, exec_lo
	s_brev_b32 s21, 1
	s_delay_alu instid0(VALU_DEP_1)
	v_fmac_f32_e32 v4, v2, v3
.LBB84_24:                              ;   Parent Loop BB84_6 Depth=1
                                        ; =>  This Inner Loop Header: Depth=2
	s_wait_alu 0xfffe
	s_ctz_i32_b32 s22, s3
	s_wait_alu 0xfffe
	s_delay_alu instid0(VALU_DEP_1)
	v_readlane_b32 s23, v4, s22
	s_lshl_b32 s22, 1, s22
	s_wait_alu 0xfffe
	s_and_not1_b32 s3, s3, s22
	s_wait_alu 0xfffe
	s_cmp_lg_u32 s3, 0
	s_add_f32 s21, s21, s23
	s_cbranch_scc1 .LBB84_24
; %bb.25:                               ;   in Loop: Header=BB84_6 Depth=1
	v_mbcnt_lo_u32_b32 v3, exec_lo, 0
	s_mov_b32 s22, exec_lo
	s_delay_alu instid0(VALU_DEP_1)
	v_cmpx_eq_u32_e32 0, v3
	s_wait_alu 0xfffe
	s_xor_b32 s22, exec_lo, s22
	s_cbranch_execz .LBB84_5
; %bb.26:                               ;   in Loop: Header=BB84_6 Depth=1
	v_mov_b32_e32 v3, s21
	global_atomic_add_f32 v0, v3, s[4:5] offset:4 scope:SCOPE_DEV
	s_branch .LBB84_5
.LBB84_27:
	s_ashr_i32 s1, s16, 31
	s_mov_b32 s0, s16
	s_ashr_i32 s3, s17, 31
	s_lshl_b64 s[0:1], s[0:1], 2
	s_mov_b32 s2, s17
	s_add_nc_u64 s[0:1], s[8:9], s[0:1]
	s_wait_alu 0xfffe
	s_lshl_b64 s[2:3], s[2:3], 2
	s_load_b32 s4, s[0:1], 0x0
	s_add_nc_u64 s[0:1], s[8:9], s[2:3]
	s_load_b32 s0, s[0:1], 0x0
	s_wait_kmcnt 0x0
	v_add_nc_u32_e32 v3, s4, v11
	s_sub_co_i32 s1, s0, s6
	s_delay_alu instid0(VALU_DEP_1) | instid1(SALU_CYCLE_1)
	v_cmp_gt_i32_e32 vcc_lo, s1, v3
	s_and_b32 exec_lo, exec_lo, vcc_lo
	s_cbranch_execz .LBB84_36
; %bb.28:
	s_add_co_i32 s2, s17, -1
	v_mul_f32_e32 v0, 0x80000000, v2
	s_wait_alu 0xfffe
	s_cmp_lt_i32 s16, s2
	v_mul_f32_e32 v10, 0, v1
	s_cselect_b32 s0, -1, 0
	s_add_co_i32 s3, s17, -2
	s_mov_b32 s4, 0
	s_wait_alu 0xfffe
	s_cmp_lg_u32 s16, s3
	s_cselect_b32 s3, -1, 0
	s_wait_alu 0xfffe
	s_and_b32 s3, s0, s3
	s_branch .LBB84_30
.LBB84_29:                              ;   in Loop: Header=BB84_30 Depth=1
	s_wait_alu 0xfffe
	s_or_b32 exec_lo, exec_lo, s0
	v_add_nc_u32_e32 v3, 0x100, v3
	s_delay_alu instid0(VALU_DEP_1)
	v_cmp_le_i32_e32 vcc_lo, s1, v3
	s_or_b32 s4, vcc_lo, s4
	s_wait_alu 0xfffe
	s_and_not1_b32 exec_lo, exec_lo, s4
	s_cbranch_execz .LBB84_36
.LBB84_30:                              ; =>This Loop Header: Depth=1
                                        ;     Child Loop BB84_32 Depth 2
	v_dual_mov_b32 v8, s16 :: v_dual_mov_b32 v5, s2
	s_wait_alu 0xfffe
	s_and_not1_b32 vcc_lo, exec_lo, s3
	s_wait_alu 0xfffe
	s_cbranch_vccnz .LBB84_34
; %bb.31:                               ;   in Loop: Header=BB84_30 Depth=1
	v_dual_mov_b32 v8, s16 :: v_dual_mov_b32 v5, s2
	s_mov_b32 s5, 0
.LBB84_32:                              ;   Parent Loop BB84_30 Depth=1
                                        ; =>  This Inner Loop Header: Depth=2
	s_delay_alu instid0(VALU_DEP_1) | instskip(NEXT) | instid1(VALU_DEP_1)
	v_add_nc_u32_e32 v4, v5, v8
	v_lshrrev_b32_e32 v6, 31, v4
	s_delay_alu instid0(VALU_DEP_1) | instskip(NEXT) | instid1(VALU_DEP_1)
	v_add_nc_u32_e32 v4, v4, v6
	v_ashrrev_i32_e32 v6, 1, v4
	s_delay_alu instid0(VALU_DEP_1) | instskip(NEXT) | instid1(VALU_DEP_1)
	v_ashrrev_i32_e32 v7, 31, v6
	v_lshlrev_b64_e32 v[11:12], 2, v[6:7]
	s_delay_alu instid0(VALU_DEP_1) | instskip(SKIP_1) | instid1(VALU_DEP_2)
	v_add_co_u32 v11, vcc_lo, s8, v11
	s_wait_alu 0xfffd
	v_add_co_ci_u32_e64 v12, null, s9, v12, vcc_lo
	global_load_b32 v4, v[11:12], off
	s_wait_loadcnt 0x0
	v_subrev_nc_u32_e32 v4, s6, v4
	s_delay_alu instid0(VALU_DEP_1) | instskip(SKIP_2) | instid1(VALU_DEP_1)
	v_cmp_lt_i32_e32 vcc_lo, v3, v4
	s_wait_alu 0xfffd
	v_dual_cndmask_b32 v5, v5, v6 :: v_dual_cndmask_b32 v8, v6, v8
	v_add_nc_u32_e32 v4, -1, v5
	s_delay_alu instid0(VALU_DEP_2) | instskip(NEXT) | instid1(VALU_DEP_2)
	v_cmp_ge_i32_e32 vcc_lo, v8, v5
	v_cmp_eq_u32_e64 s0, v8, v4
	s_or_b32 s0, vcc_lo, s0
	s_wait_alu 0xfffe
	s_and_b32 s0, exec_lo, s0
	s_wait_alu 0xfffe
	s_or_b32 s5, s0, s5
	s_wait_alu 0xfffe
	s_and_not1_b32 exec_lo, exec_lo, s5
	s_cbranch_execnz .LBB84_32
; %bb.33:                               ;   in Loop: Header=BB84_30 Depth=1
	s_or_b32 exec_lo, exec_lo, s5
.LBB84_34:                              ;   in Loop: Header=BB84_30 Depth=1
	v_ashrrev_i32_e32 v6, 31, v5
	v_ashrrev_i32_e32 v4, 31, v3
	s_mov_b32 s0, exec_lo
	s_delay_alu instid0(VALU_DEP_2) | instskip(NEXT) | instid1(VALU_DEP_1)
	v_lshlrev_b64_e32 v[6:7], 2, v[5:6]
	v_add_co_u32 v11, vcc_lo, s8, v6
	s_wait_alu 0xfffd
	s_delay_alu instid0(VALU_DEP_2)
	v_add_co_ci_u32_e64 v12, null, s9, v7, vcc_lo
	v_lshlrev_b64_e32 v[6:7], 2, v[3:4]
	global_load_b32 v4, v[11:12], off
	v_add_co_u32 v11, vcc_lo, s10, v6
	s_wait_alu 0xfffd
	v_add_co_ci_u32_e64 v12, null, s11, v7, vcc_lo
	global_load_b32 v9, v[11:12], off
	s_wait_loadcnt 0x1
	v_subrev_nc_u32_e32 v4, s6, v4
	s_delay_alu instid0(VALU_DEP_1) | instskip(SKIP_4) | instid1(VALU_DEP_1)
	v_cmp_lt_i32_e32 vcc_lo, v3, v4
	s_wait_loadcnt 0x0
	v_subrev_nc_u32_e32 v4, s6, v9
	s_wait_alu 0xfffd
	v_cndmask_b32_e32 v8, v5, v8, vcc_lo
	v_cmpx_ne_u32_e64 v4, v8
	s_cbranch_execz .LBB84_29
; %bb.35:                               ;   in Loop: Header=BB84_30 Depth=1
	v_ashrrev_i32_e32 v9, 31, v8
	v_add_co_u32 v5, vcc_lo, s12, v6
	s_wait_alu 0xfffd
	v_add_co_ci_u32_e64 v6, null, s13, v7, vcc_lo
	s_delay_alu instid0(VALU_DEP_3)
	v_lshlrev_b64_e32 v[7:8], 3, v[8:9]
	global_load_b32 v9, v[5:6], off
	v_add_co_u32 v5, vcc_lo, s14, v7
	s_wait_alu 0xfffd
	v_add_co_ci_u32_e64 v6, null, s15, v8, vcc_lo
	global_load_b64 v[6:7], v[5:6], off
	v_ashrrev_i32_e32 v5, 31, v4
	s_delay_alu instid0(VALU_DEP_1) | instskip(NEXT) | instid1(VALU_DEP_1)
	v_lshlrev_b64_e32 v[4:5], 3, v[4:5]
	v_add_co_u32 v4, vcc_lo, s18, v4
	s_wait_alu 0xfffd
	s_delay_alu instid0(VALU_DEP_2) | instskip(SKIP_4) | instid1(VALU_DEP_2)
	v_add_co_ci_u32_e64 v5, null, s19, v5, vcc_lo
	s_wait_loadcnt 0x1
	v_fma_f32 v8, v2, v9, v10
	v_fma_f32 v9, v1, v9, v0
	s_wait_loadcnt 0x0
	v_mul_f32_e64 v11, v7, -v8
	s_delay_alu instid0(VALU_DEP_2) | instskip(NEXT) | instid1(VALU_DEP_2)
	v_mul_f32_e32 v7, v9, v7
	v_fmac_f32_e32 v11, v9, v6
	s_delay_alu instid0(VALU_DEP_2)
	v_fmac_f32_e32 v7, v8, v6
	s_clause 0x1
	global_atomic_add_f32 v[4:5], v11, off scope:SCOPE_DEV
	global_atomic_add_f32 v[4:5], v7, off offset:4 scope:SCOPE_DEV
	s_branch .LBB84_29
.LBB84_36:
	s_endpgm
	.section	.rodata,"a",@progbits
	.p2align	6, 0x0
	.amdhsa_kernel _ZL33csrmvn_symm_large_adaptive_kernelIiif21rocsparse_complex_numIfES1_S1_EvbT_PKS2_N9rocsparse24const_host_device_scalarIT4_EES4_PKT0_PKT1_PKT2_S8_PT3_21rocsparse_index_base_b
		.amdhsa_group_segment_fixed_size 8192
		.amdhsa_private_segment_fixed_size 0
		.amdhsa_kernarg_size 80
		.amdhsa_user_sgpr_count 2
		.amdhsa_user_sgpr_dispatch_ptr 0
		.amdhsa_user_sgpr_queue_ptr 0
		.amdhsa_user_sgpr_kernarg_segment_ptr 1
		.amdhsa_user_sgpr_dispatch_id 0
		.amdhsa_user_sgpr_private_segment_size 0
		.amdhsa_wavefront_size32 1
		.amdhsa_uses_dynamic_stack 0
		.amdhsa_enable_private_segment 0
		.amdhsa_system_sgpr_workgroup_id_x 1
		.amdhsa_system_sgpr_workgroup_id_y 0
		.amdhsa_system_sgpr_workgroup_id_z 0
		.amdhsa_system_sgpr_workgroup_info 0
		.amdhsa_system_vgpr_workitem_id 0
		.amdhsa_next_free_vgpr 16
		.amdhsa_next_free_sgpr 24
		.amdhsa_reserve_vcc 1
		.amdhsa_float_round_mode_32 0
		.amdhsa_float_round_mode_16_64 0
		.amdhsa_float_denorm_mode_32 3
		.amdhsa_float_denorm_mode_16_64 3
		.amdhsa_fp16_overflow 0
		.amdhsa_workgroup_processor_mode 1
		.amdhsa_memory_ordered 1
		.amdhsa_forward_progress 1
		.amdhsa_inst_pref_size 18
		.amdhsa_round_robin_scheduling 0
		.amdhsa_exception_fp_ieee_invalid_op 0
		.amdhsa_exception_fp_denorm_src 0
		.amdhsa_exception_fp_ieee_div_zero 0
		.amdhsa_exception_fp_ieee_overflow 0
		.amdhsa_exception_fp_ieee_underflow 0
		.amdhsa_exception_fp_ieee_inexact 0
		.amdhsa_exception_int_div_zero 0
	.end_amdhsa_kernel
	.section	.text._ZL33csrmvn_symm_large_adaptive_kernelIiif21rocsparse_complex_numIfES1_S1_EvbT_PKS2_N9rocsparse24const_host_device_scalarIT4_EES4_PKT0_PKT1_PKT2_S8_PT3_21rocsparse_index_base_b,"axG",@progbits,_ZL33csrmvn_symm_large_adaptive_kernelIiif21rocsparse_complex_numIfES1_S1_EvbT_PKS2_N9rocsparse24const_host_device_scalarIT4_EES4_PKT0_PKT1_PKT2_S8_PT3_21rocsparse_index_base_b,comdat
.Lfunc_end84:
	.size	_ZL33csrmvn_symm_large_adaptive_kernelIiif21rocsparse_complex_numIfES1_S1_EvbT_PKS2_N9rocsparse24const_host_device_scalarIT4_EES4_PKT0_PKT1_PKT2_S8_PT3_21rocsparse_index_base_b, .Lfunc_end84-_ZL33csrmvn_symm_large_adaptive_kernelIiif21rocsparse_complex_numIfES1_S1_EvbT_PKS2_N9rocsparse24const_host_device_scalarIT4_EES4_PKT0_PKT1_PKT2_S8_PT3_21rocsparse_index_base_b
                                        ; -- End function
	.set _ZL33csrmvn_symm_large_adaptive_kernelIiif21rocsparse_complex_numIfES1_S1_EvbT_PKS2_N9rocsparse24const_host_device_scalarIT4_EES4_PKT0_PKT1_PKT2_S8_PT3_21rocsparse_index_base_b.num_vgpr, 16
	.set _ZL33csrmvn_symm_large_adaptive_kernelIiif21rocsparse_complex_numIfES1_S1_EvbT_PKS2_N9rocsparse24const_host_device_scalarIT4_EES4_PKT0_PKT1_PKT2_S8_PT3_21rocsparse_index_base_b.num_agpr, 0
	.set _ZL33csrmvn_symm_large_adaptive_kernelIiif21rocsparse_complex_numIfES1_S1_EvbT_PKS2_N9rocsparse24const_host_device_scalarIT4_EES4_PKT0_PKT1_PKT2_S8_PT3_21rocsparse_index_base_b.numbered_sgpr, 24
	.set _ZL33csrmvn_symm_large_adaptive_kernelIiif21rocsparse_complex_numIfES1_S1_EvbT_PKS2_N9rocsparse24const_host_device_scalarIT4_EES4_PKT0_PKT1_PKT2_S8_PT3_21rocsparse_index_base_b.num_named_barrier, 0
	.set _ZL33csrmvn_symm_large_adaptive_kernelIiif21rocsparse_complex_numIfES1_S1_EvbT_PKS2_N9rocsparse24const_host_device_scalarIT4_EES4_PKT0_PKT1_PKT2_S8_PT3_21rocsparse_index_base_b.private_seg_size, 0
	.set _ZL33csrmvn_symm_large_adaptive_kernelIiif21rocsparse_complex_numIfES1_S1_EvbT_PKS2_N9rocsparse24const_host_device_scalarIT4_EES4_PKT0_PKT1_PKT2_S8_PT3_21rocsparse_index_base_b.uses_vcc, 1
	.set _ZL33csrmvn_symm_large_adaptive_kernelIiif21rocsparse_complex_numIfES1_S1_EvbT_PKS2_N9rocsparse24const_host_device_scalarIT4_EES4_PKT0_PKT1_PKT2_S8_PT3_21rocsparse_index_base_b.uses_flat_scratch, 0
	.set _ZL33csrmvn_symm_large_adaptive_kernelIiif21rocsparse_complex_numIfES1_S1_EvbT_PKS2_N9rocsparse24const_host_device_scalarIT4_EES4_PKT0_PKT1_PKT2_S8_PT3_21rocsparse_index_base_b.has_dyn_sized_stack, 0
	.set _ZL33csrmvn_symm_large_adaptive_kernelIiif21rocsparse_complex_numIfES1_S1_EvbT_PKS2_N9rocsparse24const_host_device_scalarIT4_EES4_PKT0_PKT1_PKT2_S8_PT3_21rocsparse_index_base_b.has_recursion, 0
	.set _ZL33csrmvn_symm_large_adaptive_kernelIiif21rocsparse_complex_numIfES1_S1_EvbT_PKS2_N9rocsparse24const_host_device_scalarIT4_EES4_PKT0_PKT1_PKT2_S8_PT3_21rocsparse_index_base_b.has_indirect_call, 0
	.section	.AMDGPU.csdata,"",@progbits
; Kernel info:
; codeLenInByte = 2260
; TotalNumSgprs: 26
; NumVgprs: 16
; ScratchSize: 0
; MemoryBound: 0
; FloatMode: 240
; IeeeMode: 1
; LDSByteSize: 8192 bytes/workgroup (compile time only)
; SGPRBlocks: 0
; VGPRBlocks: 1
; NumSGPRsForWavesPerEU: 26
; NumVGPRsForWavesPerEU: 16
; Occupancy: 16
; WaveLimiterHint : 1
; COMPUTE_PGM_RSRC2:SCRATCH_EN: 0
; COMPUTE_PGM_RSRC2:USER_SGPR: 2
; COMPUTE_PGM_RSRC2:TRAP_HANDLER: 0
; COMPUTE_PGM_RSRC2:TGID_X_EN: 1
; COMPUTE_PGM_RSRC2:TGID_Y_EN: 0
; COMPUTE_PGM_RSRC2:TGID_Z_EN: 0
; COMPUTE_PGM_RSRC2:TIDIG_COMP_CNT: 0
	.section	.text._ZN9rocsparseL22csrmvn_adaptive_kernelIlif21rocsparse_complex_numIfES2_S2_EEvbT_PKS3_PjPKT0_NS_24const_host_device_scalarIT4_EES5_S9_PKT1_PKT2_SC_PT3_21rocsparse_index_base_b,"axG",@progbits,_ZN9rocsparseL22csrmvn_adaptive_kernelIlif21rocsparse_complex_numIfES2_S2_EEvbT_PKS3_PjPKT0_NS_24const_host_device_scalarIT4_EES5_S9_PKT1_PKT2_SC_PT3_21rocsparse_index_base_b,comdat
	.globl	_ZN9rocsparseL22csrmvn_adaptive_kernelIlif21rocsparse_complex_numIfES2_S2_EEvbT_PKS3_PjPKT0_NS_24const_host_device_scalarIT4_EES5_S9_PKT1_PKT2_SC_PT3_21rocsparse_index_base_b ; -- Begin function _ZN9rocsparseL22csrmvn_adaptive_kernelIlif21rocsparse_complex_numIfES2_S2_EEvbT_PKS3_PjPKT0_NS_24const_host_device_scalarIT4_EES5_S9_PKT1_PKT2_SC_PT3_21rocsparse_index_base_b
	.p2align	8
	.type	_ZN9rocsparseL22csrmvn_adaptive_kernelIlif21rocsparse_complex_numIfES2_S2_EEvbT_PKS3_PjPKT0_NS_24const_host_device_scalarIT4_EES5_S9_PKT1_PKT2_SC_PT3_21rocsparse_index_base_b,@function
_ZN9rocsparseL22csrmvn_adaptive_kernelIlif21rocsparse_complex_numIfES2_S2_EEvbT_PKS3_PjPKT0_NS_24const_host_device_scalarIT4_EES5_S9_PKT1_PKT2_SC_PT3_21rocsparse_index_base_b: ; @_ZN9rocsparseL22csrmvn_adaptive_kernelIlif21rocsparse_complex_numIfES2_S2_EEvbT_PKS3_PjPKT0_NS_24const_host_device_scalarIT4_EES5_S9_PKT1_PKT2_SC_PT3_21rocsparse_index_base_b
; %bb.0:
	s_clause 0x2
	s_load_b64 s[34:35], s[0:1], 0x60
	s_load_b64 s[2:3], s[0:1], 0x28
	s_load_b64 s[4:5], s[0:1], 0x50
	s_add_nc_u64 s[6:7], s[0:1], 40
	s_wait_kmcnt 0x0
	s_bitcmp1_b32 s35, 0
	s_cselect_b32 s2, s6, s2
	s_cselect_b32 s3, s7, s3
	s_delay_alu instid0(SALU_CYCLE_1)
	v_dual_mov_b32 v1, s2 :: v_dual_mov_b32 v2, s3
	s_add_nc_u64 s[2:3], s[0:1], 0x50
	s_wait_alu 0xfffe
	s_cselect_b32 s2, s2, s4
	s_cselect_b32 s3, s3, s5
	flat_load_b64 v[1:2], v[1:2]
	s_wait_alu 0xfffe
	v_dual_mov_b32 v3, s2 :: v_dual_mov_b32 v4, s3
	flat_load_b64 v[5:6], v[3:4]
	s_wait_loadcnt_dscnt 0x101
	v_cmp_eq_f32_e32 vcc_lo, 0, v1
	v_cmp_eq_f32_e64 s2, 0, v2
	s_and_b32 s4, vcc_lo, s2
	s_mov_b32 s2, -1
	s_and_saveexec_b32 s3, s4
	s_cbranch_execz .LBB85_2
; %bb.1:
	s_wait_loadcnt_dscnt 0x0
	v_cmp_neq_f32_e32 vcc_lo, 1.0, v5
	v_cmp_neq_f32_e64 s2, 0, v6
	s_wait_alu 0xfffe
	s_or_b32 s2, vcc_lo, s2
	s_wait_alu 0xfffe
	s_or_not1_b32 s2, s2, exec_lo
.LBB85_2:
	s_wait_alu 0xfffe
	s_or_b32 exec_lo, exec_lo, s3
	s_and_saveexec_b32 s3, s2
	s_cbranch_execz .LBB85_115
; %bb.3:
	s_clause 0x1
	s_load_b64 s[2:3], s[0:1], 0x10
	s_load_b64 s[6:7], s[0:1], 0x20
	s_mov_b32 s38, ttmp9
	s_ashr_i32 s39, ttmp9, 31
	s_delay_alu instid0(SALU_CYCLE_1)
	s_lshl_b64 s[4:5], s[38:39], 3
	s_lshl_b64 s[40:41], s[38:39], 2
	s_wait_kmcnt 0x0
	s_add_nc_u64 s[2:3], s[2:3], s[4:5]
	s_load_b128 s[20:23], s[2:3], 0x0
	s_clause 0x1
	s_load_b256 s[12:19], s[0:1], 0x30
	s_load_b64 s[24:25], s[0:1], 0x58
	s_add_nc_u64 s[2:3], s[6:7], s[40:41]
	s_wait_kmcnt 0x0
	s_lshl_b64 s[36:37], s[20:21], 3
	s_delay_alu instid0(SALU_CYCLE_1)
	s_add_nc_u64 s[28:29], s[12:13], s[36:37]
	s_load_b32 s26, s[2:3], 0x0
	s_load_b64 s[30:31], s[28:29], 0x0
	s_sub_co_i32 s3, s22, s20
	s_mov_b32 s2, -1
	s_wait_alu 0xfffe
	s_cmp_lt_i32 s3, 2
	s_cbranch_scc0 .LBB85_71
; %bb.4:
	s_cmp_lg_u32 s3, 1
	s_cselect_b32 s2, -1, 0
	s_wait_kmcnt 0x0
	s_cmp_lg_u32 s26, 0
	s_cselect_b32 s3, -1, 0
	s_wait_alu 0xfffe
	s_or_b32 s2, s2, s3
	s_wait_alu 0xfffe
	s_and_b32 vcc_lo, exec_lo, s2
	s_mov_b32 s2, -1
	s_cbranch_vccnz .LBB85_33
; %bb.5:
	v_cmp_le_i64_e64 s2, s[22:23], s[20:21]
	s_wait_alu 0xfffe
	s_and_b32 vcc_lo, exec_lo, s2
	s_cbranch_vccnz .LBB85_32
; %bb.6:
	v_sub_co_u32 v14, s2, v0, s34
	s_wait_loadcnt_dscnt 0x0
	v_cmp_neq_f32_e32 vcc_lo, 0, v5
	v_cmp_neq_f32_e64 s10, 0, v6
	v_dual_mov_b32 v13, 0 :: v_dual_mul_f32 v16, 0x80000000, v2
	s_wait_alu 0xf1ff
	v_sub_co_ci_u32_e64 v15, null, 0, 0, s2
	v_dual_mul_f32 v17, 0, v1 :: v_dual_lshlrev_b32 v18, 3, v0
	v_cmp_gt_u32_e64 s2, 0x80, v0
	v_cmp_gt_u32_e64 s3, 64, v0
	;; [unrolled: 1-line block ×7, first 2 shown]
	v_cmp_eq_u32_e64 s9, 0, v0
	s_mov_b32 s35, 0
	s_or_b32 s27, vcc_lo, s10
	s_mov_b64 s[42:43], s[20:21]
	s_branch .LBB85_9
.LBB85_7:                               ;   in Loop: Header=BB85_9 Depth=1
	s_or_b32 exec_lo, exec_lo, s39
	s_wait_dscnt 0x0
	global_store_b64 v13, v[3:4], s[10:11]
.LBB85_8:                               ;   in Loop: Header=BB85_9 Depth=1
	s_or_b32 exec_lo, exec_lo, s33
	s_add_nc_u64 s[42:43], s[42:43], 1
	s_wait_alu 0xfffe
	v_cmp_ge_i64_e64 s10, s[42:43], s[22:23]
	s_and_b32 vcc_lo, exec_lo, s10
	s_wait_alu 0xfffe
	s_cbranch_vccnz .LBB85_32
.LBB85_9:                               ; =>This Loop Header: Depth=1
                                        ;     Child Loop BB85_11 Depth 2
	s_lshl_b64 s[44:45], s[42:43], 3
	v_dual_mov_b32 v8, 0 :: v_dual_mov_b32 v7, 0
	s_add_nc_u64 s[10:11], s[12:13], s[44:45]
	s_load_b128 s[48:51], s[10:11], 0x0
	s_mov_b32 s11, exec_lo
	s_wait_kmcnt 0x0
	v_add_co_u32 v3, vcc_lo, s48, v14
	s_wait_alu 0xfffd
	v_add_co_ci_u32_e64 v4, null, s49, v15, vcc_lo
	s_sub_nc_u64 s[46:47], s[50:51], s[34:35]
	s_wait_alu 0xfffe
	v_cmpx_gt_i64_e64 s[46:47], v[3:4]
	s_cbranch_execz .LBB85_13
; %bb.10:                               ;   in Loop: Header=BB85_9 Depth=1
	v_lshlrev_b64_e32 v[11:12], 2, v[3:4]
	v_mov_b32_e32 v8, 0
	s_mov_b32 s33, 0
	s_delay_alu instid0(VALU_DEP_1) | instskip(NEXT) | instid1(VALU_DEP_3)
	v_mov_b32_e32 v7, v8
	v_add_co_u32 v9, vcc_lo, s16, v11
	s_wait_alu 0xfffd
	v_add_co_ci_u32_e64 v10, null, s17, v12, vcc_lo
	v_add_co_u32 v11, vcc_lo, s14, v11
	s_wait_alu 0xfffd
	v_add_co_ci_u32_e64 v12, null, s15, v12, vcc_lo
.LBB85_11:                              ;   Parent Loop BB85_9 Depth=1
                                        ; =>  This Inner Loop Header: Depth=2
	global_load_b32 v19, v[11:12], off
	global_load_b32 v21, v[9:10], off
	s_wait_loadcnt 0x1
	v_subrev_nc_u32_e32 v19, s34, v19
	s_wait_loadcnt 0x0
	v_fma_f32 v22, v1, v21, v16
	v_fma_f32 v21, v2, v21, v17
	s_delay_alu instid0(VALU_DEP_3) | instskip(NEXT) | instid1(VALU_DEP_1)
	v_ashrrev_i32_e32 v20, 31, v19
	v_lshlrev_b64_e32 v[19:20], 3, v[19:20]
	s_delay_alu instid0(VALU_DEP_1) | instskip(SKIP_1) | instid1(VALU_DEP_2)
	v_add_co_u32 v19, vcc_lo, s18, v19
	s_wait_alu 0xfffd
	v_add_co_ci_u32_e64 v20, null, s19, v20, vcc_lo
	v_add_co_u32 v3, vcc_lo, 0x100, v3
	s_wait_alu 0xfffd
	v_add_co_ci_u32_e64 v4, null, 0, v4, vcc_lo
	global_load_b64 v[19:20], v[19:20], off
	v_add_co_u32 v9, vcc_lo, 0x400, v9
	v_cmp_le_i64_e64 s10, s[46:47], v[3:4]
	s_wait_alu 0xfffd
	v_add_co_ci_u32_e64 v10, null, 0, v10, vcc_lo
	v_add_co_u32 v11, vcc_lo, 0x400, v11
	s_wait_alu 0xfffd
	v_add_co_ci_u32_e64 v12, null, 0, v12, vcc_lo
	s_or_b32 s33, s10, s33
	s_wait_loadcnt 0x0
	v_fmac_f32_e32 v7, v22, v19
	v_fmac_f32_e32 v8, v21, v19
	s_delay_alu instid0(VALU_DEP_2) | instskip(NEXT) | instid1(VALU_DEP_2)
	v_fma_f32 v7, -v21, v20, v7
	v_fmac_f32_e32 v8, v22, v20
	s_and_not1_b32 exec_lo, exec_lo, s33
	s_cbranch_execnz .LBB85_11
; %bb.12:                               ;   in Loop: Header=BB85_9 Depth=1
	s_or_b32 exec_lo, exec_lo, s33
.LBB85_13:                              ;   in Loop: Header=BB85_9 Depth=1
	s_delay_alu instid0(SALU_CYCLE_1)
	s_or_b32 exec_lo, exec_lo, s11
	ds_store_b64 v18, v[7:8]
	s_wait_dscnt 0x0
	s_barrier_signal -1
	s_barrier_wait -1
	global_inv scope:SCOPE_SE
	s_and_saveexec_b32 s10, s2
	s_cbranch_execz .LBB85_15
; %bb.14:                               ;   in Loop: Header=BB85_9 Depth=1
	ds_load_2addr_stride64_b64 v[7:10], v18 offset1:2
	s_wait_dscnt 0x0
	v_dual_add_f32 v3, v9, v7 :: v_dual_add_f32 v4, v10, v8
	ds_store_b64 v18, v[3:4]
.LBB85_15:                              ;   in Loop: Header=BB85_9 Depth=1
	s_or_b32 exec_lo, exec_lo, s10
	s_wait_loadcnt_dscnt 0x0
	s_barrier_signal -1
	s_barrier_wait -1
	global_inv scope:SCOPE_SE
	s_and_saveexec_b32 s10, s3
	s_cbranch_execz .LBB85_17
; %bb.16:                               ;   in Loop: Header=BB85_9 Depth=1
	ds_load_2addr_stride64_b64 v[7:10], v18 offset1:1
	s_wait_dscnt 0x0
	v_dual_add_f32 v3, v9, v7 :: v_dual_add_f32 v4, v10, v8
	ds_store_b64 v18, v[3:4]
.LBB85_17:                              ;   in Loop: Header=BB85_9 Depth=1
	s_or_b32 exec_lo, exec_lo, s10
	s_wait_loadcnt_dscnt 0x0
	s_barrier_signal -1
	s_barrier_wait -1
	global_inv scope:SCOPE_SE
	s_and_saveexec_b32 s10, s4
	s_cbranch_execz .LBB85_19
; %bb.18:                               ;   in Loop: Header=BB85_9 Depth=1
	ds_load_2addr_b64 v[7:10], v18 offset1:32
	s_wait_dscnt 0x0
	v_dual_add_f32 v3, v9, v7 :: v_dual_add_f32 v4, v10, v8
	ds_store_b64 v18, v[3:4]
.LBB85_19:                              ;   in Loop: Header=BB85_9 Depth=1
	s_or_b32 exec_lo, exec_lo, s10
	s_wait_loadcnt_dscnt 0x0
	s_barrier_signal -1
	s_barrier_wait -1
	global_inv scope:SCOPE_SE
	s_and_saveexec_b32 s10, s5
	s_cbranch_execz .LBB85_21
; %bb.20:                               ;   in Loop: Header=BB85_9 Depth=1
	ds_load_2addr_b64 v[7:10], v18 offset1:16
	s_wait_dscnt 0x0
	v_dual_add_f32 v3, v9, v7 :: v_dual_add_f32 v4, v10, v8
	ds_store_b64 v18, v[3:4]
.LBB85_21:                              ;   in Loop: Header=BB85_9 Depth=1
	;; [unrolled: 13-line block ×6, first 2 shown]
	s_or_b32 exec_lo, exec_lo, s10
	s_wait_loadcnt_dscnt 0x0
	s_barrier_signal -1
	s_barrier_wait -1
	global_inv scope:SCOPE_SE
	s_and_saveexec_b32 s33, s9
	s_cbranch_execz .LBB85_8
; %bb.30:                               ;   in Loop: Header=BB85_9 Depth=1
	ds_load_b64 v[3:4], v13
	s_add_nc_u64 s[10:11], s[24:25], s[44:45]
	s_and_saveexec_b32 s39, s27
	s_cbranch_execz .LBB85_7
; %bb.31:                               ;   in Loop: Header=BB85_9 Depth=1
	global_load_b64 v[7:8], v13, s[10:11]
	s_wait_loadcnt_dscnt 0x0
	v_fma_f32 v3, v5, v7, v3
	v_fmac_f32_e32 v4, v6, v7
	s_delay_alu instid0(VALU_DEP_2) | instskip(NEXT) | instid1(VALU_DEP_2)
	v_fma_f32 v3, -v6, v8, v3
	v_fmac_f32_e32 v4, v5, v8
	s_branch .LBB85_7
.LBB85_32:
	s_mov_b32 s2, 0
.LBB85_33:
	s_wait_alu 0xfffe
	s_and_not1_b32 vcc_lo, exec_lo, s2
	s_wait_alu 0xfffe
	s_cbranch_vccnz .LBB85_70
; %bb.34:
	s_load_b64 s[6:7], s[0:1], 0x18
	v_mov_b32_e32 v3, 0
	v_or_b32_e32 v4, s26, v0
	s_sub_co_i32 s8, s38, s26
	s_mov_b32 s35, 0
	s_delay_alu instid0(VALU_DEP_1)
	v_cmp_eq_u32_e32 vcc_lo, 0, v4
	v_mov_b32_e32 v4, 0
	s_wait_kmcnt 0x0
	s_add_nc_u64 s[4:5], s[6:7], s[40:41]
	global_load_b32 v13, v3, s[4:5]
	s_and_saveexec_b32 s2, vcc_lo
	s_cbranch_execz .LBB85_38
; %bb.35:
	s_wait_loadcnt_dscnt 0x100
	v_dual_mov_b32 v10, 0 :: v_dual_add_f32 v9, -1.0, v5
	s_add_nc_u64 s[10:11], s[24:25], s[36:37]
	s_mov_b32 s3, exec_lo
	s_wait_alu 0xfffe
	v_mbcnt_lo_u32_b32 v11, s3, 0
	global_load_b64 v[7:8], v10, s[10:11]
	s_mov_b32 s10, exec_lo
	s_wait_loadcnt 0x0
	s_wait_storecnt 0x0
	global_inv scope:SCOPE_DEV
	v_mul_f32_e64 v3, v8, -v6
	v_mul_f32_e32 v4, v9, v8
	v_cmpx_eq_u32_e32 0, v11
	s_cbranch_execz .LBB85_37
; %bb.36:
	s_bcnt1_i32_b32 s3, s3
	s_ashr_i32 s9, s8, 31
	s_wait_alu 0xfffe
	s_and_b32 s3, s3, 1
	s_lshl_b64 s[38:39], s[8:9], 2
	s_wait_alu 0xfffe
	v_mov_b32_e32 v8, s3
	s_add_nc_u64 s[38:39], s[6:7], s[38:39]
	global_atomic_xor_b32 v10, v8, s[38:39] scope:SCOPE_DEV
.LBB85_37:
	s_or_b32 exec_lo, exec_lo, s10
	v_fmac_f32_e32 v3, v9, v7
	v_fmac_f32_e32 v4, v6, v7
.LBB85_38:
	s_wait_alu 0xfffe
	s_or_b32 exec_lo, exec_lo, s2
	s_load_b64 s[2:3], s[28:29], 0x8
	s_ashr_i32 s27, s26, 31
	s_sub_nc_u64 s[38:39], s[30:31], s[34:35]
	s_wait_alu 0xfffe
	s_mul_u64 s[10:11], s[26:27], 0xc00
	s_delay_alu instid0(SALU_CYCLE_1) | instskip(NEXT) | instid1(SALU_CYCLE_1)
	s_add_nc_u64 s[10:11], s[38:39], s[10:11]
	v_add_co_u32 v7, s9, s10, v0
	s_delay_alu instid0(VALU_DEP_1)
	v_add_co_ci_u32_e64 v8, null, s11, 0, s9
	s_mov_b32 s9, exec_lo
	s_wait_kmcnt 0x0
	s_sub_nc_u64 s[2:3], s[2:3], s[34:35]
	s_wait_alu 0xfffe
	v_cmpx_gt_i64_e64 s[2:3], v[7:8]
	s_cbranch_execz .LBB85_42
; %bb.39:
	v_lshlrev_b64_e32 v[11:12], 2, v[7:8]
	s_add_nc_u64 s[10:11], s[10:11], 0xc00
	v_dual_mul_f32 v14, 0x80000000, v2 :: v_dual_mul_f32 v15, 0, v1
	s_wait_alu 0xfffe
	v_cmp_lt_i64_e64 s27, s[10:11], s[2:3]
	s_delay_alu instid0(VALU_DEP_3)
	v_add_co_u32 v9, vcc_lo, s16, v11
	s_wait_alu 0xfffd
	v_add_co_ci_u32_e64 v10, null, s17, v12, vcc_lo
	v_add_co_u32 v11, vcc_lo, s14, v11
	s_wait_alu 0xfffd
	v_add_co_ci_u32_e64 v12, null, s15, v12, vcc_lo
	s_and_b32 s27, s27, exec_lo
	s_cselect_b32 s11, s11, s3
	s_cselect_b32 s10, s10, s2
	s_mov_b32 s3, 0
.LBB85_40:                              ; =>This Inner Loop Header: Depth=1
	global_load_b32 v16, v[11:12], off
	global_load_b32 v18, v[9:10], off
	s_wait_loadcnt 0x1
	v_subrev_nc_u32_e32 v16, s34, v16
	s_wait_loadcnt 0x0
	v_fma_f32 v19, v1, v18, v14
	v_fma_f32 v18, v2, v18, v15
	s_delay_alu instid0(VALU_DEP_3) | instskip(NEXT) | instid1(VALU_DEP_1)
	v_ashrrev_i32_e32 v17, 31, v16
	v_lshlrev_b64_e32 v[16:17], 3, v[16:17]
	s_delay_alu instid0(VALU_DEP_1) | instskip(SKIP_1) | instid1(VALU_DEP_2)
	v_add_co_u32 v16, vcc_lo, s18, v16
	s_wait_alu 0xfffd
	v_add_co_ci_u32_e64 v17, null, s19, v17, vcc_lo
	v_add_co_u32 v7, vcc_lo, 0x100, v7
	s_wait_alu 0xfffd
	v_add_co_ci_u32_e64 v8, null, 0, v8, vcc_lo
	global_load_b64 v[16:17], v[16:17], off
	v_add_co_u32 v9, vcc_lo, 0x400, v9
	s_wait_alu 0xfffe
	v_cmp_le_i64_e64 s2, s[10:11], v[7:8]
	s_wait_alu 0xfffd
	v_add_co_ci_u32_e64 v10, null, 0, v10, vcc_lo
	v_add_co_u32 v11, vcc_lo, 0x400, v11
	s_wait_alu 0xfffd
	v_add_co_ci_u32_e64 v12, null, 0, v12, vcc_lo
	s_or_b32 s3, s2, s3
	s_wait_loadcnt 0x0
	v_fmac_f32_e32 v3, v19, v16
	v_fmac_f32_e32 v4, v18, v16
	s_delay_alu instid0(VALU_DEP_2) | instskip(NEXT) | instid1(VALU_DEP_2)
	v_fma_f32 v3, -v18, v17, v3
	v_fmac_f32_e32 v4, v19, v17
	s_wait_alu 0xfffe
	s_and_not1_b32 exec_lo, exec_lo, s3
	s_cbranch_execnz .LBB85_40
; %bb.41:
	s_or_b32 exec_lo, exec_lo, s3
.LBB85_42:
	s_delay_alu instid0(SALU_CYCLE_1)
	s_or_b32 exec_lo, exec_lo, s9
	v_lshlrev_b32_e32 v7, 3, v0
	s_mov_b32 s2, exec_lo
	ds_store_b64 v7, v[3:4]
	s_wait_storecnt 0x0
	s_wait_loadcnt_dscnt 0x0
	s_barrier_signal -1
	s_barrier_wait -1
	global_inv scope:SCOPE_SE
	v_cmpx_gt_u32_e32 0x80, v0
	s_cbranch_execz .LBB85_44
; %bb.43:
	ds_load_2addr_stride64_b64 v[8:11], v7 offset1:2
	s_wait_dscnt 0x0
	v_dual_add_f32 v3, v10, v8 :: v_dual_add_f32 v4, v11, v9
	ds_store_b64 v7, v[3:4]
.LBB85_44:
	s_wait_alu 0xfffe
	s_or_b32 exec_lo, exec_lo, s2
	s_delay_alu instid0(SALU_CYCLE_1)
	s_mov_b32 s2, exec_lo
	s_wait_loadcnt_dscnt 0x0
	s_barrier_signal -1
	s_barrier_wait -1
	global_inv scope:SCOPE_SE
	v_cmpx_gt_u32_e32 64, v0
	s_cbranch_execz .LBB85_46
; %bb.45:
	ds_load_2addr_stride64_b64 v[8:11], v7 offset1:1
	s_wait_dscnt 0x0
	v_dual_add_f32 v3, v10, v8 :: v_dual_add_f32 v4, v11, v9
	ds_store_b64 v7, v[3:4]
.LBB85_46:
	s_wait_alu 0xfffe
	s_or_b32 exec_lo, exec_lo, s2
	s_delay_alu instid0(SALU_CYCLE_1)
	s_mov_b32 s2, exec_lo
	s_wait_loadcnt_dscnt 0x0
	s_barrier_signal -1
	s_barrier_wait -1
	global_inv scope:SCOPE_SE
	v_cmpx_gt_u32_e32 32, v0
	s_cbranch_execz .LBB85_48
; %bb.47:
	ds_load_2addr_b64 v[8:11], v7 offset1:32
	s_wait_dscnt 0x0
	v_dual_add_f32 v3, v10, v8 :: v_dual_add_f32 v4, v11, v9
	ds_store_b64 v7, v[3:4]
.LBB85_48:
	s_wait_alu 0xfffe
	s_or_b32 exec_lo, exec_lo, s2
	s_delay_alu instid0(SALU_CYCLE_1)
	s_mov_b32 s2, exec_lo
	s_wait_loadcnt_dscnt 0x0
	s_barrier_signal -1
	s_barrier_wait -1
	global_inv scope:SCOPE_SE
	v_cmpx_gt_u32_e32 16, v0
	s_cbranch_execz .LBB85_50
; %bb.49:
	ds_load_2addr_b64 v[8:11], v7 offset1:16
	s_wait_dscnt 0x0
	v_dual_add_f32 v3, v10, v8 :: v_dual_add_f32 v4, v11, v9
	ds_store_b64 v7, v[3:4]
.LBB85_50:
	;; [unrolled: 16-line block ×5, first 2 shown]
	s_wait_alu 0xfffe
	s_or_b32 exec_lo, exec_lo, s2
	v_cmp_eq_u32_e32 vcc_lo, 0, v0
	s_wait_loadcnt_dscnt 0x0
	s_barrier_signal -1
	s_barrier_wait -1
	global_inv scope:SCOPE_SE
	s_and_saveexec_b32 s2, vcc_lo
	s_cbranch_execz .LBB85_58
; %bb.57:
	v_mov_b32_e32 v11, 0
	ds_load_2addr_b64 v[7:10], v11 offset1:1
	s_wait_dscnt 0x0
	v_dual_add_f32 v3, v9, v7 :: v_dual_add_f32 v4, v10, v8
	ds_store_b64 v11, v[3:4]
.LBB85_58:
	s_wait_alu 0xfffe
	s_or_b32 exec_lo, exec_lo, s2
	s_wait_loadcnt_dscnt 0x0
	s_barrier_signal -1
	s_barrier_wait -1
	global_inv scope:SCOPE_SE
	s_and_saveexec_b32 s10, vcc_lo
	s_cbranch_execz .LBB85_69
; %bb.59:
	s_cmp_eq_u32 s26, 0
	s_cbranch_scc1 .LBB85_65
; %bb.60:
	s_ashr_i32 s9, s8, 31
	v_mov_b32_e32 v3, 0
	s_wait_alu 0xfffe
	s_lshl_b64 s[2:3], s[8:9], 2
	s_wait_alu 0xfffe
	s_add_nc_u64 s[2:3], s[6:7], s[2:3]
	s_branch .LBB85_62
.LBB85_61:                              ;   in Loop: Header=BB85_62 Depth=1
	s_wait_alu 0xfffe
	s_or_b32 exec_lo, exec_lo, s6
	s_wait_loadcnt 0x0
	v_readfirstlane_b32 s6, v4
	s_wait_alu 0xf1ff
	s_delay_alu instid0(VALU_DEP_1)
	v_cmp_eq_u32_e32 vcc_lo, s6, v13
	s_cbranch_vccz .LBB85_64
.LBB85_62:                              ; =>This Inner Loop Header: Depth=1
	v_mbcnt_lo_u32_b32 v4, exec_lo, 0
	s_delay_alu instid0(VALU_DEP_1)
	v_cmp_eq_u32_e32 vcc_lo, 0, v4
                                        ; implicit-def: $vgpr4
	s_and_saveexec_b32 s6, vcc_lo
	s_cbranch_execz .LBB85_61
; %bb.63:                               ;   in Loop: Header=BB85_62 Depth=1
	global_load_b32 v4, v3, s[2:3] scope:SCOPE_DEV
	s_branch .LBB85_61
.LBB85_64:
	v_mov_b32_e32 v3, 0
	global_load_u16 v4, v3, s[4:5]
	s_wait_loadcnt 0x0
	v_xor_b32_e32 v4, 1, v4
	global_store_b16 v3, v4, s[4:5]
.LBB85_65:
	v_mov_b32_e32 v7, 0
	s_mov_b32 s4, exec_lo
	s_add_nc_u64 s[2:3], s[24:25], s[36:37]
	v_mbcnt_lo_u32_b32 v8, s4, 0
	s_mov_b32 s5, exec_lo
	ds_load_b64 v[3:4], v7
	v_cmpx_eq_u32_e32 0, v8
	s_cbranch_execz .LBB85_67
; %bb.66:
	s_bcnt1_i32_b32 s4, s4
	s_wait_alu 0xfffe
	v_cvt_f32_ubyte0_e32 v8, s4
	s_wait_dscnt 0x0
	s_delay_alu instid0(VALU_DEP_1)
	v_mul_f32_e32 v3, v3, v8
	global_atomic_add_f32 v7, v3, s[2:3] scope:SCOPE_DEV
.LBB85_67:
	s_wait_alu 0xfffe
	s_or_b32 exec_lo, exec_lo, s5
	s_delay_alu instid0(SALU_CYCLE_1) | instskip(SKIP_3) | instid1(VALU_DEP_1)
	s_mov_b32 s4, exec_lo
	s_wait_dscnt 0x0
	s_wait_alu 0xfffe
	v_mbcnt_lo_u32_b32 v3, s4, 0
	v_cmp_eq_u32_e32 vcc_lo, 0, v3
	s_and_b32 s5, exec_lo, vcc_lo
	s_wait_alu 0xfffe
	s_mov_b32 exec_lo, s5
	s_cbranch_execz .LBB85_69
; %bb.68:
	s_bcnt1_i32_b32 s4, s4
	s_wait_alu 0xfffe
	v_cvt_f32_ubyte0_e32 v3, s4
	s_delay_alu instid0(VALU_DEP_1)
	v_dual_mul_f32 v3, v4, v3 :: v_dual_mov_b32 v4, 0
	global_atomic_add_f32 v4, v3, s[2:3] offset:4 scope:SCOPE_DEV
.LBB85_69:
	s_wait_alu 0xfffe
	s_or_b32 exec_lo, exec_lo, s10
.LBB85_70:
	s_mov_b32 s2, 0
.LBB85_71:
	s_wait_alu 0xfffe
	s_and_not1_b32 vcc_lo, exec_lo, s2
	s_wait_alu 0xfffe
	s_cbranch_vccnz .LBB85_115
; %bb.72:
	s_load_b64 s[0:1], s[0:1], 0x8
	v_sub_co_u32 v3, s2, v0, s34
	s_wait_alu 0xf1ff
	v_sub_co_ci_u32_e64 v4, null, 0, 0, s2
	s_mov_b32 s35, 0
	s_wait_kmcnt 0x0
	v_add_co_u32 v3, vcc_lo, s30, v3
	s_wait_alu 0xfffd
	v_add_co_ci_u32_e64 v4, null, s31, v4, vcc_lo
	s_delay_alu instid0(VALU_DEP_2) | instskip(SKIP_1) | instid1(VALU_DEP_2)
	v_add_co_u32 v7, vcc_lo, 0x300, v3
	s_wait_alu 0xfffd
	v_add_co_ci_u32_e64 v8, null, 0, v4, vcc_lo
	s_delay_alu instid0(VALU_DEP_1)
	v_cmp_le_i64_e32 vcc_lo, s[0:1], v[7:8]
	s_and_saveexec_b32 s0, vcc_lo
	s_wait_alu 0xfffe
	s_xor_b32 s1, exec_lo, s0
	s_cbranch_execz .LBB85_77
; %bb.73:
	s_lshl_b64 s[2:3], s[22:23], 3
	s_mov_b32 s4, exec_lo
	s_wait_alu 0xfffe
	s_add_nc_u64 s[2:3], s[12:13], s[2:3]
	s_load_b64 s[2:3], s[2:3], 0x0
	s_wait_kmcnt 0x0
	s_sub_nc_u64 s[2:3], s[2:3], s[34:35]
	s_wait_alu 0xfffe
	v_cmpx_gt_i64_e64 s[2:3], v[3:4]
	s_cbranch_execz .LBB85_76
; %bb.74:
	v_lshlrev_b64_e32 v[9:10], 2, v[3:4]
	v_dual_mul_f32 v12, 0x80000000, v2 :: v_dual_lshlrev_b32 v11, 3, v0
	v_mul_f32_e32 v13, 0, v1
	s_mov_b32 s5, 0
	s_delay_alu instid0(VALU_DEP_3)
	v_add_co_u32 v7, vcc_lo, s16, v9
	s_wait_alu 0xfffd
	v_add_co_ci_u32_e64 v8, null, s17, v10, vcc_lo
	v_add_co_u32 v9, vcc_lo, s14, v9
	s_wait_alu 0xfffd
	v_add_co_ci_u32_e64 v10, null, s15, v10, vcc_lo
.LBB85_75:                              ; =>This Inner Loop Header: Depth=1
	global_load_b32 v14, v[9:10], off
	global_load_b32 v16, v[7:8], off
	s_wait_loadcnt 0x1
	v_subrev_nc_u32_e32 v14, s34, v14
	s_wait_loadcnt 0x0
	v_fma_f32 v18, v2, v16, v13
	v_fma_f32 v19, v1, v16, v12
	s_delay_alu instid0(VALU_DEP_3) | instskip(NEXT) | instid1(VALU_DEP_1)
	v_ashrrev_i32_e32 v15, 31, v14
	v_lshlrev_b64_e32 v[14:15], 3, v[14:15]
	s_delay_alu instid0(VALU_DEP_1) | instskip(SKIP_1) | instid1(VALU_DEP_2)
	v_add_co_u32 v14, vcc_lo, s18, v14
	s_wait_alu 0xfffd
	v_add_co_ci_u32_e64 v15, null, s19, v15, vcc_lo
	v_add_co_u32 v3, vcc_lo, 0x100, v3
	s_wait_alu 0xfffd
	v_add_co_ci_u32_e64 v4, null, 0, v4, vcc_lo
	global_load_b64 v[14:15], v[14:15], off
	v_add_co_u32 v7, vcc_lo, 0x400, v7
	v_cmp_le_i64_e64 s0, s[2:3], v[3:4]
	s_wait_alu 0xfffd
	v_add_co_ci_u32_e64 v8, null, 0, v8, vcc_lo
	v_add_co_u32 v9, vcc_lo, 0x400, v9
	s_wait_alu 0xfffd
	v_add_co_ci_u32_e64 v10, null, 0, v10, vcc_lo
	s_wait_alu 0xfffe
	s_or_b32 s5, s0, s5
	s_wait_loadcnt 0x0
	v_mul_f32_e64 v16, v15, -v18
	v_mul_f32_e32 v17, v19, v15
	s_delay_alu instid0(VALU_DEP_2) | instskip(NEXT) | instid1(VALU_DEP_2)
	v_fmac_f32_e32 v16, v19, v14
	v_fmac_f32_e32 v17, v18, v14
	ds_store_b64 v11, v[16:17]
	v_add_nc_u32_e32 v11, 0x800, v11
	s_wait_alu 0xfffe
	s_and_not1_b32 exec_lo, exec_lo, s5
	s_cbranch_execnz .LBB85_75
.LBB85_76:
	s_or_b32 exec_lo, exec_lo, s4
                                        ; implicit-def: $vgpr1_vgpr2
                                        ; implicit-def: $vgpr3_vgpr4
.LBB85_77:
	s_wait_alu 0xfffe
	s_or_saveexec_b32 s0, s1
	v_lshlrev_b32_e32 v11, 3, v0
	s_wait_alu 0xfffe
	s_xor_b32 exec_lo, exec_lo, s0
	s_cbranch_execz .LBB85_79
; %bb.78:
	v_lshlrev_b64_e32 v[3:4], 2, v[3:4]
	v_dual_mul_f32 v20, 0x80000000, v2 :: v_dual_mul_f32 v21, 0, v1
	s_delay_alu instid0(VALU_DEP_2) | instskip(SKIP_1) | instid1(VALU_DEP_3)
	v_add_co_u32 v7, vcc_lo, s14, v3
	s_wait_alu 0xfffd
	v_add_co_ci_u32_e64 v8, null, s15, v4, vcc_lo
	v_add_co_u32 v3, vcc_lo, s16, v3
	s_wait_alu 0xfffd
	v_add_co_ci_u32_e64 v4, null, s17, v4, vcc_lo
	s_clause 0x3
	global_load_b32 v9, v[7:8], off
	global_load_b32 v10, v[7:8], off offset:1024
	global_load_b32 v12, v[7:8], off offset:2048
	;; [unrolled: 1-line block ×3, first 2 shown]
	s_clause 0x3
	global_load_b32 v16, v[3:4], off
	global_load_b32 v17, v[3:4], off offset:1024
	global_load_b32 v18, v[3:4], off offset:2048
	global_load_b32 v19, v[3:4], off offset:3072
	s_wait_loadcnt 0x7
	v_subrev_nc_u32_e32 v7, s34, v9
	s_wait_loadcnt 0x6
	v_subrev_nc_u32_e32 v9, s34, v10
	;; [unrolled: 2-line block ×4, first 2 shown]
	s_wait_loadcnt 0x2
	v_fma_f32 v24, v1, v17, v20
	v_ashrrev_i32_e32 v8, 31, v7
	v_ashrrev_i32_e32 v10, 31, v9
	;; [unrolled: 1-line block ×4, first 2 shown]
	v_fma_f32 v22, v1, v16, v20
	v_lshlrev_b64_e32 v[7:8], 3, v[7:8]
	v_lshlrev_b64_e32 v[3:4], 3, v[9:10]
	;; [unrolled: 1-line block ×4, first 2 shown]
	v_fma_f32 v23, v2, v16, v21
	v_fma_f32 v25, v2, v17, v21
	v_add_co_u32 v7, vcc_lo, s18, v7
	s_wait_alu 0xfffd
	v_add_co_ci_u32_e64 v8, null, s19, v8, vcc_lo
	v_add_co_u32 v3, vcc_lo, s18, v3
	s_wait_alu 0xfffd
	v_add_co_ci_u32_e64 v4, null, s19, v4, vcc_lo
	;; [unrolled: 3-line block ×4, first 2 shown]
	s_clause 0x3
	global_load_b64 v[7:8], v[7:8], off
	global_load_b64 v[3:4], v[3:4], off
	;; [unrolled: 1-line block ×4, first 2 shown]
	s_wait_loadcnt 0x5
	v_fma_f32 v26, v1, v18, v20
	v_fma_f32 v27, v2, v18, v21
	s_wait_loadcnt 0x2
	v_dual_fmac_f32 v20, v1, v19 :: v_dual_mul_f32 v15, v24, v4
	v_fmac_f32_e32 v21, v2, v19
	v_mul_f32_e64 v1, v8, -v23
	s_wait_loadcnt 0x0
	s_delay_alu instid0(VALU_DEP_3) | instskip(SKIP_2) | instid1(VALU_DEP_3)
	v_dual_mul_f32 v2, v22, v8 :: v_dual_mul_f32 v19, v20, v13
	v_mul_f32_e64 v14, v4, -v25
	v_mul_f32_e64 v16, v10, -v27
	v_dual_mul_f32 v17, v26, v10 :: v_dual_fmac_f32 v2, v23, v7
	v_mul_f32_e64 v18, v13, -v21
	v_fmac_f32_e32 v1, v22, v7
	s_delay_alu instid0(VALU_DEP_3) | instskip(SKIP_1) | instid1(VALU_DEP_4)
	v_dual_fmac_f32 v14, v24, v3 :: v_dual_fmac_f32 v17, v27, v9
	v_dual_fmac_f32 v15, v25, v3 :: v_dual_fmac_f32 v16, v26, v9
	v_fmac_f32_e32 v18, v20, v12
	v_fmac_f32_e32 v19, v21, v12
	ds_store_2addr_stride64_b64 v11, v[1:2], v[14:15] offset1:4
	ds_store_2addr_stride64_b64 v11, v[16:17], v[18:19] offset0:8 offset1:12
.LBB85_79:
	s_or_b32 exec_lo, exec_lo, s0
	s_cmp_lt_i32 s26, 2
	s_mov_b32 s0, -1
	s_wait_storecnt 0x0
	s_wait_loadcnt_dscnt 0x0
	s_barrier_signal -1
	s_barrier_wait -1
	global_inv scope:SCOPE_SE
	s_cbranch_scc0 .LBB85_90
; %bb.80:
	v_add_co_u32 v7, s0, s20, v0
	s_wait_alu 0xf1fe
	v_add_co_ci_u32_e64 v8, null, s21, 0, s0
	s_mov_b32 s1, exec_lo
	v_cmpx_gt_i64_e64 s[22:23], v[7:8]
	s_cbranch_execz .LBB85_89
; %bb.81:
	v_cmp_neq_f32_e32 vcc_lo, 0, v5
	v_cmp_neq_f32_e64 s0, 0, v6
	s_lshl_b32 s4, s30, 3
	s_mov_b32 s2, 0
	s_wait_alu 0xfffe
	s_sub_co_i32 s4, 0, s4
	s_or_b32 s3, vcc_lo, s0
	s_branch .LBB85_83
.LBB85_82:                              ;   in Loop: Header=BB85_83 Depth=1
	s_wait_alu 0xfffe
	s_or_b32 exec_lo, exec_lo, s0
	v_add_co_u32 v7, vcc_lo, 0x100, v7
	s_wait_alu 0xfffd
	v_add_co_ci_u32_e64 v8, null, 0, v8, vcc_lo
	v_add_co_u32 v9, s0, s24, v9
	s_wait_alu 0xf1ff
	v_add_co_ci_u32_e64 v10, null, s25, v10, s0
	s_delay_alu instid0(VALU_DEP_3)
	v_cmp_le_i64_e32 vcc_lo, s[22:23], v[7:8]
	global_store_b64 v[9:10], v[2:3], off
	s_or_b32 s2, vcc_lo, s2
	s_wait_alu 0xfffe
	s_and_not1_b32 exec_lo, exec_lo, s2
	s_cbranch_execz .LBB85_89
.LBB85_83:                              ; =>This Loop Header: Depth=1
                                        ;     Child Loop BB85_85 Depth 2
	v_lshlrev_b64_e32 v[9:10], 3, v[7:8]
	s_mov_b32 s0, exec_lo
	s_delay_alu instid0(VALU_DEP_1) | instskip(SKIP_1) | instid1(VALU_DEP_2)
	v_add_co_u32 v1, vcc_lo, s12, v9
	s_wait_alu 0xfffd
	v_add_co_ci_u32_e64 v2, null, s13, v10, vcc_lo
	global_load_b128 v[1:4], v[1:2], off
	s_wait_loadcnt 0x0
	v_mov_b32_e32 v2, 0
	v_subrev_nc_u32_e32 v4, s30, v1
	v_subrev_nc_u32_e32 v12, s30, v3
	v_mov_b32_e32 v3, 0
	s_delay_alu instid0(VALU_DEP_2)
	v_cmpx_lt_i32_e64 v4, v12
	s_cbranch_execz .LBB85_87
; %bb.84:                               ;   in Loop: Header=BB85_83 Depth=1
	v_mov_b32_e32 v3, 0
	s_wait_alu 0xfffe
	v_lshl_add_u32 v1, v1, 3, s4
	s_mov_b32 s5, 0
	s_delay_alu instid0(VALU_DEP_2)
	v_mov_b32_e32 v2, v3
.LBB85_85:                              ;   Parent Loop BB85_83 Depth=1
                                        ; =>  This Inner Loop Header: Depth=2
	ds_load_b64 v[13:14], v1
	v_add_nc_u32_e32 v4, 1, v4
	v_add_nc_u32_e32 v1, 8, v1
	s_wait_dscnt 0x0
	v_add_f32_e32 v3, v3, v14
	s_delay_alu instid0(VALU_DEP_3)
	v_cmp_ge_i32_e32 vcc_lo, v4, v12
	v_add_f32_e32 v2, v2, v13
	s_wait_alu 0xfffe
	s_or_b32 s5, vcc_lo, s5
	s_wait_alu 0xfffe
	s_and_not1_b32 exec_lo, exec_lo, s5
	s_cbranch_execnz .LBB85_85
; %bb.86:                               ;   in Loop: Header=BB85_83 Depth=1
	s_or_b32 exec_lo, exec_lo, s5
.LBB85_87:                              ;   in Loop: Header=BB85_83 Depth=1
	s_wait_alu 0xfffe
	s_or_b32 exec_lo, exec_lo, s0
	s_and_saveexec_b32 s0, s3
	s_cbranch_execz .LBB85_82
; %bb.88:                               ;   in Loop: Header=BB85_83 Depth=1
	v_add_co_u32 v12, vcc_lo, s24, v9
	s_wait_alu 0xfffd
	v_add_co_ci_u32_e64 v13, null, s25, v10, vcc_lo
	global_load_b64 v[12:13], v[12:13], off
	s_wait_loadcnt 0x0
	v_fmac_f32_e32 v2, v5, v12
	v_fmac_f32_e32 v3, v6, v12
	s_delay_alu instid0(VALU_DEP_2) | instskip(NEXT) | instid1(VALU_DEP_2)
	v_fma_f32 v2, -v6, v13, v2
	v_fmac_f32_e32 v3, v5, v13
	s_branch .LBB85_82
.LBB85_89:
	s_wait_alu 0xfffe
	s_or_b32 exec_lo, exec_lo, s1
	s_mov_b32 s0, 0
.LBB85_90:
	s_wait_alu 0xfffe
	s_and_not1_b32 vcc_lo, exec_lo, s0
	s_wait_alu 0xfffe
	s_cbranch_vccnz .LBB85_115
; %bb.91:
	s_clz_i32_u32 s0, s26
	s_mov_b32 s1, exec_lo
	s_wait_alu 0xfffe
	s_xor_b32 s0, s0, 31
	s_wait_alu 0xfffe
	v_lshrrev_b32_e32 v7, s0, v0
	s_delay_alu instid0(VALU_DEP_1)
	v_add_co_u32 v1, s0, s20, v7
	s_wait_alu 0xf1ff
	v_add_co_ci_u32_e64 v2, null, s21, 0, s0
	s_add_co_i32 s0, s26, -1
	s_wait_alu 0xfffe
	v_dual_mov_b32 v3, 0 :: v_dual_and_b32 v0, s0, v0
	v_cmp_le_i64_e32 vcc_lo, s[22:23], v[1:2]
	s_delay_alu instid0(VALU_DEP_2)
	v_mov_b32_e32 v4, v3
	v_cmpx_gt_i64_e64 s[22:23], v[1:2]
	s_cbranch_execz .LBB85_97
; %bb.92:
	v_lshlrev_b32_e32 v3, 3, v7
	s_mov_b32 s2, exec_lo
	s_clause 0x1
	global_load_b32 v4, v3, s[28:29]
	global_load_b32 v3, v3, s[28:29] offset:8
	s_wait_loadcnt 0x1
	v_subrev_nc_u32_e32 v4, s30, v4
	s_wait_loadcnt 0x0
	v_subrev_nc_u32_e32 v7, s30, v3
	s_delay_alu instid0(VALU_DEP_2) | instskip(SKIP_1) | instid1(VALU_DEP_2)
	v_dual_mov_b32 v3, 0 :: v_dual_add_nc_u32 v8, v0, v4
	v_mov_b32_e32 v4, 0
	v_cmpx_lt_i32_e64 v8, v7
	s_cbranch_execz .LBB85_96
; %bb.93:
	v_dual_mov_b32 v4, 0 :: v_dual_lshlrev_b32 v9, 3, v8
	s_lshl_b32 s4, s26, 3
	s_mov_b32 s3, 0
	s_delay_alu instid0(VALU_DEP_1)
	v_mov_b32_e32 v3, v4
.LBB85_94:                              ; =>This Inner Loop Header: Depth=1
	ds_load_b64 v[12:13], v9
	v_add_nc_u32_e32 v8, s26, v8
	s_wait_alu 0xfffe
	v_add_nc_u32_e32 v9, s4, v9
	s_delay_alu instid0(VALU_DEP_2)
	v_cmp_ge_i32_e64 s0, v8, v7
	s_or_b32 s3, s0, s3
	s_wait_dscnt 0x0
	v_dual_add_f32 v3, v3, v12 :: v_dual_add_f32 v4, v4, v13
	s_wait_alu 0xfffe
	s_and_not1_b32 exec_lo, exec_lo, s3
	s_cbranch_execnz .LBB85_94
; %bb.95:
	s_or_b32 exec_lo, exec_lo, s3
.LBB85_96:
	s_wait_alu 0xfffe
	s_or_b32 exec_lo, exec_lo, s2
.LBB85_97:
	s_delay_alu instid0(SALU_CYCLE_1)
	s_or_b32 exec_lo, exec_lo, s1
	s_cmp_lt_u32 s26, 0x81
	s_wait_loadcnt 0x0
	s_wait_storecnt 0x0
	s_barrier_signal -1
	s_barrier_wait -1
	global_inv scope:SCOPE_SE
	ds_store_b64 v11, v[3:4]
	s_wait_loadcnt_dscnt 0x0
	s_barrier_signal -1
	s_barrier_wait -1
	global_inv scope:SCOPE_SE
	s_cbranch_scc1 .LBB85_99
; %bb.98:
	ds_load_b64 v[7:8], v11 offset:1024
	s_wait_loadcnt_dscnt 0x0
	s_barrier_signal -1
	s_barrier_wait -1
	global_inv scope:SCOPE_SE
	v_dual_add_f32 v3, v3, v7 :: v_dual_add_f32 v4, v4, v8
	ds_store_b64 v11, v[3:4]
.LBB85_99:
	s_cmp_lt_u32 s26, 0x41
	s_wait_loadcnt_dscnt 0x0
	s_barrier_signal -1
	s_barrier_wait -1
	global_inv scope:SCOPE_SE
	s_cbranch_scc1 .LBB85_101
; %bb.100:
	ds_load_b64 v[7:8], v11 offset:512
	s_wait_loadcnt_dscnt 0x0
	s_barrier_signal -1
	s_barrier_wait -1
	global_inv scope:SCOPE_SE
	v_dual_add_f32 v3, v3, v7 :: v_dual_add_f32 v4, v4, v8
	ds_store_b64 v11, v[3:4]
.LBB85_101:
	s_cmp_lt_u32 s26, 33
	;; [unrolled: 15-line block ×5, first 2 shown]
	s_wait_loadcnt_dscnt 0x0
	s_barrier_signal -1
	s_barrier_wait -1
	global_inv scope:SCOPE_SE
	s_cbranch_scc1 .LBB85_109
; %bb.108:
	ds_load_b64 v[7:8], v11 offset:32
	s_wait_loadcnt_dscnt 0x0
	s_barrier_signal -1
	s_barrier_wait -1
	global_inv scope:SCOPE_SE
	v_dual_add_f32 v3, v3, v7 :: v_dual_add_f32 v4, v4, v8
	ds_store_b64 v11, v[3:4]
.LBB85_109:
	s_cmp_eq_u32 s26, 2
	s_wait_loadcnt_dscnt 0x0
	s_barrier_signal -1
	s_barrier_wait -1
	global_inv scope:SCOPE_SE
	s_cbranch_scc1 .LBB85_111
; %bb.110:
	ds_load_b64 v[7:8], v11 offset:16
	s_wait_loadcnt_dscnt 0x0
	s_barrier_signal -1
	s_barrier_wait -1
	global_inv scope:SCOPE_SE
	v_dual_add_f32 v3, v3, v7 :: v_dual_add_f32 v4, v4, v8
	ds_store_b64 v11, v[3:4]
.LBB85_111:
	s_wait_loadcnt_dscnt 0x0
	s_barrier_signal -1
	s_barrier_wait -1
	global_inv scope:SCOPE_SE
	ds_load_b64 v[7:8], v11 offset:8
	v_cmp_eq_u32_e64 s0, 0, v0
	s_xor_b32 s1, vcc_lo, -1
	s_wait_loadcnt_dscnt 0x0
	s_barrier_signal -1
	s_barrier_wait -1
	s_wait_alu 0xfffe
	s_and_b32 s0, s0, s1
	global_inv scope:SCOPE_SE
	v_dual_add_f32 v3, v3, v7 :: v_dual_add_f32 v4, v4, v8
	ds_store_b64 v11, v[3:4]
	s_wait_alu 0xfffe
	s_and_b32 exec_lo, exec_lo, s0
	s_cbranch_execz .LBB85_115
; %bb.112:
	v_cmp_neq_f32_e32 vcc_lo, 0, v5
	v_cmp_neq_f32_e64 s0, 0, v6
	v_lshlrev_b64_e32 v[0:1], 3, v[1:2]
	s_or_b32 s1, vcc_lo, s0
	s_wait_alu 0xfffe
	s_and_saveexec_b32 s0, s1
	s_cbranch_execz .LBB85_114
; %bb.113:
	s_delay_alu instid0(VALU_DEP_1)
	v_add_co_u32 v7, vcc_lo, s24, v0
	s_wait_alu 0xfffd
	v_add_co_ci_u32_e64 v8, null, s25, v1, vcc_lo
	global_load_b64 v[7:8], v[7:8], off
	s_wait_loadcnt 0x0
	v_fmac_f32_e32 v3, v5, v7
	v_fmac_f32_e32 v4, v6, v7
	s_delay_alu instid0(VALU_DEP_2) | instskip(NEXT) | instid1(VALU_DEP_2)
	v_fma_f32 v3, -v6, v8, v3
	v_fmac_f32_e32 v4, v5, v8
.LBB85_114:
	s_wait_alu 0xfffe
	s_or_b32 exec_lo, exec_lo, s0
	v_add_co_u32 v0, vcc_lo, s24, v0
	s_wait_alu 0xfffd
	v_add_co_ci_u32_e64 v1, null, s25, v1, vcc_lo
	global_store_b64 v[0:1], v[3:4], off
.LBB85_115:
	s_endpgm
	.section	.rodata,"a",@progbits
	.p2align	6, 0x0
	.amdhsa_kernel _ZN9rocsparseL22csrmvn_adaptive_kernelIlif21rocsparse_complex_numIfES2_S2_EEvbT_PKS3_PjPKT0_NS_24const_host_device_scalarIT4_EES5_S9_PKT1_PKT2_SC_PT3_21rocsparse_index_base_b
		.amdhsa_group_segment_fixed_size 8192
		.amdhsa_private_segment_fixed_size 0
		.amdhsa_kernarg_size 104
		.amdhsa_user_sgpr_count 2
		.amdhsa_user_sgpr_dispatch_ptr 0
		.amdhsa_user_sgpr_queue_ptr 0
		.amdhsa_user_sgpr_kernarg_segment_ptr 1
		.amdhsa_user_sgpr_dispatch_id 0
		.amdhsa_user_sgpr_private_segment_size 0
		.amdhsa_wavefront_size32 1
		.amdhsa_uses_dynamic_stack 0
		.amdhsa_enable_private_segment 0
		.amdhsa_system_sgpr_workgroup_id_x 1
		.amdhsa_system_sgpr_workgroup_id_y 0
		.amdhsa_system_sgpr_workgroup_id_z 0
		.amdhsa_system_sgpr_workgroup_info 0
		.amdhsa_system_vgpr_workitem_id 0
		.amdhsa_next_free_vgpr 28
		.amdhsa_next_free_sgpr 52
		.amdhsa_reserve_vcc 1
		.amdhsa_float_round_mode_32 0
		.amdhsa_float_round_mode_16_64 0
		.amdhsa_float_denorm_mode_32 3
		.amdhsa_float_denorm_mode_16_64 3
		.amdhsa_fp16_overflow 0
		.amdhsa_workgroup_processor_mode 1
		.amdhsa_memory_ordered 1
		.amdhsa_forward_progress 1
		.amdhsa_inst_pref_size 46
		.amdhsa_round_robin_scheduling 0
		.amdhsa_exception_fp_ieee_invalid_op 0
		.amdhsa_exception_fp_denorm_src 0
		.amdhsa_exception_fp_ieee_div_zero 0
		.amdhsa_exception_fp_ieee_overflow 0
		.amdhsa_exception_fp_ieee_underflow 0
		.amdhsa_exception_fp_ieee_inexact 0
		.amdhsa_exception_int_div_zero 0
	.end_amdhsa_kernel
	.section	.text._ZN9rocsparseL22csrmvn_adaptive_kernelIlif21rocsparse_complex_numIfES2_S2_EEvbT_PKS3_PjPKT0_NS_24const_host_device_scalarIT4_EES5_S9_PKT1_PKT2_SC_PT3_21rocsparse_index_base_b,"axG",@progbits,_ZN9rocsparseL22csrmvn_adaptive_kernelIlif21rocsparse_complex_numIfES2_S2_EEvbT_PKS3_PjPKT0_NS_24const_host_device_scalarIT4_EES5_S9_PKT1_PKT2_SC_PT3_21rocsparse_index_base_b,comdat
.Lfunc_end85:
	.size	_ZN9rocsparseL22csrmvn_adaptive_kernelIlif21rocsparse_complex_numIfES2_S2_EEvbT_PKS3_PjPKT0_NS_24const_host_device_scalarIT4_EES5_S9_PKT1_PKT2_SC_PT3_21rocsparse_index_base_b, .Lfunc_end85-_ZN9rocsparseL22csrmvn_adaptive_kernelIlif21rocsparse_complex_numIfES2_S2_EEvbT_PKS3_PjPKT0_NS_24const_host_device_scalarIT4_EES5_S9_PKT1_PKT2_SC_PT3_21rocsparse_index_base_b
                                        ; -- End function
	.set _ZN9rocsparseL22csrmvn_adaptive_kernelIlif21rocsparse_complex_numIfES2_S2_EEvbT_PKS3_PjPKT0_NS_24const_host_device_scalarIT4_EES5_S9_PKT1_PKT2_SC_PT3_21rocsparse_index_base_b.num_vgpr, 28
	.set _ZN9rocsparseL22csrmvn_adaptive_kernelIlif21rocsparse_complex_numIfES2_S2_EEvbT_PKS3_PjPKT0_NS_24const_host_device_scalarIT4_EES5_S9_PKT1_PKT2_SC_PT3_21rocsparse_index_base_b.num_agpr, 0
	.set _ZN9rocsparseL22csrmvn_adaptive_kernelIlif21rocsparse_complex_numIfES2_S2_EEvbT_PKS3_PjPKT0_NS_24const_host_device_scalarIT4_EES5_S9_PKT1_PKT2_SC_PT3_21rocsparse_index_base_b.numbered_sgpr, 52
	.set _ZN9rocsparseL22csrmvn_adaptive_kernelIlif21rocsparse_complex_numIfES2_S2_EEvbT_PKS3_PjPKT0_NS_24const_host_device_scalarIT4_EES5_S9_PKT1_PKT2_SC_PT3_21rocsparse_index_base_b.num_named_barrier, 0
	.set _ZN9rocsparseL22csrmvn_adaptive_kernelIlif21rocsparse_complex_numIfES2_S2_EEvbT_PKS3_PjPKT0_NS_24const_host_device_scalarIT4_EES5_S9_PKT1_PKT2_SC_PT3_21rocsparse_index_base_b.private_seg_size, 0
	.set _ZN9rocsparseL22csrmvn_adaptive_kernelIlif21rocsparse_complex_numIfES2_S2_EEvbT_PKS3_PjPKT0_NS_24const_host_device_scalarIT4_EES5_S9_PKT1_PKT2_SC_PT3_21rocsparse_index_base_b.uses_vcc, 1
	.set _ZN9rocsparseL22csrmvn_adaptive_kernelIlif21rocsparse_complex_numIfES2_S2_EEvbT_PKS3_PjPKT0_NS_24const_host_device_scalarIT4_EES5_S9_PKT1_PKT2_SC_PT3_21rocsparse_index_base_b.uses_flat_scratch, 0
	.set _ZN9rocsparseL22csrmvn_adaptive_kernelIlif21rocsparse_complex_numIfES2_S2_EEvbT_PKS3_PjPKT0_NS_24const_host_device_scalarIT4_EES5_S9_PKT1_PKT2_SC_PT3_21rocsparse_index_base_b.has_dyn_sized_stack, 0
	.set _ZN9rocsparseL22csrmvn_adaptive_kernelIlif21rocsparse_complex_numIfES2_S2_EEvbT_PKS3_PjPKT0_NS_24const_host_device_scalarIT4_EES5_S9_PKT1_PKT2_SC_PT3_21rocsparse_index_base_b.has_recursion, 0
	.set _ZN9rocsparseL22csrmvn_adaptive_kernelIlif21rocsparse_complex_numIfES2_S2_EEvbT_PKS3_PjPKT0_NS_24const_host_device_scalarIT4_EES5_S9_PKT1_PKT2_SC_PT3_21rocsparse_index_base_b.has_indirect_call, 0
	.section	.AMDGPU.csdata,"",@progbits
; Kernel info:
; codeLenInByte = 5848
; TotalNumSgprs: 54
; NumVgprs: 28
; ScratchSize: 0
; MemoryBound: 0
; FloatMode: 240
; IeeeMode: 1
; LDSByteSize: 8192 bytes/workgroup (compile time only)
; SGPRBlocks: 0
; VGPRBlocks: 3
; NumSGPRsForWavesPerEU: 54
; NumVGPRsForWavesPerEU: 28
; Occupancy: 16
; WaveLimiterHint : 1
; COMPUTE_PGM_RSRC2:SCRATCH_EN: 0
; COMPUTE_PGM_RSRC2:USER_SGPR: 2
; COMPUTE_PGM_RSRC2:TRAP_HANDLER: 0
; COMPUTE_PGM_RSRC2:TGID_X_EN: 1
; COMPUTE_PGM_RSRC2:TGID_Y_EN: 0
; COMPUTE_PGM_RSRC2:TGID_Z_EN: 0
; COMPUTE_PGM_RSRC2:TIDIG_COMP_CNT: 0
	.section	.text._ZN9rocsparseL27csrmvn_symm_adaptive_kernelIlif21rocsparse_complex_numIfES2_S2_EEvbT_S3_PKS3_NS_24const_host_device_scalarIT4_EES5_PKT0_PKT1_PKT2_S8_PT3_21rocsparse_index_base_b,"axG",@progbits,_ZN9rocsparseL27csrmvn_symm_adaptive_kernelIlif21rocsparse_complex_numIfES2_S2_EEvbT_S3_PKS3_NS_24const_host_device_scalarIT4_EES5_PKT0_PKT1_PKT2_S8_PT3_21rocsparse_index_base_b,comdat
	.globl	_ZN9rocsparseL27csrmvn_symm_adaptive_kernelIlif21rocsparse_complex_numIfES2_S2_EEvbT_S3_PKS3_NS_24const_host_device_scalarIT4_EES5_PKT0_PKT1_PKT2_S8_PT3_21rocsparse_index_base_b ; -- Begin function _ZN9rocsparseL27csrmvn_symm_adaptive_kernelIlif21rocsparse_complex_numIfES2_S2_EEvbT_S3_PKS3_NS_24const_host_device_scalarIT4_EES5_PKT0_PKT1_PKT2_S8_PT3_21rocsparse_index_base_b
	.p2align	8
	.type	_ZN9rocsparseL27csrmvn_symm_adaptive_kernelIlif21rocsparse_complex_numIfES2_S2_EEvbT_S3_PKS3_NS_24const_host_device_scalarIT4_EES5_PKT0_PKT1_PKT2_S8_PT3_21rocsparse_index_base_b,@function
_ZN9rocsparseL27csrmvn_symm_adaptive_kernelIlif21rocsparse_complex_numIfES2_S2_EEvbT_S3_PKS3_NS_24const_host_device_scalarIT4_EES5_PKT0_PKT1_PKT2_S8_PT3_21rocsparse_index_base_b: ; @_ZN9rocsparseL27csrmvn_symm_adaptive_kernelIlif21rocsparse_complex_numIfES2_S2_EEvbT_S3_PKS3_NS_24const_host_device_scalarIT4_EES5_PKT0_PKT1_PKT2_S8_PT3_21rocsparse_index_base_b
; %bb.0:
	s_clause 0x1
	s_load_b64 s[24:25], s[0:1], 0x58
	s_load_b64 s[4:5], s[0:1], 0x20
	s_add_nc_u64 s[6:7], s[0:1], 32
	s_wait_kmcnt 0x0
	s_bitcmp1_b32 s25, 0
	s_cselect_b32 s3, -1, 0
	s_delay_alu instid0(SALU_CYCLE_1) | instskip(SKIP_2) | instid1(SALU_CYCLE_1)
	s_and_b32 s2, s3, exec_lo
	s_cselect_b32 s2, s6, s4
	s_cselect_b32 s4, s7, s5
	v_dual_mov_b32 v1, s2 :: v_dual_mov_b32 v2, s4
	flat_load_b64 v[6:7], v[1:2]
	s_wait_loadcnt_dscnt 0x0
	v_cmp_eq_f32_e32 vcc_lo, 0, v6
	v_cmp_eq_f32_e64 s2, 0, v7
	s_and_b32 s5, vcc_lo, s2
	s_mov_b32 s2, -1
	s_wait_alu 0xfffe
	s_and_saveexec_b32 s4, s5
	s_cbranch_execz .LBB86_2
; %bb.1:
	s_load_b64 s[6:7], s[0:1], 0x48
	s_add_nc_u64 s[8:9], s[0:1], 0x48
	s_and_b32 s2, s3, exec_lo
	s_wait_kmcnt 0x0
	s_cselect_b32 s2, s8, s6
	s_cselect_b32 s3, s9, s7
	s_wait_alu 0xfffe
	v_dual_mov_b32 v1, s2 :: v_dual_mov_b32 v2, s3
	flat_load_b64 v[1:2], v[1:2]
	s_wait_loadcnt_dscnt 0x0
	v_cmp_neq_f32_e32 vcc_lo, 1.0, v1
	v_cmp_neq_f32_e64 s2, 0, v2
	s_or_b32 s2, vcc_lo, s2
	s_wait_alu 0xfffe
	s_or_not1_b32 s2, s2, exec_lo
.LBB86_2:
	s_wait_alu 0xfffe
	s_or_b32 exec_lo, exec_lo, s4
	s_and_saveexec_b32 s3, s2
	s_cbranch_execz .LBB86_141
; %bb.3:
	s_load_b64 s[4:5], s[0:1], 0x18
	s_mov_b32 s25, 0
	s_mov_b32 s2, ttmp9
	s_mov_b32 s6, s25
	s_mov_b32 s7, s25
	v_dual_mov_b32 v1, s6 :: v_dual_lshlrev_b32 v16, 3, v0
	s_ashr_i32 s3, ttmp9, 31
	v_mov_b32_e32 v2, s7
	s_wait_alu 0xfffe
	s_lshl_b64 s[2:3], s[2:3], 3
	ds_store_2addr_stride64_b64 v16, v[1:2], v[1:2] offset1:4
	ds_store_2addr_stride64_b64 v16, v[1:2], v[1:2] offset0:8 offset1:12
	s_wait_dscnt 0x0
	s_barrier_signal -1
	s_barrier_wait -1
	global_inv scope:SCOPE_SE
	s_wait_kmcnt 0x0
	s_wait_alu 0xfffe
	s_add_nc_u64 s[2:3], s[4:5], s[2:3]
	s_load_b128 s[16:19], s[2:3], 0x0
	s_clause 0x1
	s_load_b256 s[8:15], s[0:1], 0x28
	s_load_b64 s[20:21], s[0:1], 0x50
	s_wait_kmcnt 0x0
	s_sub_nc_u64 s[22:23], s[18:19], s[16:17]
	s_delay_alu instid0(SALU_CYCLE_1)
	v_cmp_gt_i64_e64 s2, s[22:23], 2
	s_and_b32 vcc_lo, exec_lo, s2
	s_mov_b32 s2, -1
	s_cbranch_vccnz .LBB86_40
; %bb.4:
	v_cmp_le_i64_e64 s2, s[18:19], s[16:17]
	v_sub_co_u32 v5, s3, v0, s24
	v_mov_b32_e32 v13, 0
	s_wait_alu 0xf1ff
	v_sub_co_ci_u32_e64 v12, null, 0, 0, s3
	s_wait_alu 0xfffe
	s_and_b32 vcc_lo, exec_lo, s2
	s_cbranch_vccnz .LBB86_30
; %bb.5:
	v_cmp_gt_u32_e64 s2, 0x100, v0
	v_cmp_gt_u32_e64 s3, 64, v0
	;; [unrolled: 1-line block ×4, first 2 shown]
	v_cmp_eq_u32_e64 s6, 0, v0
	s_mov_b64 s[26:27], s[16:17]
	s_branch .LBB86_7
.LBB86_6:                               ;   in Loop: Header=BB86_7 Depth=1
	s_wait_alu 0xfffe
	s_or_b32 exec_lo, exec_lo, s7
	s_add_nc_u64 s[26:27], s[26:27], 1
	s_wait_alu 0xfffe
	v_cmp_ge_i64_e64 s7, s[26:27], s[18:19]
	s_and_b32 vcc_lo, exec_lo, s7
	s_wait_alu 0xfffe
	s_cbranch_vccnz .LBB86_30
.LBB86_7:                               ; =>This Loop Header: Depth=1
                                        ;     Child Loop BB86_9 Depth 2
                                        ;     Child Loop BB86_23 Depth 2
	;; [unrolled: 1-line block ×3, first 2 shown]
	s_lshl_b64 s[28:29], s[26:27], 3
	v_dual_mov_b32 v4, 0 :: v_dual_mov_b32 v3, 0
	s_add_nc_u64 s[30:31], s[8:9], s[28:29]
	s_mov_b32 s33, exec_lo
	s_load_b128 s[36:39], s[30:31], 0x0
	s_wait_kmcnt 0x0
	v_add_co_u32 v1, vcc_lo, s36, v5
	s_wait_alu 0xfffd
	v_add_co_ci_u32_e64 v2, null, s37, v12, vcc_lo
	s_sub_nc_u64 s[30:31], s[38:39], s[24:25]
	s_wait_alu 0xfffe
	v_cmpx_gt_i64_e64 s[30:31], v[1:2]
	s_cbranch_execz .LBB86_11
; %bb.8:                                ;   in Loop: Header=BB86_7 Depth=1
	v_lshlrev_b64_e32 v[10:11], 2, v[1:2]
	v_mov_b32_e32 v4, 0
	s_mov_b32 s34, 0
	s_delay_alu instid0(VALU_DEP_1) | instskip(NEXT) | instid1(VALU_DEP_3)
	v_mov_b32_e32 v3, v4
	v_add_co_u32 v8, vcc_lo, s10, v10
	s_wait_alu 0xfffd
	v_add_co_ci_u32_e64 v9, null, s11, v11, vcc_lo
	v_add_co_u32 v10, vcc_lo, s12, v10
	s_wait_alu 0xfffd
	v_add_co_ci_u32_e64 v11, null, s13, v11, vcc_lo
.LBB86_9:                               ;   Parent Loop BB86_7 Depth=1
                                        ; =>  This Inner Loop Header: Depth=2
	global_load_b32 v14, v[8:9], off
	s_wait_loadcnt 0x0
	v_subrev_nc_u32_e32 v14, s24, v14
	s_delay_alu instid0(VALU_DEP_1) | instskip(NEXT) | instid1(VALU_DEP_1)
	v_ashrrev_i32_e32 v15, 31, v14
	v_lshlrev_b64_e32 v[14:15], 3, v[14:15]
	s_delay_alu instid0(VALU_DEP_1) | instskip(SKIP_1) | instid1(VALU_DEP_2)
	v_add_co_u32 v14, vcc_lo, s14, v14
	s_wait_alu 0xfffd
	v_add_co_ci_u32_e64 v15, null, s15, v15, vcc_lo
	v_add_co_u32 v1, vcc_lo, 0x100, v1
	global_load_b32 v17, v[10:11], off
	global_load_b64 v[14:15], v[14:15], off
	s_wait_alu 0xfffd
	v_add_co_ci_u32_e64 v2, null, 0, v2, vcc_lo
	v_add_co_u32 v8, vcc_lo, 0x400, v8
	s_wait_alu 0xfffd
	v_add_co_ci_u32_e64 v9, null, 0, v9, vcc_lo
	s_delay_alu instid0(VALU_DEP_3)
	v_cmp_le_i64_e64 s7, s[30:31], v[1:2]
	v_add_co_u32 v10, vcc_lo, 0x400, v10
	s_wait_alu 0xfffd
	v_add_co_ci_u32_e64 v11, null, 0, v11, vcc_lo
	s_or_b32 s34, s7, s34
	s_wait_loadcnt 0x0
	v_fmac_f32_e32 v3, v17, v14
	s_delay_alu instid0(VALU_DEP_1) | instskip(NEXT) | instid1(VALU_DEP_1)
	v_dual_fmac_f32 v4, 0, v14 :: v_dual_fmac_f32 v3, 0x80000000, v15
	v_fmac_f32_e32 v4, v17, v15
	s_and_not1_b32 exec_lo, exec_lo, s34
	s_cbranch_execnz .LBB86_9
; %bb.10:                               ;   in Loop: Header=BB86_7 Depth=1
	s_or_b32 exec_lo, exec_lo, s34
.LBB86_11:                              ;   in Loop: Header=BB86_7 Depth=1
	s_delay_alu instid0(SALU_CYCLE_1)
	s_or_b32 exec_lo, exec_lo, s33
	ds_store_b64 v16, v[3:4]
	s_wait_loadcnt_dscnt 0x0
	s_barrier_signal -1
	s_barrier_wait -1
	global_inv scope:SCOPE_SE
	s_and_saveexec_b32 s7, s2
	s_cbranch_execz .LBB86_13
; %bb.12:                               ;   in Loop: Header=BB86_7 Depth=1
	ds_load_2addr_stride64_b64 v[1:4], v16 offset1:4
	ds_load_2addr_stride64_b64 v[8:11], v16 offset0:8 offset1:12
	s_wait_dscnt 0x0
	v_dual_add_f32 v3, v8, v3 :: v_dual_add_f32 v4, v9, v4
	s_delay_alu instid0(VALU_DEP_1) | instskip(NEXT) | instid1(VALU_DEP_1)
	v_dual_add_f32 v3, v10, v3 :: v_dual_add_f32 v4, v11, v4
	v_dual_add_f32 v1, v3, v1 :: v_dual_add_f32 v2, v4, v2
	ds_store_b64 v16, v[1:2]
.LBB86_13:                              ;   in Loop: Header=BB86_7 Depth=1
	s_wait_alu 0xfffe
	s_or_b32 exec_lo, exec_lo, s7
	s_wait_loadcnt_dscnt 0x0
	s_barrier_signal -1
	s_barrier_wait -1
	global_inv scope:SCOPE_SE
	s_and_saveexec_b32 s7, s3
	s_cbranch_execz .LBB86_15
; %bb.14:                               ;   in Loop: Header=BB86_7 Depth=1
	ds_load_2addr_stride64_b64 v[1:4], v16 offset1:1
	ds_load_2addr_stride64_b64 v[8:11], v16 offset0:2 offset1:3
	s_wait_dscnt 0x0
	v_dual_add_f32 v3, v8, v3 :: v_dual_add_f32 v4, v9, v4
	s_delay_alu instid0(VALU_DEP_1) | instskip(NEXT) | instid1(VALU_DEP_1)
	v_dual_add_f32 v3, v10, v3 :: v_dual_add_f32 v4, v11, v4
	v_dual_add_f32 v1, v3, v1 :: v_dual_add_f32 v2, v4, v2
	ds_store_b64 v16, v[1:2]
.LBB86_15:                              ;   in Loop: Header=BB86_7 Depth=1
	s_wait_alu 0xfffe
	s_or_b32 exec_lo, exec_lo, s7
	s_wait_loadcnt_dscnt 0x0
	s_barrier_signal -1
	s_barrier_wait -1
	global_inv scope:SCOPE_SE
	s_and_saveexec_b32 s7, s4
	s_cbranch_execz .LBB86_17
; %bb.16:                               ;   in Loop: Header=BB86_7 Depth=1
	ds_load_2addr_b64 v[1:4], v16 offset1:16
	ds_load_2addr_b64 v[8:11], v16 offset0:32 offset1:48
	s_wait_dscnt 0x0
	v_dual_add_f32 v3, v8, v3 :: v_dual_add_f32 v4, v9, v4
	s_delay_alu instid0(VALU_DEP_1) | instskip(NEXT) | instid1(VALU_DEP_1)
	v_dual_add_f32 v3, v10, v3 :: v_dual_add_f32 v4, v11, v4
	v_dual_add_f32 v1, v3, v1 :: v_dual_add_f32 v2, v4, v2
	ds_store_b64 v16, v[1:2]
.LBB86_17:                              ;   in Loop: Header=BB86_7 Depth=1
	s_wait_alu 0xfffe
	s_or_b32 exec_lo, exec_lo, s7
	s_wait_loadcnt_dscnt 0x0
	s_barrier_signal -1
	s_barrier_wait -1
	global_inv scope:SCOPE_SE
	s_and_saveexec_b32 s7, s5
	s_cbranch_execz .LBB86_19
; %bb.18:                               ;   in Loop: Header=BB86_7 Depth=1
	ds_load_2addr_b64 v[1:4], v16 offset1:4
	ds_load_2addr_b64 v[8:11], v16 offset0:8 offset1:12
	s_wait_dscnt 0x0
	v_dual_add_f32 v3, v8, v3 :: v_dual_add_f32 v4, v9, v4
	s_delay_alu instid0(VALU_DEP_1) | instskip(NEXT) | instid1(VALU_DEP_1)
	v_dual_add_f32 v3, v10, v3 :: v_dual_add_f32 v4, v11, v4
	v_dual_add_f32 v1, v3, v1 :: v_dual_add_f32 v2, v4, v2
	ds_store_b64 v16, v[1:2]
.LBB86_19:                              ;   in Loop: Header=BB86_7 Depth=1
	s_wait_alu 0xfffe
	s_or_b32 exec_lo, exec_lo, s7
	s_wait_loadcnt_dscnt 0x0
	s_barrier_signal -1
	s_barrier_wait -1
	global_inv scope:SCOPE_SE
	s_and_saveexec_b32 s7, s6
	s_cbranch_execz .LBB86_21
; %bb.20:                               ;   in Loop: Header=BB86_7 Depth=1
	ds_load_b128 v[1:4], v13 offset:16
	ds_load_b64 v[8:9], v13 offset:8
	ds_load_b64 v[10:11], v16
	s_wait_dscnt 0x1
	v_dual_add_f32 v1, v1, v8 :: v_dual_add_f32 v2, v2, v9
	s_delay_alu instid0(VALU_DEP_1) | instskip(SKIP_1) | instid1(VALU_DEP_1)
	v_dual_add_f32 v1, v3, v1 :: v_dual_add_f32 v2, v4, v2
	s_wait_dscnt 0x0
	v_dual_add_f32 v1, v1, v10 :: v_dual_add_f32 v2, v2, v11
	ds_store_b64 v16, v[1:2]
.LBB86_21:                              ;   in Loop: Header=BB86_7 Depth=1
	s_wait_alu 0xfffe
	s_or_b32 exec_lo, exec_lo, s7
	s_wait_loadcnt_dscnt 0x0
	s_barrier_signal -1
	s_barrier_wait -1
	global_inv scope:SCOPE_SE
	s_and_saveexec_b32 s7, s6
	s_cbranch_execz .LBB86_6
; %bb.22:                               ;   in Loop: Header=BB86_7 Depth=1
	ds_load_b64 v[1:2], v13
	s_mov_b32 s31, exec_lo
	s_brev_b32 s30, 1
	s_wait_dscnt 0x0
	v_mul_f32_e64 v3, v2, -v7
	s_delay_alu instid0(VALU_DEP_1)
	v_fmac_f32_e32 v3, v6, v1
.LBB86_23:                              ;   Parent Loop BB86_7 Depth=1
                                        ; =>  This Inner Loop Header: Depth=2
	s_wait_alu 0xfffe
	s_ctz_i32_b32 s33, s31
	s_wait_alu 0xfffe
	s_delay_alu instid0(VALU_DEP_1)
	v_readlane_b32 s34, v3, s33
	s_lshl_b32 s33, 1, s33
	s_wait_alu 0xfffe
	s_and_not1_b32 s31, s31, s33
	s_wait_alu 0xfffe
	s_cmp_lg_u32 s31, 0
	s_add_f32 s30, s30, s34
	s_cbranch_scc1 .LBB86_23
; %bb.24:                               ;   in Loop: Header=BB86_7 Depth=1
	v_mbcnt_lo_u32_b32 v3, exec_lo, 0
	s_add_nc_u64 s[28:29], s[20:21], s[28:29]
	s_mov_b32 s31, exec_lo
	s_delay_alu instid0(VALU_DEP_1)
	v_cmpx_eq_u32_e32 0, v3
	s_wait_alu 0xfffe
	s_xor_b32 s31, exec_lo, s31
	s_cbranch_execz .LBB86_26
; %bb.25:                               ;   in Loop: Header=BB86_7 Depth=1
	v_mov_b32_e32 v3, s30
	global_atomic_add_f32 v13, v3, s[28:29] scope:SCOPE_DEV
.LBB86_26:                              ;   in Loop: Header=BB86_7 Depth=1
	s_wait_alu 0xfffe
	s_or_b32 exec_lo, exec_lo, s31
	v_mul_f32_e32 v2, v6, v2
	s_mov_b32 s31, exec_lo
	s_brev_b32 s30, 1
	s_delay_alu instid0(VALU_DEP_1)
	v_fmac_f32_e32 v2, v7, v1
.LBB86_27:                              ;   Parent Loop BB86_7 Depth=1
                                        ; =>  This Inner Loop Header: Depth=2
	s_wait_alu 0xfffe
	s_ctz_i32_b32 s33, s31
	s_wait_alu 0xfffe
	s_delay_alu instid0(VALU_DEP_1)
	v_readlane_b32 s34, v2, s33
	s_lshl_b32 s33, 1, s33
	s_wait_alu 0xfffe
	s_and_not1_b32 s31, s31, s33
	s_wait_alu 0xfffe
	s_cmp_lg_u32 s31, 0
	s_add_f32 s30, s30, s34
	s_cbranch_scc1 .LBB86_27
; %bb.28:                               ;   in Loop: Header=BB86_7 Depth=1
	v_mbcnt_lo_u32_b32 v1, exec_lo, 0
	s_mov_b32 s31, exec_lo
	s_delay_alu instid0(VALU_DEP_1)
	v_cmpx_eq_u32_e32 0, v1
	s_wait_alu 0xfffe
	s_xor_b32 s31, exec_lo, s31
	s_cbranch_execz .LBB86_6
; %bb.29:                               ;   in Loop: Header=BB86_7 Depth=1
	v_mov_b32_e32 v1, s30
	global_atomic_add_f32 v13, v1, s[28:29] offset:4 scope:SCOPE_DEV
	s_branch .LBB86_6
.LBB86_30:
	s_lshl_b64 s[2:3], s[16:17], 3
	s_lshl_b64 s[4:5], s[18:19], 3
	s_wait_alu 0xfffe
	s_add_nc_u64 s[2:3], s[8:9], s[2:3]
	s_add_nc_u64 s[4:5], s[8:9], s[4:5]
	s_clause 0x1
	s_load_b64 s[2:3], s[2:3], 0x0
	s_load_b64 s[4:5], s[4:5], 0x0
	s_wait_kmcnt 0x0
	v_add_co_u32 v1, vcc_lo, s2, v5
	s_wait_alu 0xfffd
	v_add_co_ci_u32_e64 v2, null, s3, v12, vcc_lo
	s_sub_nc_u64 s[4:5], s[4:5], s[24:25]
	s_mov_b32 s3, exec_lo
	s_wait_alu 0xfffe
	v_cmpx_gt_i64_e64 s[4:5], v[1:2]
	s_cbranch_execz .LBB86_39
; %bb.31:
	s_add_nc_u64 s[6:7], s[18:19], -1
	s_add_nc_u64 s[26:27], s[18:19], -2
	s_wait_alu 0xfffe
	v_cmp_lt_i64_e64 s2, s[16:17], s[6:7]
	s_cmp_lg_u64 s[16:17], s[26:27]
	v_dual_mul_f32 v5, 0x80000000, v7 :: v_dual_mul_f32 v14, 0, v6
	s_cselect_b32 s25, -1, 0
	s_mov_b32 s26, 0
	s_wait_alu 0xfffe
	s_and_b32 s25, s2, s25
	s_branch .LBB86_33
.LBB86_32:                              ;   in Loop: Header=BB86_33 Depth=1
	s_wait_alu 0xfffe
	s_or_b32 exec_lo, exec_lo, s2
	v_add_co_u32 v1, vcc_lo, 0x100, v1
	s_wait_alu 0xfffd
	v_add_co_ci_u32_e64 v2, null, 0, v2, vcc_lo
	s_delay_alu instid0(VALU_DEP_1)
	v_cmp_le_i64_e32 vcc_lo, s[4:5], v[1:2]
	s_or_b32 s26, vcc_lo, s26
	s_wait_alu 0xfffe
	s_and_not1_b32 exec_lo, exec_lo, s26
	s_cbranch_execz .LBB86_39
.LBB86_33:                              ; =>This Loop Header: Depth=1
                                        ;     Child Loop BB86_35 Depth 2
	v_dual_mov_b32 v3, s16 :: v_dual_mov_b32 v4, s17
	v_dual_mov_b32 v9, s7 :: v_dual_mov_b32 v8, s6
	s_wait_alu 0xfffe
	s_and_not1_b32 vcc_lo, exec_lo, s25
	s_wait_alu 0xfffe
	s_cbranch_vccnz .LBB86_37
; %bb.34:                               ;   in Loop: Header=BB86_33 Depth=1
	v_dual_mov_b32 v3, s16 :: v_dual_mov_b32 v4, s17
	v_dual_mov_b32 v9, s7 :: v_dual_mov_b32 v8, s6
	s_mov_b32 s27, 0
.LBB86_35:                              ;   Parent Loop BB86_33 Depth=1
                                        ; =>  This Inner Loop Header: Depth=2
	s_delay_alu instid0(VALU_DEP_1) | instskip(SKIP_1) | instid1(VALU_DEP_2)
	v_add_co_u32 v10, vcc_lo, v8, v3
	s_wait_alu 0xfffd
	v_add_co_ci_u32_e64 v11, null, v9, v4, vcc_lo
	s_delay_alu instid0(VALU_DEP_1) | instskip(NEXT) | instid1(VALU_DEP_1)
	v_lshrrev_b32_e32 v12, 31, v11
	v_add_co_u32 v10, vcc_lo, v10, v12
	s_wait_alu 0xfffd
	v_add_co_ci_u32_e64 v11, null, 0, v11, vcc_lo
	s_delay_alu instid0(VALU_DEP_1) | instskip(NEXT) | instid1(VALU_DEP_1)
	v_ashrrev_i64 v[10:11], 1, v[10:11]
	v_lshlrev_b64_e32 v[12:13], 3, v[10:11]
	s_delay_alu instid0(VALU_DEP_1) | instskip(SKIP_1) | instid1(VALU_DEP_2)
	v_add_co_u32 v12, vcc_lo, s8, v12
	s_wait_alu 0xfffd
	v_add_co_ci_u32_e64 v13, null, s9, v13, vcc_lo
	global_load_b64 v[12:13], v[12:13], off
	s_wait_loadcnt 0x0
	v_sub_co_u32 v12, vcc_lo, v12, s24
	s_wait_alu 0xfffd
	v_subrev_co_ci_u32_e64 v13, null, 0, v13, vcc_lo
	s_delay_alu instid0(VALU_DEP_1) | instskip(SKIP_3) | instid1(VALU_DEP_2)
	v_cmp_lt_i64_e32 vcc_lo, v[1:2], v[12:13]
	s_wait_alu 0xfffd
	v_dual_cndmask_b32 v9, v9, v11 :: v_dual_cndmask_b32 v8, v8, v10
	v_dual_cndmask_b32 v4, v11, v4 :: v_dual_cndmask_b32 v3, v10, v3
	v_add_co_u32 v10, vcc_lo, v8, -1
	s_wait_alu 0xfffd
	s_delay_alu instid0(VALU_DEP_3) | instskip(NEXT) | instid1(VALU_DEP_3)
	v_add_co_ci_u32_e64 v11, null, -1, v9, vcc_lo
	v_cmp_ge_i64_e32 vcc_lo, v[3:4], v[8:9]
	s_delay_alu instid0(VALU_DEP_2)
	v_cmp_eq_u64_e64 s2, v[3:4], v[10:11]
	s_or_b32 s2, vcc_lo, s2
	s_wait_alu 0xfffe
	s_and_b32 s2, exec_lo, s2
	s_wait_alu 0xfffe
	s_or_b32 s27, s2, s27
	s_wait_alu 0xfffe
	s_and_not1_b32 exec_lo, exec_lo, s27
	s_cbranch_execnz .LBB86_35
; %bb.36:                               ;   in Loop: Header=BB86_33 Depth=1
	s_or_b32 exec_lo, exec_lo, s27
.LBB86_37:                              ;   in Loop: Header=BB86_33 Depth=1
	v_lshlrev_b64_e32 v[10:11], 3, v[8:9]
	v_lshlrev_b64_e32 v[12:13], 2, v[1:2]
	s_mov_b32 s2, exec_lo
	s_delay_alu instid0(VALU_DEP_2) | instskip(SKIP_1) | instid1(VALU_DEP_3)
	v_add_co_u32 v10, vcc_lo, s8, v10
	s_wait_alu 0xfffd
	v_add_co_ci_u32_e64 v11, null, s9, v11, vcc_lo
	s_delay_alu instid0(VALU_DEP_3)
	v_add_co_u32 v17, vcc_lo, s10, v12
	s_wait_alu 0xfffd
	v_add_co_ci_u32_e64 v18, null, s11, v13, vcc_lo
	global_load_b64 v[10:11], v[10:11], off
	global_load_b32 v15, v[17:18], off
	s_wait_loadcnt 0x1
	v_sub_co_u32 v10, vcc_lo, v10, s24
	s_wait_alu 0xfffd
	v_subrev_co_ci_u32_e64 v11, null, 0, v11, vcc_lo
	s_delay_alu instid0(VALU_DEP_1) | instskip(SKIP_2) | instid1(VALU_DEP_1)
	v_cmp_lt_i64_e32 vcc_lo, v[1:2], v[10:11]
	s_wait_loadcnt 0x0
	v_subrev_nc_u32_e32 v10, s24, v15
	v_ashrrev_i32_e32 v11, 31, v10
	s_wait_alu 0xfffd
	v_dual_cndmask_b32 v4, v9, v4 :: v_dual_cndmask_b32 v3, v8, v3
	s_delay_alu instid0(VALU_DEP_1)
	v_cmpx_ne_u64_e64 v[3:4], v[10:11]
	s_cbranch_execz .LBB86_32
; %bb.38:                               ;   in Loop: Header=BB86_33 Depth=1
	v_lshlrev_b64_e32 v[3:4], 3, v[3:4]
	v_add_co_u32 v8, vcc_lo, s12, v12
	s_wait_alu 0xfffd
	v_add_co_ci_u32_e64 v9, null, s13, v13, vcc_lo
	s_delay_alu instid0(VALU_DEP_3)
	v_add_co_u32 v3, vcc_lo, s14, v3
	global_load_b32 v8, v[8:9], off
	s_wait_alu 0xfffd
	v_add_co_ci_u32_e64 v4, null, s15, v4, vcc_lo
	global_load_b64 v[3:4], v[3:4], off
	s_wait_loadcnt 0x1
	v_fma_f32 v12, v7, v8, v14
	v_fma_f32 v13, v6, v8, v5
	v_lshlrev_b64_e32 v[8:9], 3, v[10:11]
	s_wait_loadcnt 0x0
	s_delay_alu instid0(VALU_DEP_3) | instskip(NEXT) | instid1(VALU_DEP_3)
	v_mul_f32_e64 v10, v4, -v12
	v_mul_f32_e32 v4, v13, v4
	s_delay_alu instid0(VALU_DEP_3)
	v_add_co_u32 v8, vcc_lo, s20, v8
	s_wait_alu 0xfffd
	v_add_co_ci_u32_e64 v9, null, s21, v9, vcc_lo
	v_fmac_f32_e32 v10, v13, v3
	v_fmac_f32_e32 v4, v12, v3
	s_clause 0x1
	global_atomic_add_f32 v[8:9], v10, off scope:SCOPE_DEV
	global_atomic_add_f32 v[8:9], v4, off offset:4 scope:SCOPE_DEV
	s_branch .LBB86_32
.LBB86_39:
	s_or_b32 exec_lo, exec_lo, s3
	s_mov_b32 s2, 0
.LBB86_40:
	s_wait_alu 0xfffe
	s_and_b32 vcc_lo, exec_lo, s2
	s_wait_alu 0xfffe
	s_cbranch_vccz .LBB86_141
; %bb.41:
	s_load_b32 s2, s[0:1], 0x6c
	s_mov_b32 s25, 0
	s_mov_b64 s[28:29], 0
	s_wait_alu 0xfffe
	s_mov_b32 s7, s25
	s_wait_kmcnt 0x0
	s_and_b32 s6, s2, 0xffff
	s_wait_alu 0xfffe
	v_cmp_lt_u64_e64 s2, s[6:7], s[22:23]
	s_and_b32 vcc_lo, exec_lo, s2
	s_wait_alu 0xfffe
	s_cbranch_vccnz .LBB86_43
; %bb.42:
	v_cvt_f32_u32_e32 v1, s22
	s_sub_co_i32 s3, 0, s22
	s_delay_alu instid0(VALU_DEP_1) | instskip(NEXT) | instid1(TRANS32_DEP_1)
	v_rcp_iflag_f32_e32 v1, v1
	v_mul_f32_e32 v1, 0x4f7ffffe, v1
	s_delay_alu instid0(VALU_DEP_1) | instskip(NEXT) | instid1(VALU_DEP_1)
	v_cvt_u32_f32_e32 v1, v1
	v_readfirstlane_b32 s2, v1
	s_wait_alu 0xfffe
	s_mul_i32 s3, s3, s2
	s_wait_alu 0xfffe
	s_mul_hi_u32 s3, s2, s3
	s_wait_alu 0xfffe
	s_add_co_i32 s2, s2, s3
	s_wait_alu 0xfffe
	s_mul_hi_u32 s2, s6, s2
	s_wait_alu 0xfffe
	s_mul_i32 s3, s2, s22
	s_add_co_i32 s4, s2, 1
	s_wait_alu 0xfffe
	s_sub_co_i32 s3, s6, s3
	s_wait_alu 0xfffe
	s_sub_co_i32 s5, s3, s22
	s_cmp_ge_u32 s3, s22
	s_cselect_b32 s2, s4, s2
	s_wait_alu 0xfffe
	s_cselect_b32 s3, s5, s3
	s_add_co_i32 s4, s2, 1
	s_wait_alu 0xfffe
	s_cmp_ge_u32 s3, s22
	s_cselect_b32 s28, s4, s2
.LBB86_43:
	s_lshl_b64 s[2:3], s[16:17], 3
	v_sub_co_u32 v1, s7, v0, s24
	s_wait_alu 0xfffe
	s_add_nc_u64 s[26:27], s[8:9], s[2:3]
	s_load_b64 s[4:5], s[26:27], 0x0
	s_load_b128 s[0:3], s[0:1], 0x8
	v_sub_co_ci_u32_e64 v2, null, 0, 0, s7
	s_wait_kmcnt 0x0
	v_add_co_u32 v4, vcc_lo, s4, v1
	s_wait_alu 0xfffd
	s_delay_alu instid0(VALU_DEP_2) | instskip(SKIP_1) | instid1(VALU_DEP_3)
	v_add_co_ci_u32_e64 v5, null, s5, v2, vcc_lo
	v_mov_b32_e32 v1, 0
	v_add_co_u32 v2, vcc_lo, 0x300, v4
	s_wait_alu 0xfffd
	s_delay_alu instid0(VALU_DEP_3) | instskip(NEXT) | instid1(VALU_DEP_1)
	v_add_co_ci_u32_e64 v3, null, 0, v5, vcc_lo
	v_cmp_le_i64_e32 vcc_lo, s[0:1], v[2:3]
	s_and_saveexec_b32 s0, vcc_lo
	s_wait_alu 0xfffe
	s_xor_b32 s7, exec_lo, s0
	s_cbranch_execz .LBB86_48
; %bb.44:
	s_lshl_b64 s[0:1], s[18:19], 3
	s_mov_b32 s29, exec_lo
	s_wait_alu 0xfffe
	s_add_nc_u64 s[0:1], s[8:9], s[0:1]
	s_load_b64 s[0:1], s[0:1], 0x0
	s_wait_kmcnt 0x0
	s_sub_nc_u64 s[30:31], s[0:1], s[4:5]
	s_wait_alu 0xfffe
	v_cmpx_gt_i64_e64 s[30:31], v[0:1]
	s_cbranch_execz .LBB86_47
; %bb.45:
	v_lshlrev_b64_e32 v[8:9], 2, v[4:5]
	v_dual_mov_b32 v14, v16 :: v_dual_mov_b32 v11, v1
	v_dual_mul_f32 v12, 0x80000000, v7 :: v_dual_mul_f32 v13, 0, v6
	v_mov_b32_e32 v10, v0
	s_delay_alu instid0(VALU_DEP_4)
	v_add_co_u32 v8, s0, s12, v8
	s_wait_alu 0xf1ff
	v_add_co_ci_u32_e64 v9, null, s13, v9, s0
	s_mov_b32 s33, 0
.LBB86_46:                              ; =>This Inner Loop Header: Depth=1
	global_load_b32 v15, v[8:9], off
	v_add_co_u32 v10, s0, 0x100, v10
	s_wait_alu 0xf1ff
	v_add_co_ci_u32_e64 v11, null, 0, v11, s0
	v_add_co_u32 v8, s0, 0x400, v8
	s_wait_alu 0xf1ff
	v_add_co_ci_u32_e64 v9, null, 0, v9, s0
	s_delay_alu instid0(VALU_DEP_3)
	v_cmp_le_i64_e64 s1, s[30:31], v[10:11]
	s_wait_alu 0xfffe
	s_or_b32 s33, s1, s33
	s_wait_loadcnt 0x0
	v_fma_f32 v17, v6, v15, v12
	v_fma_f32 v18, v7, v15, v13
	ds_store_b64 v14, v[17:18]
	v_add_nc_u32_e32 v14, 0x800, v14
	s_wait_alu 0xfffe
	s_and_not1_b32 exec_lo, exec_lo, s33
	s_cbranch_execnz .LBB86_46
.LBB86_47:
	s_or_b32 exec_lo, exec_lo, s29
                                        ; implicit-def: $vgpr6_vgpr7
.LBB86_48:
	s_wait_alu 0xfffe
	s_or_saveexec_b32 s1, s7
	v_lshlrev_b64_e32 v[8:9], 2, v[4:5]
	s_wait_alu 0xfffe
	s_xor_b32 exec_lo, exec_lo, s1
	s_cbranch_execz .LBB86_50
; %bb.49:
	s_delay_alu instid0(VALU_DEP_1)
	v_add_co_u32 v10, s0, s12, v8
	s_wait_alu 0xf1ff
	v_add_co_ci_u32_e64 v11, null, s13, v9, s0
	s_clause 0x3
	global_load_b32 v13, v[10:11], off
	global_load_b32 v15, v[10:11], off offset:1024
	global_load_b32 v18, v[10:11], off offset:2048
	;; [unrolled: 1-line block ×3, first 2 shown]
	v_dual_mul_f32 v10, 0x80000000, v7 :: v_dual_mul_f32 v11, 0, v6
	s_wait_loadcnt 0x3
	s_delay_alu instid0(VALU_DEP_1) | instskip(NEXT) | instid1(VALU_DEP_2)
	v_fma_f32 v12, v6, v13, v10
	v_fma_f32 v13, v7, v13, v11
	s_wait_loadcnt 0x2
	v_fma_f32 v14, v6, v15, v10
	v_fma_f32 v15, v7, v15, v11
	s_wait_loadcnt 0x1
	;; [unrolled: 3-line block ×3, first 2 shown]
	v_fmac_f32_e32 v10, v6, v19
	v_fmac_f32_e32 v11, v7, v19
	ds_store_2addr_stride64_b64 v16, v[12:13], v[14:15] offset1:4
	ds_store_2addr_stride64_b64 v16, v[17:18], v[10:11] offset0:8 offset1:12
.LBB86_50:
	s_or_b32 exec_lo, exec_lo, s1
	v_lshl_add_u32 v17, v0, 3, 0x2000
	s_mov_b32 s1, exec_lo
	v_cmpx_gt_i64_e64 s[2:3], v[0:1]
	s_cbranch_execz .LBB86_53
; %bb.51:
	v_mov_b32_e32 v7, v1
	v_lshl_add_u32 v10, v0, 3, 0x2000
	v_dual_mov_b32 v11, 0 :: v_dual_mov_b32 v6, v0
	s_mov_b32 s7, 0
.LBB86_52:                              ; =>This Inner Loop Header: Depth=1
	s_delay_alu instid0(VALU_DEP_1)
	v_add_co_u32 v6, s0, 0x100, v6
	s_wait_alu 0xf1ff
	v_add_co_ci_u32_e64 v7, null, 0, v7, s0
	ds_store_2addr_b32 v10, v11, v11 offset1:1
	v_add_nc_u32_e32 v10, 0x800, v10
	v_cmp_le_i64_e64 s0, s[2:3], v[6:7]
	s_wait_alu 0xfffe
	s_or_b32 s7, s0, s7
	s_wait_alu 0xfffe
	s_and_not1_b32 exec_lo, exec_lo, s7
	s_cbranch_execnz .LBB86_52
.LBB86_53:
	s_wait_alu 0xfffe
	s_or_b32 exec_lo, exec_lo, s1
	v_cmp_ge_i64_e64 s7, s[18:19], s[2:3]
	s_sub_nc_u64 s[0:1], s[18:19], s[2:3]
	s_wait_storecnt 0x0
	s_wait_loadcnt_dscnt 0x0
	s_barrier_signal -1
	s_barrier_wait -1
	global_inv scope:SCOPE_SE
	s_and_b32 s7, s7, exec_lo
	s_wait_alu 0xfffe
	s_cselect_b32 s13, s1, 0
	s_cselect_b32 s12, s0, 0
	s_and_saveexec_b32 s0, vcc_lo
	s_wait_alu 0xfffe
	s_xor_b32 s7, exec_lo, s0
	s_cbranch_execz .LBB86_70
; %bb.54:
	s_lshl_b64 s[0:1], s[18:19], 3
	s_mov_b32 s29, exec_lo
	s_wait_alu 0xfffe
	s_add_nc_u64 s[0:1], s[8:9], s[0:1]
	s_load_b64 s[0:1], s[0:1], 0x0
	s_wait_kmcnt 0x0
	s_sub_nc_u64 s[30:31], s[0:1], s[4:5]
	s_wait_alu 0xfffe
	v_cmpx_gt_i64_e64 s[30:31], v[0:1]
	s_cbranch_execz .LBB86_69
; %bb.55:
	s_add_nc_u64 s[34:35], s[18:19], -2
	s_sub_nc_u64 s[36:37], s[0:1], s[24:25]
	s_cmp_lg_u64 s[16:17], s[34:35]
	s_add_nc_u64 s[34:35], s[18:19], -1
	s_cselect_b32 s33, -1, 0
	s_mov_b64 s[38:39], 0
	s_mov_b32 s1, 0
	s_branch .LBB86_58
.LBB86_56:                              ;   in Loop: Header=BB86_58 Depth=1
	s_wait_alu 0xfffe
	s_or_b32 exec_lo, exec_lo, s0
.LBB86_57:                              ;   in Loop: Header=BB86_58 Depth=1
	s_delay_alu instid0(SALU_CYCLE_1)
	s_or_b32 exec_lo, exec_lo, s40
	v_lshlrev_b64_e32 v[2:3], 3, v[2:3]
	v_lshlrev_b32_e32 v11, 3, v10
	s_add_nc_u64 s[38:39], s[38:39], 0x100
	s_wait_alu 0xfffe
	v_add_co_u32 v7, s0, s38, v0
	s_delay_alu instid0(VALU_DEP_3)
	v_add_co_u32 v2, vcc_lo, s14, v2
	s_wait_alu 0xfffd
	v_add_co_ci_u32_e64 v3, null, s15, v3, vcc_lo
	ds_load_b32 v12, v11 offset:4
	s_wait_alu 0xf1ff
	v_add_co_ci_u32_e64 v8, null, s39, 0, s0
	global_load_b64 v[2:3], v[2:3], off
	v_cmp_le_i64_e32 vcc_lo, s[30:31], v[7:8]
	s_or_b32 s1, vcc_lo, s1
	s_wait_loadcnt_dscnt 0x0
	v_mul_f32_e64 v9, v3, -v12
	v_mul_f32_e32 v10, v3, v6
	s_delay_alu instid0(VALU_DEP_2) | instskip(NEXT) | instid1(VALU_DEP_2)
	v_fmac_f32_e32 v9, v6, v2
	v_fmac_f32_e32 v10, v12, v2
	ds_store_b64 v11, v[9:10]
	s_wait_alu 0xfffe
	s_and_not1_b32 exec_lo, exec_lo, s1
	s_cbranch_execz .LBB86_69
.LBB86_58:                              ; =>This Loop Header: Depth=1
                                        ;     Child Loop BB86_60 Depth 2
	v_add_co_u32 v6, vcc_lo, s38, v4
	s_wait_alu 0xfffd
	v_add_co_ci_u32_e64 v7, null, s39, v5, vcc_lo
	v_dual_mov_b32 v8, s16 :: v_dual_mov_b32 v9, s17
	v_dual_mov_b32 v10, s34 :: v_dual_mov_b32 v11, s35
	s_wait_alu 0xfffe
	s_and_not1_b32 vcc_lo, exec_lo, s33
	s_wait_alu 0xfffe
	s_cbranch_vccnz .LBB86_62
; %bb.59:                               ;   in Loop: Header=BB86_58 Depth=1
	v_dual_mov_b32 v8, s16 :: v_dual_mov_b32 v9, s17
	v_dual_mov_b32 v10, s34 :: v_dual_mov_b32 v11, s35
	s_mov_b32 s40, 0
.LBB86_60:                              ;   Parent Loop BB86_58 Depth=1
                                        ; =>  This Inner Loop Header: Depth=2
	s_delay_alu instid0(VALU_DEP_1) | instskip(SKIP_1) | instid1(VALU_DEP_2)
	v_add_co_u32 v2, vcc_lo, v10, v8
	s_wait_alu 0xfffd
	v_add_co_ci_u32_e64 v3, null, v11, v9, vcc_lo
	s_delay_alu instid0(VALU_DEP_1) | instskip(NEXT) | instid1(VALU_DEP_1)
	v_lshrrev_b32_e32 v12, 31, v3
	v_add_co_u32 v2, vcc_lo, v2, v12
	s_wait_alu 0xfffd
	v_add_co_ci_u32_e64 v3, null, 0, v3, vcc_lo
	s_delay_alu instid0(VALU_DEP_1) | instskip(NEXT) | instid1(VALU_DEP_1)
	v_ashrrev_i64 v[2:3], 1, v[2:3]
	v_lshlrev_b64_e32 v[12:13], 3, v[2:3]
	s_delay_alu instid0(VALU_DEP_1) | instskip(SKIP_1) | instid1(VALU_DEP_2)
	v_add_co_u32 v12, vcc_lo, s8, v12
	s_wait_alu 0xfffd
	v_add_co_ci_u32_e64 v13, null, s9, v13, vcc_lo
	global_load_b64 v[12:13], v[12:13], off
	s_wait_loadcnt 0x0
	v_sub_co_u32 v12, vcc_lo, v12, s24
	s_wait_alu 0xfffd
	v_subrev_co_ci_u32_e64 v13, null, 0, v13, vcc_lo
	s_delay_alu instid0(VALU_DEP_1) | instskip(SKIP_3) | instid1(VALU_DEP_2)
	v_cmp_lt_i64_e32 vcc_lo, v[6:7], v[12:13]
	s_wait_alu 0xfffd
	v_dual_cndmask_b32 v11, v11, v3 :: v_dual_cndmask_b32 v10, v10, v2
	v_dual_cndmask_b32 v9, v3, v9 :: v_dual_cndmask_b32 v8, v2, v8
	v_add_co_u32 v2, vcc_lo, v10, -1
	s_wait_alu 0xfffd
	s_delay_alu instid0(VALU_DEP_3) | instskip(NEXT) | instid1(VALU_DEP_3)
	v_add_co_ci_u32_e64 v3, null, -1, v11, vcc_lo
	v_cmp_ge_i64_e32 vcc_lo, v[8:9], v[10:11]
	s_delay_alu instid0(VALU_DEP_2)
	v_cmp_eq_u64_e64 s0, v[8:9], v[2:3]
	s_or_b32 s0, vcc_lo, s0
	s_wait_alu 0xfffe
	s_and_b32 s0, exec_lo, s0
	s_wait_alu 0xfffe
	s_or_b32 s40, s0, s40
	s_delay_alu instid0(SALU_CYCLE_1)
	s_and_not1_b32 exec_lo, exec_lo, s40
	s_cbranch_execnz .LBB86_60
; %bb.61:                               ;   in Loop: Header=BB86_58 Depth=1
	s_or_b32 exec_lo, exec_lo, s40
.LBB86_62:                              ;   in Loop: Header=BB86_58 Depth=1
	v_lshlrev_b64_e32 v[2:3], 3, v[10:11]
	v_lshlrev_b64_e32 v[12:13], 2, v[6:7]
	v_cmp_le_i64_e64 s0, s[36:37], v[6:7]
	s_delay_alu instid0(VALU_DEP_3) | instskip(SKIP_1) | instid1(VALU_DEP_4)
	v_add_co_u32 v2, vcc_lo, s8, v2
	s_wait_alu 0xfffd
	v_add_co_ci_u32_e64 v3, null, s9, v3, vcc_lo
	s_delay_alu instid0(VALU_DEP_4)
	v_add_co_u32 v12, vcc_lo, s10, v12
	s_wait_alu 0xfffd
	v_add_co_ci_u32_e64 v13, null, s11, v13, vcc_lo
	global_load_b64 v[2:3], v[2:3], off
	global_load_b32 v14, v[12:13], off
	s_wait_loadcnt 0x1
	v_sub_co_u32 v12, vcc_lo, v2, s24
	s_wait_alu 0xfffd
	v_subrev_co_ci_u32_e64 v13, null, 0, v3, vcc_lo
	s_wait_loadcnt 0x0
	v_subrev_nc_u32_e32 v2, s24, v14
	s_delay_alu instid0(VALU_DEP_2) | instskip(NEXT) | instid1(VALU_DEP_2)
	v_cmp_lt_i64_e32 vcc_lo, v[6:7], v[12:13]
                                        ; implicit-def: $vgpr6
	v_ashrrev_i32_e32 v3, 31, v2
	s_wait_alu 0xfffd
	v_dual_cndmask_b32 v9, v11, v9 :: v_dual_cndmask_b32 v8, v10, v8
	v_add_co_u32 v10, null, s38, v0
	s_delay_alu instid0(VALU_DEP_2) | instskip(NEXT) | instid1(VALU_DEP_2)
	v_cmp_eq_u64_e32 vcc_lo, v[8:9], v[2:3]
	v_lshlrev_b32_e32 v11, 3, v10
	s_or_b32 s0, vcc_lo, s0
	s_wait_alu 0xfffe
	s_and_saveexec_b32 s40, s0
	s_delay_alu instid0(SALU_CYCLE_1)
	s_xor_b32 s0, exec_lo, s40
; %bb.63:                               ;   in Loop: Header=BB86_58 Depth=1
	ds_load_b32 v6, v11
                                        ; implicit-def: $vgpr11
                                        ; implicit-def: $vgpr8_vgpr9
; %bb.64:                               ;   in Loop: Header=BB86_58 Depth=1
	s_wait_alu 0xfffe
	s_and_not1_saveexec_b32 s40, s0
	s_cbranch_execz .LBB86_57
; %bb.65:                               ;   in Loop: Header=BB86_58 Depth=1
	v_cmp_gt_i64_e32 vcc_lo, s[12:13], v[2:3]
	v_cmp_le_i64_e64 s0, s[18:19], v[2:3]
	v_lshlrev_b64_e32 v[7:8], 3, v[8:9]
                                        ; implicit-def: $vgpr6
	s_or_b32 s0, vcc_lo, s0
	s_wait_alu 0xfffe
	s_and_saveexec_b32 s41, s0
	s_delay_alu instid0(SALU_CYCLE_1)
	s_xor_b32 s0, exec_lo, s41
	s_cbranch_execz .LBB86_67
; %bb.66:                               ;   in Loop: Header=BB86_58 Depth=1
	s_wait_dscnt 0x0
	v_add_co_u32 v6, vcc_lo, s14, v7
	s_wait_alu 0xfffd
	v_add_co_ci_u32_e64 v7, null, s15, v8, vcc_lo
	global_load_b64 v[8:9], v[6:7], off
	ds_load_b64 v[6:7], v11
	v_lshlrev_b64_e32 v[11:12], 3, v[2:3]
	s_delay_alu instid0(VALU_DEP_1) | instskip(SKIP_1) | instid1(VALU_DEP_2)
	v_add_co_u32 v11, vcc_lo, s20, v11
	s_wait_alu 0xfffd
	v_add_co_ci_u32_e64 v12, null, s21, v12, vcc_lo
	s_wait_loadcnt_dscnt 0x0
	v_mul_f32_e64 v13, v9, -v7
	v_mul_f32_e32 v9, v9, v6
	s_delay_alu instid0(VALU_DEP_2) | instskip(NEXT) | instid1(VALU_DEP_2)
	v_fmac_f32_e32 v13, v6, v8
	v_fmac_f32_e32 v9, v7, v8
                                        ; implicit-def: $vgpr7_vgpr8
	s_clause 0x1
	global_atomic_add_f32 v[11:12], v13, off scope:SCOPE_DEV
	global_atomic_add_f32 v[11:12], v9, off offset:4 scope:SCOPE_DEV
                                        ; implicit-def: $vgpr11
.LBB86_67:                              ;   in Loop: Header=BB86_58 Depth=1
	s_wait_alu 0xfffe
	s_and_not1_saveexec_b32 s0, s0
	s_cbranch_execz .LBB86_56
; %bb.68:                               ;   in Loop: Header=BB86_58 Depth=1
	s_wait_dscnt 0x0
	v_add_co_u32 v6, vcc_lo, s14, v7
	s_wait_alu 0xfffd
	v_add_co_ci_u32_e64 v7, null, s15, v8, vcc_lo
	global_load_b64 v[8:9], v[6:7], off
	ds_load_b64 v[6:7], v11
	v_subrev_nc_u32_e32 v11, s12, v2
	s_delay_alu instid0(VALU_DEP_1) | instskip(SKIP_2) | instid1(VALU_DEP_1)
	v_lshl_add_u32 v11, v11, 3, 0x2000
	s_wait_loadcnt_dscnt 0x0
	v_mul_f32_e64 v12, v9, -v7
	v_dual_mul_f32 v9, v9, v6 :: v_dual_fmac_f32 v12, v6, v8
	s_delay_alu instid0(VALU_DEP_1)
	v_fmac_f32_e32 v9, v7, v8
	ds_add_f32 v11, v12
	ds_add_f32 v11, v9 offset:4
	s_branch .LBB86_56
.LBB86_69:
	s_or_b32 exec_lo, exec_lo, s29
                                        ; implicit-def: $vgpr2_vgpr3
                                        ; implicit-def: $vgpr4
                                        ; implicit-def: $vgpr8_vgpr9
.LBB86_70:
	s_wait_alu 0xfffe
	s_and_not1_saveexec_b32 s1, s7
	s_cbranch_execz .LBB86_112
; %bb.71:
	s_add_nc_u64 s[30:31], s[18:19], -1
	s_add_nc_u64 s[34:35], s[18:19], -2
	v_dual_mov_b32 v10, s16 :: v_dual_mov_b32 v11, s17
	s_wait_alu 0xfffe
	v_dual_mov_b32 v12, s30 :: v_dual_mov_b32 v13, s31
	s_cmp_lg_u64 s[16:17], s[34:35]
	s_cselect_b32 s7, -1, 0
	s_cmp_eq_u64 s[16:17], s[34:35]
	s_cbranch_scc1 .LBB86_75
; %bb.72:
	v_dual_mov_b32 v10, s16 :: v_dual_mov_b32 v11, s17
	v_dual_mov_b32 v12, s30 :: v_dual_mov_b32 v13, s31
	s_mov_b32 s29, 0
.LBB86_73:                              ; =>This Inner Loop Header: Depth=1
	s_delay_alu instid0(VALU_DEP_1) | instskip(SKIP_1) | instid1(VALU_DEP_2)
	v_add_co_u32 v6, vcc_lo, v12, v10
	s_wait_alu 0xfffd
	v_add_co_ci_u32_e64 v7, null, v13, v11, vcc_lo
	s_delay_alu instid0(VALU_DEP_1) | instskip(NEXT) | instid1(VALU_DEP_1)
	v_lshrrev_b32_e32 v14, 31, v7
	v_add_co_u32 v6, vcc_lo, v6, v14
	s_wait_alu 0xfffd
	v_add_co_ci_u32_e64 v7, null, 0, v7, vcc_lo
	s_delay_alu instid0(VALU_DEP_1) | instskip(NEXT) | instid1(VALU_DEP_1)
	v_ashrrev_i64 v[6:7], 1, v[6:7]
	v_lshlrev_b64_e32 v[14:15], 3, v[6:7]
	s_delay_alu instid0(VALU_DEP_1) | instskip(SKIP_1) | instid1(VALU_DEP_2)
	v_add_co_u32 v14, vcc_lo, s8, v14
	s_wait_alu 0xfffd
	v_add_co_ci_u32_e64 v15, null, s9, v15, vcc_lo
	global_load_b64 v[14:15], v[14:15], off
	s_wait_loadcnt 0x0
	v_sub_co_u32 v14, vcc_lo, v14, s24
	s_wait_alu 0xfffd
	v_subrev_co_ci_u32_e64 v15, null, 0, v15, vcc_lo
	s_delay_alu instid0(VALU_DEP_1) | instskip(SKIP_3) | instid1(VALU_DEP_2)
	v_cmp_lt_i64_e32 vcc_lo, v[4:5], v[14:15]
	s_wait_alu 0xfffd
	v_dual_cndmask_b32 v13, v13, v7 :: v_dual_cndmask_b32 v12, v12, v6
	v_dual_cndmask_b32 v11, v7, v11 :: v_dual_cndmask_b32 v10, v6, v10
	v_add_co_u32 v6, vcc_lo, v12, -1
	s_wait_alu 0xfffd
	s_delay_alu instid0(VALU_DEP_3) | instskip(NEXT) | instid1(VALU_DEP_3)
	v_add_co_ci_u32_e64 v7, null, -1, v13, vcc_lo
	v_cmp_ge_i64_e32 vcc_lo, v[10:11], v[12:13]
	s_delay_alu instid0(VALU_DEP_2)
	v_cmp_eq_u64_e64 s0, v[10:11], v[6:7]
	s_or_b32 s0, vcc_lo, s0
	s_wait_alu 0xfffe
	s_and_b32 s0, exec_lo, s0
	s_wait_alu 0xfffe
	s_or_b32 s29, s0, s29
	s_delay_alu instid0(SALU_CYCLE_1)
	s_and_not1_b32 exec_lo, exec_lo, s29
	s_cbranch_execnz .LBB86_73
; %bb.74:
	s_or_b32 exec_lo, exec_lo, s29
.LBB86_75:
	v_lshlrev_b64_e32 v[6:7], 3, v[12:13]
	s_mov_b32 s29, exec_lo
	s_delay_alu instid0(VALU_DEP_1) | instskip(SKIP_1) | instid1(VALU_DEP_2)
	v_add_co_u32 v6, vcc_lo, s8, v6
	s_wait_alu 0xfffd
	v_add_co_ci_u32_e64 v7, null, s9, v7, vcc_lo
	global_load_b64 v[14:15], v[6:7], off
	v_add_co_u32 v6, vcc_lo, s10, v8
	s_wait_alu 0xfffd
	v_add_co_ci_u32_e64 v7, null, s11, v9, vcc_lo
	s_lshl_b64 s[10:11], s[18:19], 3
	s_wait_alu 0xfffe
	s_add_nc_u64 s[10:11], s[8:9], s[10:11]
	global_load_b32 v18, v[6:7], off
	s_wait_loadcnt 0x1
	v_sub_co_u32 v8, vcc_lo, v14, s24
	s_wait_alu 0xfffd
	v_subrev_co_ci_u32_e64 v9, null, 0, v15, vcc_lo
	s_delay_alu instid0(VALU_DEP_1) | instskip(SKIP_2) | instid1(VALU_DEP_1)
	v_cmp_lt_i64_e32 vcc_lo, v[4:5], v[8:9]
	s_wait_loadcnt 0x0
	v_subrev_nc_u32_e32 v8, s24, v18
	v_ashrrev_i32_e32 v9, 31, v8
	s_wait_alu 0xfffd
	v_dual_cndmask_b32 v11, v13, v11 :: v_dual_cndmask_b32 v10, v12, v10
	s_delay_alu instid0(VALU_DEP_1)
	v_cmpx_ne_u64_e64 v[10:11], v[8:9]
	s_cbranch_execz .LBB86_81
; %bb.76:
	s_load_b64 s[34:35], s[10:11], 0x0
	s_wait_kmcnt 0x0
	s_sub_nc_u64 s[34:35], s[34:35], s[24:25]
	s_wait_alu 0xfffe
	v_cmp_gt_i64_e32 vcc_lo, s[34:35], v[4:5]
	s_and_b32 exec_lo, exec_lo, vcc_lo
	s_cbranch_execz .LBB86_81
; %bb.77:
	v_cmp_gt_i64_e32 vcc_lo, s[12:13], v[8:9]
	v_cmp_le_i64_e64 s0, s[18:19], v[8:9]
	v_lshlrev_b64_e32 v[10:11], 3, v[10:11]
	s_or_b32 s0, vcc_lo, s0
	s_wait_alu 0xfffe
	s_and_saveexec_b32 s33, s0
	s_wait_alu 0xfffe
	s_xor_b32 s0, exec_lo, s33
	s_cbranch_execz .LBB86_79
; %bb.78:
	v_add_co_u32 v10, vcc_lo, s14, v10
	s_wait_alu 0xfffd
	v_add_co_ci_u32_e64 v11, null, s15, v11, vcc_lo
	ds_load_b64 v[12:13], v16
	v_lshlrev_b64_e32 v[14:15], 3, v[8:9]
	global_load_b64 v[10:11], v[10:11], off
	v_add_co_u32 v14, vcc_lo, s20, v14
	s_wait_alu 0xfffd
	v_add_co_ci_u32_e64 v15, null, s21, v15, vcc_lo
	s_wait_loadcnt_dscnt 0x0
	v_mul_f32_e64 v18, v11, -v13
	s_delay_alu instid0(VALU_DEP_1) | instskip(NEXT) | instid1(VALU_DEP_1)
	v_dual_mul_f32 v11, v11, v12 :: v_dual_fmac_f32 v18, v12, v10
	v_fmac_f32_e32 v11, v13, v10
	s_clause 0x1
	global_atomic_add_f32 v[14:15], v18, off scope:SCOPE_DEV
	global_atomic_add_f32 v[14:15], v11, off offset:4 scope:SCOPE_DEV
                                        ; implicit-def: $vgpr10_vgpr11
.LBB86_79:
	s_wait_alu 0xfffe
	s_and_not1_saveexec_b32 s0, s0
	s_cbranch_execz .LBB86_81
; %bb.80:
	v_add_co_u32 v10, vcc_lo, s14, v10
	s_wait_alu 0xfffd
	v_add_co_ci_u32_e64 v11, null, s15, v11, vcc_lo
	ds_load_b64 v[12:13], v16
	v_subrev_nc_u32_e32 v14, s12, v8
	global_load_b64 v[10:11], v[10:11], off
	v_lshl_add_u32 v14, v14, 3, 0x2000
	s_wait_loadcnt_dscnt 0x0
	v_mul_f32_e64 v15, v11, -v13
	v_mul_f32_e32 v11, v11, v12
	s_delay_alu instid0(VALU_DEP_2) | instskip(NEXT) | instid1(VALU_DEP_2)
	v_fmac_f32_e32 v15, v12, v10
	v_fmac_f32_e32 v11, v13, v10
	ds_add_f32 v14, v15
	ds_add_f32 v14, v11 offset:4
.LBB86_81:
	s_or_b32 exec_lo, exec_lo, s29
	v_lshlrev_b64_e32 v[8:9], 3, v[8:9]
	ds_load_b64 v[12:13], v16
	v_cndmask_b32_e64 v18, 0, 1, s7
	v_add_co_u32 v8, vcc_lo, s14, v8
	s_wait_alu 0xfffd
	v_add_co_ci_u32_e64 v9, null, s15, v9, vcc_lo
	global_load_b64 v[10:11], v[8:9], off
	v_add_co_u32 v8, vcc_lo, 0x100, v4
	s_wait_alu 0xfffd
	v_add_co_ci_u32_e64 v9, null, 0, v5, vcc_lo
	s_and_not1_b32 vcc_lo, exec_lo, s7
	s_wait_loadcnt_dscnt 0x0
	v_mul_f32_e64 v14, v11, -v13
	s_delay_alu instid0(VALU_DEP_1) | instskip(NEXT) | instid1(VALU_DEP_1)
	v_dual_mul_f32 v15, v11, v12 :: v_dual_fmac_f32 v14, v12, v10
	v_dual_fmac_f32 v15, v13, v10 :: v_dual_mov_b32 v10, s16
	v_dual_mov_b32 v11, s17 :: v_dual_mov_b32 v12, s30
	v_mov_b32_e32 v13, s31
	ds_store_b64 v16, v[14:15]
	s_wait_alu 0xfffe
	s_cbranch_vccnz .LBB86_85
; %bb.82:
	v_dual_mov_b32 v10, s16 :: v_dual_mov_b32 v11, s17
	v_dual_mov_b32 v12, s30 :: v_dual_mov_b32 v13, s31
	s_mov_b32 s7, 0
.LBB86_83:                              ; =>This Inner Loop Header: Depth=1
	s_delay_alu instid0(VALU_DEP_1) | instskip(SKIP_1) | instid1(VALU_DEP_2)
	v_add_co_u32 v14, vcc_lo, v12, v10
	s_wait_alu 0xfffd
	v_add_co_ci_u32_e64 v15, null, v13, v11, vcc_lo
	s_delay_alu instid0(VALU_DEP_1) | instskip(NEXT) | instid1(VALU_DEP_1)
	v_lshrrev_b32_e32 v19, 31, v15
	v_add_co_u32 v14, vcc_lo, v14, v19
	s_wait_alu 0xfffd
	v_add_co_ci_u32_e64 v15, null, 0, v15, vcc_lo
	s_delay_alu instid0(VALU_DEP_1) | instskip(NEXT) | instid1(VALU_DEP_1)
	v_ashrrev_i64 v[14:15], 1, v[14:15]
	v_lshlrev_b64_e32 v[19:20], 3, v[14:15]
	s_delay_alu instid0(VALU_DEP_1) | instskip(SKIP_1) | instid1(VALU_DEP_2)
	v_add_co_u32 v19, vcc_lo, s8, v19
	s_wait_alu 0xfffd
	v_add_co_ci_u32_e64 v20, null, s9, v20, vcc_lo
	global_load_b64 v[19:20], v[19:20], off
	s_wait_loadcnt 0x0
	v_sub_co_u32 v19, vcc_lo, v19, s24
	s_wait_alu 0xfffd
	v_subrev_co_ci_u32_e64 v20, null, 0, v20, vcc_lo
	s_delay_alu instid0(VALU_DEP_1) | instskip(SKIP_3) | instid1(VALU_DEP_2)
	v_cmp_lt_i64_e32 vcc_lo, v[8:9], v[19:20]
	s_wait_alu 0xfffd
	v_dual_cndmask_b32 v13, v13, v15 :: v_dual_cndmask_b32 v12, v12, v14
	v_dual_cndmask_b32 v11, v15, v11 :: v_dual_cndmask_b32 v10, v14, v10
	v_add_co_u32 v14, vcc_lo, v12, -1
	s_wait_alu 0xfffd
	s_delay_alu instid0(VALU_DEP_3) | instskip(NEXT) | instid1(VALU_DEP_3)
	v_add_co_ci_u32_e64 v15, null, -1, v13, vcc_lo
	v_cmp_ge_i64_e32 vcc_lo, v[10:11], v[12:13]
	s_delay_alu instid0(VALU_DEP_2)
	v_cmp_eq_u64_e64 s0, v[10:11], v[14:15]
	s_or_b32 s0, vcc_lo, s0
	s_wait_alu 0xfffe
	s_and_b32 s0, exec_lo, s0
	s_wait_alu 0xfffe
	s_or_b32 s7, s0, s7
	s_wait_alu 0xfffe
	s_and_not1_b32 exec_lo, exec_lo, s7
	s_cbranch_execnz .LBB86_83
; %bb.84:
	s_or_b32 exec_lo, exec_lo, s7
.LBB86_85:
	v_lshlrev_b64_e32 v[14:15], 3, v[12:13]
	s_mov_b32 s7, exec_lo
	s_delay_alu instid0(VALU_DEP_1) | instskip(SKIP_1) | instid1(VALU_DEP_2)
	v_add_co_u32 v14, vcc_lo, s8, v14
	s_wait_alu 0xfffd
	v_add_co_ci_u32_e64 v15, null, s9, v15, vcc_lo
	global_load_b64 v[14:15], v[14:15], off
	global_load_b32 v19, v[6:7], off offset:1024
	s_wait_loadcnt 0x1
	v_sub_co_u32 v14, vcc_lo, v14, s24
	s_wait_alu 0xfffd
	v_subrev_co_ci_u32_e64 v15, null, 0, v15, vcc_lo
	s_delay_alu instid0(VALU_DEP_1) | instskip(SKIP_2) | instid1(VALU_DEP_1)
	v_cmp_lt_i64_e32 vcc_lo, v[8:9], v[14:15]
	s_wait_loadcnt 0x0
	v_subrev_nc_u32_e32 v14, s24, v19
	v_ashrrev_i32_e32 v15, 31, v14
	s_wait_alu 0xfffd
	v_dual_cndmask_b32 v11, v13, v11 :: v_dual_cndmask_b32 v10, v12, v10
	s_delay_alu instid0(VALU_DEP_1)
	v_cmpx_ne_u64_e64 v[10:11], v[14:15]
	s_cbranch_execz .LBB86_91
; %bb.86:
	s_load_b64 s[34:35], s[10:11], 0x0
	s_wait_kmcnt 0x0
	s_sub_nc_u64 s[34:35], s[34:35], s[24:25]
	s_wait_alu 0xfffe
	v_cmp_gt_i64_e32 vcc_lo, s[34:35], v[8:9]
	s_and_b32 exec_lo, exec_lo, vcc_lo
	s_cbranch_execz .LBB86_91
; %bb.87:
	v_cmp_gt_i64_e32 vcc_lo, s[12:13], v[14:15]
	v_cmp_le_i64_e64 s0, s[18:19], v[14:15]
	v_lshlrev_b64_e32 v[8:9], 3, v[10:11]
	s_or_b32 s0, vcc_lo, s0
	s_wait_alu 0xfffe
	s_and_saveexec_b32 s29, s0
	s_delay_alu instid0(SALU_CYCLE_1)
	s_xor_b32 s0, exec_lo, s29
	s_cbranch_execz .LBB86_89
; %bb.88:
	v_add_co_u32 v8, vcc_lo, s14, v8
	s_wait_alu 0xfffd
	v_add_co_ci_u32_e64 v9, null, s15, v9, vcc_lo
	ds_load_b64 v[10:11], v16 offset:2048
	v_lshlrev_b64_e32 v[12:13], 3, v[14:15]
	global_load_b64 v[8:9], v[8:9], off
	v_add_co_u32 v12, vcc_lo, s20, v12
	s_wait_alu 0xfffd
	v_add_co_ci_u32_e64 v13, null, s21, v13, vcc_lo
	s_wait_loadcnt_dscnt 0x0
	v_mul_f32_e64 v19, v9, -v11
	v_mul_f32_e32 v9, v9, v10
	s_delay_alu instid0(VALU_DEP_2) | instskip(NEXT) | instid1(VALU_DEP_2)
	v_fmac_f32_e32 v19, v10, v8
	v_fmac_f32_e32 v9, v11, v8
	s_clause 0x1
	global_atomic_add_f32 v[12:13], v19, off scope:SCOPE_DEV
	global_atomic_add_f32 v[12:13], v9, off offset:4 scope:SCOPE_DEV
                                        ; implicit-def: $vgpr8_vgpr9
.LBB86_89:
	s_wait_alu 0xfffe
	s_and_not1_saveexec_b32 s0, s0
	s_cbranch_execz .LBB86_91
; %bb.90:
	v_add_co_u32 v8, vcc_lo, s14, v8
	s_wait_alu 0xfffd
	v_add_co_ci_u32_e64 v9, null, s15, v9, vcc_lo
	ds_load_b64 v[10:11], v16 offset:2048
	v_subrev_nc_u32_e32 v12, s12, v14
	global_load_b64 v[8:9], v[8:9], off
	v_lshl_add_u32 v12, v12, 3, 0x2000
	s_wait_loadcnt_dscnt 0x0
	v_mul_f32_e64 v13, v9, -v11
	v_mul_f32_e32 v9, v9, v10
	s_delay_alu instid0(VALU_DEP_2) | instskip(NEXT) | instid1(VALU_DEP_2)
	v_fmac_f32_e32 v13, v10, v8
	v_fmac_f32_e32 v9, v11, v8
	ds_add_f32 v12, v13
	ds_add_f32 v12, v9 offset:4
.LBB86_91:
	s_wait_alu 0xfffe
	s_or_b32 exec_lo, exec_lo, s7
	v_lshlrev_b64_e32 v[8:9], 3, v[14:15]
	ds_load_b64 v[10:11], v16 offset:2048
	v_add_co_u32 v8, vcc_lo, s14, v8
	s_wait_alu 0xfffd
	v_add_co_ci_u32_e64 v9, null, s15, v9, vcc_lo
	v_add_co_u32 v4, vcc_lo, 0x200, v4
	s_wait_alu 0xfffd
	v_add_co_ci_u32_e64 v5, null, 0, v5, vcc_lo
	global_load_b64 v[8:9], v[8:9], off
	v_cmp_ne_u32_e32 vcc_lo, 1, v18
	s_and_b32 vcc_lo, exec_lo, vcc_lo
	s_wait_loadcnt_dscnt 0x0
	v_mul_f32_e64 v12, v9, -v11
	s_delay_alu instid0(VALU_DEP_1) | instskip(NEXT) | instid1(VALU_DEP_1)
	v_dual_mul_f32 v13, v9, v10 :: v_dual_fmac_f32 v12, v10, v8
	v_dual_fmac_f32 v13, v11, v8 :: v_dual_mov_b32 v8, s16
	v_dual_mov_b32 v9, s17 :: v_dual_mov_b32 v10, s30
	v_mov_b32_e32 v11, s31
	ds_store_b64 v16, v[12:13] offset:2048
	s_wait_alu 0xfffe
	s_cbranch_vccnz .LBB86_95
; %bb.92:
	v_dual_mov_b32 v8, s16 :: v_dual_mov_b32 v9, s17
	v_dual_mov_b32 v10, s30 :: v_dual_mov_b32 v11, s31
	s_mov_b32 s7, 0
.LBB86_93:                              ; =>This Inner Loop Header: Depth=1
	s_delay_alu instid0(VALU_DEP_1) | instskip(SKIP_1) | instid1(VALU_DEP_2)
	v_add_co_u32 v12, vcc_lo, v10, v8
	s_wait_alu 0xfffd
	v_add_co_ci_u32_e64 v13, null, v11, v9, vcc_lo
	s_delay_alu instid0(VALU_DEP_1) | instskip(NEXT) | instid1(VALU_DEP_1)
	v_lshrrev_b32_e32 v14, 31, v13
	v_add_co_u32 v12, vcc_lo, v12, v14
	s_wait_alu 0xfffd
	v_add_co_ci_u32_e64 v13, null, 0, v13, vcc_lo
	s_delay_alu instid0(VALU_DEP_1) | instskip(NEXT) | instid1(VALU_DEP_1)
	v_ashrrev_i64 v[12:13], 1, v[12:13]
	v_lshlrev_b64_e32 v[14:15], 3, v[12:13]
	s_delay_alu instid0(VALU_DEP_1) | instskip(SKIP_1) | instid1(VALU_DEP_2)
	v_add_co_u32 v14, vcc_lo, s8, v14
	s_wait_alu 0xfffd
	v_add_co_ci_u32_e64 v15, null, s9, v15, vcc_lo
	global_load_b64 v[14:15], v[14:15], off
	s_wait_loadcnt 0x0
	v_sub_co_u32 v14, vcc_lo, v14, s24
	s_wait_alu 0xfffd
	v_subrev_co_ci_u32_e64 v15, null, 0, v15, vcc_lo
	s_delay_alu instid0(VALU_DEP_1) | instskip(SKIP_3) | instid1(VALU_DEP_2)
	v_cmp_lt_i64_e32 vcc_lo, v[4:5], v[14:15]
	s_wait_alu 0xfffd
	v_dual_cndmask_b32 v11, v11, v13 :: v_dual_cndmask_b32 v10, v10, v12
	v_dual_cndmask_b32 v9, v13, v9 :: v_dual_cndmask_b32 v8, v12, v8
	v_add_co_u32 v12, vcc_lo, v10, -1
	s_wait_alu 0xfffd
	s_delay_alu instid0(VALU_DEP_3) | instskip(NEXT) | instid1(VALU_DEP_3)
	v_add_co_ci_u32_e64 v13, null, -1, v11, vcc_lo
	v_cmp_ge_i64_e32 vcc_lo, v[8:9], v[10:11]
	s_delay_alu instid0(VALU_DEP_2)
	v_cmp_eq_u64_e64 s0, v[8:9], v[12:13]
	s_or_b32 s0, vcc_lo, s0
	s_wait_alu 0xfffe
	s_and_b32 s0, exec_lo, s0
	s_wait_alu 0xfffe
	s_or_b32 s7, s0, s7
	s_wait_alu 0xfffe
	s_and_not1_b32 exec_lo, exec_lo, s7
	s_cbranch_execnz .LBB86_93
; %bb.94:
	s_or_b32 exec_lo, exec_lo, s7
.LBB86_95:
	v_lshlrev_b64_e32 v[12:13], 3, v[10:11]
	s_mov_b32 s7, exec_lo
	s_delay_alu instid0(VALU_DEP_1) | instskip(SKIP_1) | instid1(VALU_DEP_2)
	v_add_co_u32 v12, vcc_lo, s8, v12
	s_wait_alu 0xfffd
	v_add_co_ci_u32_e64 v13, null, s9, v13, vcc_lo
	global_load_b64 v[12:13], v[12:13], off
	global_load_b32 v14, v[6:7], off offset:2048
	s_wait_loadcnt 0x1
	v_sub_co_u32 v12, vcc_lo, v12, s24
	s_wait_alu 0xfffd
	v_subrev_co_ci_u32_e64 v13, null, 0, v13, vcc_lo
	s_delay_alu instid0(VALU_DEP_1) | instskip(SKIP_2) | instid1(VALU_DEP_1)
	v_cmp_lt_i64_e32 vcc_lo, v[4:5], v[12:13]
	s_wait_loadcnt 0x0
	v_subrev_nc_u32_e32 v12, s24, v14
	v_ashrrev_i32_e32 v13, 31, v12
	s_wait_alu 0xfffd
	v_dual_cndmask_b32 v9, v11, v9 :: v_dual_cndmask_b32 v8, v10, v8
	s_delay_alu instid0(VALU_DEP_1)
	v_cmpx_ne_u64_e64 v[8:9], v[12:13]
	s_cbranch_execz .LBB86_101
; %bb.96:
	s_load_b64 s[34:35], s[10:11], 0x0
	s_wait_kmcnt 0x0
	s_sub_nc_u64 s[34:35], s[34:35], s[24:25]
	s_wait_alu 0xfffe
	v_cmp_gt_i64_e32 vcc_lo, s[34:35], v[4:5]
	s_and_b32 exec_lo, exec_lo, vcc_lo
	s_cbranch_execz .LBB86_101
; %bb.97:
	v_cmp_gt_i64_e32 vcc_lo, s[12:13], v[12:13]
	v_cmp_le_i64_e64 s0, s[18:19], v[12:13]
	v_lshlrev_b64_e32 v[4:5], 3, v[8:9]
	s_or_b32 s0, vcc_lo, s0
	s_wait_alu 0xfffe
	s_and_saveexec_b32 s29, s0
	s_delay_alu instid0(SALU_CYCLE_1)
	s_xor_b32 s0, exec_lo, s29
	s_cbranch_execz .LBB86_99
; %bb.98:
	v_add_co_u32 v4, vcc_lo, s14, v4
	s_wait_alu 0xfffd
	v_add_co_ci_u32_e64 v5, null, s15, v5, vcc_lo
	ds_load_b64 v[8:9], v16 offset:4096
	v_lshlrev_b64_e32 v[10:11], 3, v[12:13]
	global_load_b64 v[4:5], v[4:5], off
	v_add_co_u32 v10, vcc_lo, s20, v10
	s_wait_alu 0xfffd
	v_add_co_ci_u32_e64 v11, null, s21, v11, vcc_lo
	s_wait_loadcnt_dscnt 0x0
	v_mul_f32_e64 v14, v5, -v9
	v_mul_f32_e32 v5, v5, v8
	s_delay_alu instid0(VALU_DEP_2) | instskip(NEXT) | instid1(VALU_DEP_2)
	v_fmac_f32_e32 v14, v8, v4
	v_fmac_f32_e32 v5, v9, v4
	s_clause 0x1
	global_atomic_add_f32 v[10:11], v14, off scope:SCOPE_DEV
	global_atomic_add_f32 v[10:11], v5, off offset:4 scope:SCOPE_DEV
                                        ; implicit-def: $vgpr4_vgpr5
.LBB86_99:
	s_wait_alu 0xfffe
	s_and_not1_saveexec_b32 s0, s0
	s_cbranch_execz .LBB86_101
; %bb.100:
	v_add_co_u32 v4, vcc_lo, s14, v4
	s_wait_alu 0xfffd
	v_add_co_ci_u32_e64 v5, null, s15, v5, vcc_lo
	ds_load_b64 v[8:9], v16 offset:4096
	v_subrev_nc_u32_e32 v10, s12, v12
	global_load_b64 v[4:5], v[4:5], off
	v_lshl_add_u32 v10, v10, 3, 0x2000
	s_wait_loadcnt_dscnt 0x0
	v_mul_f32_e64 v11, v5, -v9
	v_mul_f32_e32 v5, v5, v8
	s_delay_alu instid0(VALU_DEP_2) | instskip(NEXT) | instid1(VALU_DEP_2)
	v_fmac_f32_e32 v11, v8, v4
	v_fmac_f32_e32 v5, v9, v4
	ds_add_f32 v10, v11
	ds_add_f32 v10, v5 offset:4
.LBB86_101:
	s_wait_alu 0xfffe
	s_or_b32 exec_lo, exec_lo, s7
	v_lshlrev_b64_e32 v[4:5], 3, v[12:13]
	ds_load_b64 v[8:9], v16 offset:4096
	v_add_co_u32 v4, vcc_lo, s14, v4
	s_wait_alu 0xfffd
	v_add_co_ci_u32_e64 v5, null, s15, v5, vcc_lo
	v_cmp_ne_u32_e32 vcc_lo, 1, v18
	global_load_b64 v[4:5], v[4:5], off
	s_and_b32 vcc_lo, exec_lo, vcc_lo
	s_wait_loadcnt_dscnt 0x0
	v_mul_f32_e64 v10, v5, -v9
	v_mul_f32_e32 v11, v5, v8
	s_delay_alu instid0(VALU_DEP_2) | instskip(NEXT) | instid1(VALU_DEP_2)
	v_fmac_f32_e32 v10, v8, v4
	v_dual_fmac_f32 v11, v9, v4 :: v_dual_mov_b32 v8, s30
	v_dual_mov_b32 v4, s16 :: v_dual_mov_b32 v5, s17
	v_mov_b32_e32 v9, s31
	ds_store_b64 v16, v[10:11] offset:4096
	s_wait_alu 0xfffe
	s_cbranch_vccnz .LBB86_105
; %bb.102:
	v_dual_mov_b32 v4, s16 :: v_dual_mov_b32 v5, s17
	v_dual_mov_b32 v8, s30 :: v_dual_mov_b32 v9, s31
	s_mov_b32 s7, 0
.LBB86_103:                             ; =>This Inner Loop Header: Depth=1
	s_delay_alu instid0(VALU_DEP_1) | instskip(SKIP_1) | instid1(VALU_DEP_2)
	v_add_co_u32 v10, vcc_lo, v8, v4
	s_wait_alu 0xfffd
	v_add_co_ci_u32_e64 v11, null, v9, v5, vcc_lo
	s_delay_alu instid0(VALU_DEP_1) | instskip(NEXT) | instid1(VALU_DEP_1)
	v_lshrrev_b32_e32 v12, 31, v11
	v_add_co_u32 v10, vcc_lo, v10, v12
	s_wait_alu 0xfffd
	v_add_co_ci_u32_e64 v11, null, 0, v11, vcc_lo
	s_delay_alu instid0(VALU_DEP_1) | instskip(NEXT) | instid1(VALU_DEP_1)
	v_ashrrev_i64 v[10:11], 1, v[10:11]
	v_lshlrev_b64_e32 v[12:13], 3, v[10:11]
	s_delay_alu instid0(VALU_DEP_1) | instskip(SKIP_1) | instid1(VALU_DEP_2)
	v_add_co_u32 v12, vcc_lo, s8, v12
	s_wait_alu 0xfffd
	v_add_co_ci_u32_e64 v13, null, s9, v13, vcc_lo
	global_load_b64 v[12:13], v[12:13], off
	s_wait_loadcnt 0x0
	v_sub_co_u32 v12, vcc_lo, v12, s24
	s_wait_alu 0xfffd
	v_subrev_co_ci_u32_e64 v13, null, 0, v13, vcc_lo
	s_delay_alu instid0(VALU_DEP_1) | instskip(SKIP_3) | instid1(VALU_DEP_2)
	v_cmp_lt_i64_e32 vcc_lo, v[2:3], v[12:13]
	s_wait_alu 0xfffd
	v_dual_cndmask_b32 v9, v9, v11 :: v_dual_cndmask_b32 v8, v8, v10
	v_dual_cndmask_b32 v5, v11, v5 :: v_dual_cndmask_b32 v4, v10, v4
	v_add_co_u32 v10, vcc_lo, v8, -1
	s_wait_alu 0xfffd
	s_delay_alu instid0(VALU_DEP_3) | instskip(NEXT) | instid1(VALU_DEP_3)
	v_add_co_ci_u32_e64 v11, null, -1, v9, vcc_lo
	v_cmp_ge_i64_e32 vcc_lo, v[4:5], v[8:9]
	s_delay_alu instid0(VALU_DEP_2)
	v_cmp_eq_u64_e64 s0, v[4:5], v[10:11]
	s_or_b32 s0, vcc_lo, s0
	s_wait_alu 0xfffe
	s_and_b32 s0, exec_lo, s0
	s_wait_alu 0xfffe
	s_or_b32 s7, s0, s7
	s_wait_alu 0xfffe
	s_and_not1_b32 exec_lo, exec_lo, s7
	s_cbranch_execnz .LBB86_103
; %bb.104:
	s_or_b32 exec_lo, exec_lo, s7
.LBB86_105:
	v_lshlrev_b64_e32 v[10:11], 3, v[8:9]
	s_mov_b32 s7, exec_lo
	s_delay_alu instid0(VALU_DEP_1) | instskip(SKIP_1) | instid1(VALU_DEP_2)
	v_add_co_u32 v10, vcc_lo, s8, v10
	s_wait_alu 0xfffd
	v_add_co_ci_u32_e64 v11, null, s9, v11, vcc_lo
	global_load_b64 v[10:11], v[10:11], off
	global_load_b32 v12, v[6:7], off offset:3072
	s_wait_loadcnt 0x1
	v_sub_co_u32 v6, vcc_lo, v10, s24
	s_wait_alu 0xfffd
	v_subrev_co_ci_u32_e64 v7, null, 0, v11, vcc_lo
	s_delay_alu instid0(VALU_DEP_1) | instskip(SKIP_2) | instid1(VALU_DEP_1)
	v_cmp_lt_i64_e32 vcc_lo, v[2:3], v[6:7]
	s_wait_loadcnt 0x0
	v_subrev_nc_u32_e32 v6, s24, v12
	v_ashrrev_i32_e32 v7, 31, v6
	s_wait_alu 0xfffd
	v_dual_cndmask_b32 v5, v9, v5 :: v_dual_cndmask_b32 v4, v8, v4
	s_delay_alu instid0(VALU_DEP_1)
	v_cmpx_ne_u64_e64 v[4:5], v[6:7]
	s_cbranch_execz .LBB86_111
; %bb.106:
	s_load_b64 s[10:11], s[10:11], 0x0
	s_wait_kmcnt 0x0
	s_sub_nc_u64 s[10:11], s[10:11], s[24:25]
	s_wait_alu 0xfffe
	v_cmp_gt_i64_e32 vcc_lo, s[10:11], v[2:3]
	s_and_b32 exec_lo, exec_lo, vcc_lo
	s_cbranch_execz .LBB86_111
; %bb.107:
	v_cmp_gt_i64_e32 vcc_lo, s[12:13], v[6:7]
	v_cmp_le_i64_e64 s0, s[18:19], v[6:7]
	v_lshlrev_b64_e32 v[2:3], 3, v[4:5]
	s_or_b32 s0, vcc_lo, s0
	s_wait_alu 0xfffe
	s_and_saveexec_b32 s10, s0
	s_wait_alu 0xfffe
	s_xor_b32 s0, exec_lo, s10
	s_cbranch_execz .LBB86_109
; %bb.108:
	v_add_co_u32 v2, vcc_lo, s14, v2
	s_wait_alu 0xfffd
	v_add_co_ci_u32_e64 v3, null, s15, v3, vcc_lo
	ds_load_b64 v[4:5], v16 offset:6144
	v_lshlrev_b64_e32 v[8:9], 3, v[6:7]
	global_load_b64 v[2:3], v[2:3], off
	v_add_co_u32 v8, vcc_lo, s20, v8
	s_wait_alu 0xfffd
	v_add_co_ci_u32_e64 v9, null, s21, v9, vcc_lo
	s_wait_loadcnt_dscnt 0x0
	v_mul_f32_e64 v10, v3, -v5
	s_delay_alu instid0(VALU_DEP_1) | instskip(NEXT) | instid1(VALU_DEP_1)
	v_dual_mul_f32 v3, v3, v4 :: v_dual_fmac_f32 v10, v4, v2
	v_fmac_f32_e32 v3, v5, v2
	s_clause 0x1
	global_atomic_add_f32 v[8:9], v10, off scope:SCOPE_DEV
	global_atomic_add_f32 v[8:9], v3, off offset:4 scope:SCOPE_DEV
                                        ; implicit-def: $vgpr2_vgpr3
.LBB86_109:
	s_wait_alu 0xfffe
	s_and_not1_saveexec_b32 s0, s0
	s_cbranch_execz .LBB86_111
; %bb.110:
	v_add_co_u32 v2, vcc_lo, s14, v2
	s_wait_alu 0xfffd
	v_add_co_ci_u32_e64 v3, null, s15, v3, vcc_lo
	ds_load_b64 v[4:5], v16 offset:6144
	v_subrev_nc_u32_e32 v8, s12, v6
	global_load_b64 v[2:3], v[2:3], off
	v_lshl_add_u32 v8, v8, 3, 0x2000
	s_wait_loadcnt_dscnt 0x0
	v_mul_f32_e64 v9, v3, -v5
	v_mul_f32_e32 v3, v3, v4
	s_delay_alu instid0(VALU_DEP_2) | instskip(NEXT) | instid1(VALU_DEP_2)
	v_fmac_f32_e32 v9, v4, v2
	v_fmac_f32_e32 v3, v5, v2
	ds_add_f32 v8, v9
	ds_add_f32 v8, v3 offset:4
.LBB86_111:
	s_wait_alu 0xfffe
	s_or_b32 exec_lo, exec_lo, s7
	v_lshlrev_b64_e32 v[2:3], 3, v[6:7]
	ds_load_b64 v[4:5], v16 offset:6144
	v_add_co_u32 v2, vcc_lo, s14, v2
	s_wait_alu 0xfffd
	v_add_co_ci_u32_e64 v3, null, s15, v3, vcc_lo
	global_load_b64 v[2:3], v[2:3], off
	s_wait_loadcnt_dscnt 0x0
	v_mul_f32_e64 v6, v3, -v5
	s_delay_alu instid0(VALU_DEP_1) | instskip(NEXT) | instid1(VALU_DEP_1)
	v_dual_mul_f32 v7, v3, v4 :: v_dual_fmac_f32 v6, v4, v2
	v_fmac_f32_e32 v7, v5, v2
	ds_store_b64 v16, v[6:7] offset:6144
.LBB86_112:
	s_wait_alu 0xfffe
	s_or_b32 exec_lo, exec_lo, s1
	v_cmp_lt_i64_e64 s0, s[18:19], s[2:3]
	s_mov_b32 s1, exec_lo
	s_wait_storecnt 0x0
	s_wait_loadcnt_dscnt 0x0
	s_barrier_signal -1
	s_barrier_wait -1
	global_inv scope:SCOPE_SE
	s_and_b32 s0, s0, exec_lo
	s_cselect_b32 s13, s19, s3
	s_cselect_b32 s12, s18, s2
	s_wait_alu 0xfffe
	s_sub_nc_u64 s[10:11], s[12:13], s[22:23]
	s_wait_alu 0xfffe
	v_cmpx_gt_i64_e64 s[10:11], v[0:1]
	s_cbranch_execz .LBB86_115
; %bb.113:
	v_cmp_gt_i64_e64 s0, s[18:19], s[2:3]
	v_dual_mov_b32 v5, v1 :: v_dual_lshlrev_b32 v2, 3, v0
	v_mov_b32_e32 v4, v0
	s_and_b32 s0, s0, exec_lo
	s_cselect_b32 s15, s19, s3
	s_cselect_b32 s14, s18, s2
	s_lshl_b64 s[2:3], s[2:3], 3
	s_wait_alu 0xfffe
	s_lshl_b64 s[14:15], s[14:15], 3
	s_wait_alu 0xfffe
	v_add_co_u32 v2, s0, s14, v2
	s_wait_alu 0xf1ff
	v_add_co_ci_u32_e64 v3, null, s15, 0, s0
	s_delay_alu instid0(VALU_DEP_2) | instskip(SKIP_1) | instid1(VALU_DEP_2)
	v_sub_co_u32 v2, vcc_lo, v2, s2
	s_wait_alu 0xfffd
	v_subrev_co_ci_u32_e64 v3, null, s3, v3, vcc_lo
	s_mov_b32 s2, 0
	v_or_b32_e32 v2, 4, v2
	s_delay_alu instid0(VALU_DEP_1)
	v_add_co_u32 v2, vcc_lo, s20, v2
	s_wait_alu 0xfffd
	v_add_co_ci_u32_e64 v3, null, s21, v3, vcc_lo
.LBB86_114:                             ; =>This Inner Loop Header: Depth=1
	ds_load_2addr_b32 v[6:7], v17 offset1:1
	v_add_co_u32 v4, vcc_lo, 0x100, v4
	s_wait_alu 0xfffd
	v_add_co_ci_u32_e64 v5, null, 0, v5, vcc_lo
	v_add_nc_u32_e32 v17, 0x800, v17
	s_wait_dscnt 0x0
	s_clause 0x1
	global_atomic_add_f32 v[2:3], v6, off offset:-4 scope:SCOPE_DEV
	global_atomic_add_f32 v[2:3], v7, off scope:SCOPE_DEV
	v_cmp_le_i64_e32 vcc_lo, s[10:11], v[4:5]
	v_add_co_u32 v2, s0, 0x800, v2
	s_wait_alu 0xf1ff
	v_add_co_ci_u32_e64 v3, null, 0, v3, s0
	s_wait_alu 0xfffe
	s_or_b32 s2, vcc_lo, s2
	s_wait_alu 0xfffe
	s_and_not1_b32 exec_lo, exec_lo, s2
	s_cbranch_execnz .LBB86_114
.LBB86_115:
	s_or_b32 exec_lo, exec_lo, s1
	s_add_co_i32 s0, s28, -1
	v_add_co_u32 v6, s2, s16, v0
	s_wait_alu 0xfffe
	s_ashr_i32 s1, s0, 1
	v_add_co_ci_u32_e64 v7, null, s17, 0, s2
	s_wait_alu 0xfffe
	s_or_b32 s0, s1, s0
	s_wait_loadcnt 0x0
	s_wait_storecnt 0x0
	s_wait_alu 0xfffe
	s_ashr_i32 s1, s0, 2
	s_barrier_signal -1
	s_wait_alu 0xfffe
	s_or_b32 s0, s1, s0
	s_barrier_wait -1
	s_wait_alu 0xfffe
	s_ashr_i32 s1, s0, 4
	global_inv scope:SCOPE_SE
	s_wait_alu 0xfffe
	s_or_b32 s0, s1, s0
	s_wait_alu 0xfffe
	s_ashr_i32 s1, s0, 8
	s_wait_alu 0xfffe
	s_or_b32 s0, s1, s0
	s_wait_alu 0xfffe
	s_ashr_i32 s1, s0, 16
	s_wait_alu 0xfffe
	s_or_b32 s1, s1, s0
	s_mov_b32 s0, -1
	s_wait_alu 0xfffe
	s_add_co_i32 s1, s1, 1
	s_wait_alu 0xfffe
	s_ashr_i32 s2, s1, 1
	s_wait_alu 0xfffe
	s_cmp_gt_i32 s2, 1
	s_cbranch_scc1 .LBB86_124
; %bb.116:
	s_mov_b32 s0, exec_lo
	v_cmpx_gt_i64_e64 s[18:19], v[6:7]
	s_cbranch_execz .LBB86_123
; %bb.117:
	s_sub_co_i32 s1, s12, s18
	v_dual_mov_b32 v9, v7 :: v_dual_mov_b32 v8, v6
	s_lshl_b32 s7, s4, 3
	s_wait_alu 0xfffe
	s_lshl_b32 s1, s1, 3
	s_mov_b32 s3, 0
	s_wait_alu 0xfffe
	s_addk_co_i32 s1, 0x2000
	s_sub_co_i32 s7, 0, s7
	s_branch .LBB86_119
.LBB86_118:                             ;   in Loop: Header=BB86_119 Depth=1
	s_wait_alu 0xfffe
	s_or_b32 exec_lo, exec_lo, s11
	v_lshl_add_u32 v2, v8, 3, s1
	v_add_co_u32 v4, vcc_lo, s20, v10
	s_wait_alu 0xfffd
	v_add_co_ci_u32_e64 v5, null, s21, v11, vcc_lo
	ds_load_2addr_b32 v[2:3], v2 offset1:1
	v_add_co_u32 v8, vcc_lo, v8, s6
	s_wait_alu 0xfffd
	v_add_co_ci_u32_e64 v9, null, 0, v9, vcc_lo
	s_delay_alu instid0(VALU_DEP_1)
	v_cmp_le_i64_e32 vcc_lo, s[18:19], v[8:9]
	s_or_b32 s3, vcc_lo, s3
	s_wait_dscnt 0x0
	v_dual_add_f32 v2, v15, v2 :: v_dual_add_f32 v3, v14, v3
	s_clause 0x1
	global_atomic_add_f32 v[4:5], v2, off scope:SCOPE_DEV
	global_atomic_add_f32 v[4:5], v3, off offset:4 scope:SCOPE_DEV
	s_wait_alu 0xfffe
	s_and_not1_b32 exec_lo, exec_lo, s3
	s_cbranch_execz .LBB86_123
.LBB86_119:                             ; =>This Loop Header: Depth=1
                                        ;     Child Loop BB86_121 Depth 2
	v_lshlrev_b64_e32 v[10:11], 3, v[8:9]
	v_dual_mov_b32 v14, 0 :: v_dual_mov_b32 v15, 0
	s_mov_b32 s11, exec_lo
	s_delay_alu instid0(VALU_DEP_2) | instskip(SKIP_1) | instid1(VALU_DEP_3)
	v_add_co_u32 v2, vcc_lo, s8, v10
	s_wait_alu 0xfffd
	v_add_co_ci_u32_e64 v3, null, s9, v11, vcc_lo
	global_load_b128 v[2:5], v[2:3], off
	s_wait_loadcnt 0x0
	v_cmpx_lt_i64_e64 v[2:3], v[4:5]
	s_cbranch_execz .LBB86_118
; %bb.120:                              ;   in Loop: Header=BB86_119 Depth=1
	v_sub_co_u32 v4, vcc_lo, v4, s4
	s_wait_alu 0xfffd
	v_subrev_co_ci_u32_e64 v5, null, s5, v5, vcc_lo
	v_sub_co_u32 v12, vcc_lo, v2, s4
	s_wait_alu 0xfffd
	v_subrev_co_ci_u32_e64 v13, null, s5, v3, vcc_lo
	s_wait_alu 0xfffe
	v_lshl_add_u32 v2, v2, 3, s7
	v_dual_mov_b32 v14, 0 :: v_dual_mov_b32 v15, 0
	s_mov_b32 s12, 0
.LBB86_121:                             ;   Parent Loop BB86_119 Depth=1
                                        ; =>  This Inner Loop Header: Depth=2
	ds_load_b64 v[17:18], v2
	v_add_co_u32 v12, vcc_lo, v12, 1
	s_wait_alu 0xfffd
	v_add_co_ci_u32_e64 v13, null, 0, v13, vcc_lo
	v_add_nc_u32_e32 v2, 8, v2
	s_delay_alu instid0(VALU_DEP_2)
	v_cmp_ge_i64_e32 vcc_lo, v[12:13], v[4:5]
	s_wait_alu 0xfffe
	s_or_b32 s12, vcc_lo, s12
	s_wait_dscnt 0x0
	v_dual_add_f32 v15, v15, v17 :: v_dual_add_f32 v14, v14, v18
	s_wait_alu 0xfffe
	s_and_not1_b32 exec_lo, exec_lo, s12
	s_cbranch_execnz .LBB86_121
; %bb.122:                              ;   in Loop: Header=BB86_119 Depth=1
	s_or_b32 exec_lo, exec_lo, s12
	s_branch .LBB86_118
.LBB86_123:
	s_wait_alu 0xfffe
	s_or_b32 exec_lo, exec_lo, s0
	s_mov_b32 s0, 0
.LBB86_124:
	s_wait_alu 0xfffe
	s_and_not1_b32 vcc_lo, exec_lo, s0
	s_wait_alu 0xfffe
	s_cbranch_vccnz .LBB86_141
; %bb.125:
	s_cvt_f32_u32 s0, s2
	s_sub_co_i32 s1, 0, s2
	s_wait_alu 0xfffe
	s_delay_alu instid0(SALU_CYCLE_1) | instskip(NEXT) | instid1(TRANS32_DEP_1)
	v_rcp_iflag_f32_e32 v2, s0
	v_readfirstlane_b32 s0, v2
	s_mul_f32 s0, s0, 0x4f7ffffe
	s_wait_alu 0xfffe
	s_delay_alu instid0(SALU_CYCLE_2) | instskip(SKIP_1) | instid1(SALU_CYCLE_2)
	s_cvt_u32_f32 s0, s0
	s_wait_alu 0xfffe
	s_mul_i32 s3, s1, s0
	s_wait_alu 0xfffe
	s_mul_hi_u32 s3, s0, s3
	s_wait_alu 0xfffe
	s_add_co_i32 s0, s0, s3
	s_mov_b32 s3, 0
	s_wait_alu 0xfffe
	v_mul_hi_u32 v2, v0, s0
	s_mov_b32 s0, exec_lo
	s_delay_alu instid0(VALU_DEP_1) | instskip(NEXT) | instid1(VALU_DEP_1)
	v_mul_lo_u32 v3, v2, s2
	v_sub_nc_u32_e32 v3, v0, v3
	s_delay_alu instid0(VALU_DEP_1) | instskip(SKIP_2) | instid1(VALU_DEP_2)
	v_subrev_nc_u32_e32 v5, s2, v3
	v_cmp_le_u32_e32 vcc_lo, s2, v3
	s_wait_alu 0xfffd
	v_dual_cndmask_b32 v3, v3, v5 :: v_dual_add_nc_u32 v4, 1, v2
	s_delay_alu instid0(VALU_DEP_1) | instskip(NEXT) | instid1(VALU_DEP_2)
	v_dual_cndmask_b32 v2, v2, v4 :: v_dual_mov_b32 v5, 0
	v_cmp_le_u32_e32 vcc_lo, s2, v3
	s_delay_alu instid0(VALU_DEP_2) | instskip(SKIP_1) | instid1(VALU_DEP_1)
	v_add_nc_u32_e32 v4, 1, v2
	s_wait_alu 0xfffd
	v_cndmask_b32_e32 v4, v2, v4, vcc_lo
	s_delay_alu instid0(VALU_DEP_1) | instskip(NEXT) | instid1(VALU_DEP_1)
	v_lshlrev_b64_e32 v[2:3], 3, v[4:5]
	v_add_co_u32 v2, vcc_lo, s26, v2
	s_wait_alu 0xfffd
	s_delay_alu instid0(VALU_DEP_2)
	v_add_co_ci_u32_e64 v3, null, s27, v3, vcc_lo
	global_load_b128 v[8:11], v[2:3], off
	s_wait_loadcnt 0x0
	v_sub_co_u32 v2, vcc_lo, v8, s4
	s_wait_alu 0xfffd
	v_subrev_co_ci_u32_e64 v3, null, s5, v9, vcc_lo
	v_sub_co_u32 v14, vcc_lo, v10, s4
	s_wait_alu 0xfffd
	v_subrev_co_ci_u32_e64 v15, null, s5, v11, vcc_lo
	v_mov_b32_e32 v8, v5
	s_delay_alu instid0(VALU_DEP_3) | instskip(SKIP_1) | instid1(VALU_DEP_3)
	v_sub_co_u32 v12, vcc_lo, v14, v2
	s_wait_alu 0xfffd
	v_sub_co_ci_u32_e64 v9, null, v15, v3, vcc_lo
                                        ; implicit-def: $vgpr10_vgpr11
	s_delay_alu instid0(VALU_DEP_1)
	v_cmpx_ne_u64_e32 0, v[8:9]
	s_wait_alu 0xfffe
	s_xor_b32 s6, exec_lo, s0
	s_cbranch_execz .LBB86_127
; %bb.126:
	s_add_nc_u64 s[4:5], s[2:3], 0
	s_mov_b32 s15, s3
	s_wait_alu 0xfffe
	s_xor_b64 s[4:5], s[4:5], 0
	s_mov_b32 s19, s3
	s_wait_alu 0xfffe
	s_cvt_f32_u32 s0, s4
	s_cvt_f32_u32 s7, s5
	s_sub_nc_u64 s[12:13], 0, s[4:5]
	v_ashrrev_i32_e32 v17, 31, v9
	s_wait_alu 0xfffe
	s_fmamk_f32 s0, s7, 0x4f800000, s0
	s_delay_alu instid0(VALU_DEP_1) | instskip(SKIP_1) | instid1(SALU_CYCLE_1)
	v_add_co_u32 v8, vcc_lo, v12, v17
	s_wait_alu 0xfffe
	v_s_rcp_f32 s0, s0
	s_wait_alu 0xfffd
	v_add_co_ci_u32_e64 v9, null, v9, v17, vcc_lo
	v_xor_b32_e32 v18, v8, v17
	s_delay_alu instid0(VALU_DEP_2) | instskip(NEXT) | instid1(TRANS32_DEP_1)
	v_xor_b32_e32 v19, v9, v17
	s_mul_f32 s0, s0, 0x5f7ffffc
	s_wait_alu 0xfffe
	s_delay_alu instid0(SALU_CYCLE_2) | instskip(SKIP_1) | instid1(SALU_CYCLE_2)
	s_mul_f32 s7, s0, 0x2f800000
	s_wait_alu 0xfffe
	s_trunc_f32 s7, s7
	s_wait_alu 0xfffe
	s_delay_alu instid0(SALU_CYCLE_2) | instskip(SKIP_2) | instid1(SALU_CYCLE_1)
	s_fmamk_f32 s0, s7, 0xcf800000, s0
	s_cvt_u32_f32 s9, s7
	s_wait_alu 0xfffe
	s_cvt_u32_f32 s8, s0
	s_wait_alu 0xfffe
	s_delay_alu instid0(SALU_CYCLE_2)
	s_mul_u64 s[16:17], s[12:13], s[8:9]
	s_wait_alu 0xfffe
	s_mul_hi_u32 s25, s8, s17
	s_mul_i32 s24, s8, s17
	s_mul_hi_u32 s14, s8, s16
	s_mul_i32 s7, s9, s16
	s_wait_alu 0xfffe
	s_add_nc_u64 s[14:15], s[14:15], s[24:25]
	s_mul_hi_u32 s0, s9, s16
	s_mul_hi_u32 s11, s9, s17
	s_wait_alu 0xfffe
	s_add_co_u32 s7, s14, s7
	s_add_co_ci_u32 s18, s15, s0
	s_mul_i32 s16, s9, s17
	s_add_co_ci_u32 s17, s11, 0
	s_wait_alu 0xfffe
	s_add_nc_u64 s[14:15], s[18:19], s[16:17]
	s_mov_b32 s17, s3
	s_wait_alu 0xfffe
	s_add_co_u32 s8, s8, s14
	s_cselect_b32 s0, -1, 0
	s_wait_alu 0xfffe
	s_cmp_lg_u32 s0, 0
	s_add_co_ci_u32 s9, s9, s15
	s_mov_b32 s15, s3
	s_wait_alu 0xfffe
	s_mul_u64 s[12:13], s[12:13], s[8:9]
	s_wait_alu 0xfffe
	s_mul_hi_u32 s19, s8, s13
	s_mul_i32 s18, s8, s13
	s_mul_hi_u32 s16, s8, s12
	s_mul_i32 s3, s9, s12
	s_wait_alu 0xfffe
	s_add_nc_u64 s[16:17], s[16:17], s[18:19]
	s_mul_hi_u32 s0, s9, s12
	s_mul_hi_u32 s7, s9, s13
	s_wait_alu 0xfffe
	s_add_co_u32 s3, s16, s3
	s_add_co_ci_u32 s14, s17, s0
	s_mul_i32 s12, s9, s13
	s_add_co_ci_u32 s13, s7, 0
	s_wait_alu 0xfffe
	s_add_nc_u64 s[12:13], s[14:15], s[12:13]
	s_wait_alu 0xfffe
	s_add_co_u32 s0, s8, s12
	s_cselect_b32 s3, -1, 0
	s_wait_alu 0xfffe
	v_mul_hi_u32 v20, v18, s0
	s_cmp_lg_u32 s3, 0
	v_mad_co_u64_u32 v[10:11], null, v19, s0, 0
	s_add_co_ci_u32 s3, s9, s13
	s_wait_alu 0xfffe
	v_mad_co_u64_u32 v[8:9], null, v18, s3, 0
	v_mad_co_u64_u32 v[12:13], null, v19, s3, 0
	s_delay_alu instid0(VALU_DEP_2) | instskip(SKIP_1) | instid1(VALU_DEP_3)
	v_add_co_u32 v8, vcc_lo, v20, v8
	s_wait_alu 0xfffd
	v_add_co_ci_u32_e64 v9, null, 0, v9, vcc_lo
	s_delay_alu instid0(VALU_DEP_2) | instskip(SKIP_1) | instid1(VALU_DEP_2)
	v_add_co_u32 v8, vcc_lo, v8, v10
	s_wait_alu 0xfffd
	v_add_co_ci_u32_e32 v8, vcc_lo, v9, v11, vcc_lo
	s_wait_alu 0xfffd
	v_add_co_ci_u32_e32 v9, vcc_lo, 0, v13, vcc_lo
	s_delay_alu instid0(VALU_DEP_2) | instskip(SKIP_1) | instid1(VALU_DEP_2)
	v_add_co_u32 v10, vcc_lo, v8, v12
	s_wait_alu 0xfffd
	v_add_co_ci_u32_e64 v11, null, 0, v9, vcc_lo
	s_delay_alu instid0(VALU_DEP_2) | instskip(SKIP_1) | instid1(VALU_DEP_3)
	v_mul_lo_u32 v12, s5, v10
	v_mad_co_u64_u32 v[8:9], null, s4, v10, 0
	v_mul_lo_u32 v13, s4, v11
	s_delay_alu instid0(VALU_DEP_2) | instskip(NEXT) | instid1(VALU_DEP_2)
	v_sub_co_u32 v8, vcc_lo, v18, v8
	v_add3_u32 v9, v9, v13, v12
	v_add_co_u32 v13, s0, v10, 2
	s_wait_alu 0xf1ff
	v_add_co_ci_u32_e64 v18, null, 0, v11, s0
	s_delay_alu instid0(VALU_DEP_3) | instskip(SKIP_3) | instid1(VALU_DEP_3)
	v_sub_nc_u32_e32 v12, v19, v9
	v_sub_co_u32 v20, s0, v8, s4
	s_wait_alu 0xfffd
	v_sub_co_ci_u32_e64 v9, null, v19, v9, vcc_lo
	v_subrev_co_ci_u32_e64 v12, null, s5, v12, vcc_lo
	s_delay_alu instid0(VALU_DEP_3) | instskip(SKIP_1) | instid1(VALU_DEP_2)
	v_cmp_le_u32_e32 vcc_lo, s4, v20
	s_wait_alu 0xf1ff
	v_subrev_co_ci_u32_e64 v12, null, 0, v12, s0
	s_wait_alu 0xfffd
	v_cndmask_b32_e64 v19, 0, -1, vcc_lo
	v_cmp_eq_u32_e64 s0, s5, v9
	s_delay_alu instid0(VALU_DEP_3)
	v_cmp_le_u32_e32 vcc_lo, s5, v12
	s_wait_alu 0xfffd
	v_cndmask_b32_e64 v20, 0, -1, vcc_lo
	v_cmp_le_u32_e32 vcc_lo, s4, v8
	s_wait_alu 0xfffd
	v_cndmask_b32_e64 v8, 0, -1, vcc_lo
	;; [unrolled: 3-line block ×3, first 2 shown]
	v_cmp_eq_u32_e32 vcc_lo, s5, v12
	s_wait_alu 0xf1ff
	s_delay_alu instid0(VALU_DEP_2)
	v_cndmask_b32_e64 v8, v21, v8, s0
	s_wait_alu 0xfffd
	v_cndmask_b32_e32 v12, v20, v19, vcc_lo
	v_add_co_u32 v19, vcc_lo, v10, 1
	s_wait_alu 0xfffd
	v_add_co_ci_u32_e64 v20, null, 0, v11, vcc_lo
	s_delay_alu instid0(VALU_DEP_3) | instskip(SKIP_1) | instid1(VALU_DEP_2)
	v_cmp_ne_u32_e32 vcc_lo, 0, v12
	s_wait_alu 0xfffd
	v_dual_cndmask_b32 v9, v20, v18 :: v_dual_cndmask_b32 v12, v19, v13
	v_cmp_ne_u32_e32 vcc_lo, 0, v8
	s_wait_alu 0xfffd
	s_delay_alu instid0(VALU_DEP_2) | instskip(NEXT) | instid1(VALU_DEP_1)
	v_dual_cndmask_b32 v8, v11, v9 :: v_dual_cndmask_b32 v9, v10, v12
                                        ; implicit-def: $vgpr12
	v_xor_b32_e32 v8, v8, v17
	s_delay_alu instid0(VALU_DEP_2) | instskip(NEXT) | instid1(VALU_DEP_1)
	v_xor_b32_e32 v9, v9, v17
	v_sub_co_u32 v10, vcc_lo, v9, v17
	s_wait_alu 0xfffd
	s_delay_alu instid0(VALU_DEP_3)
	v_sub_co_ci_u32_e64 v11, null, v8, v17, vcc_lo
.LBB86_127:
	s_wait_alu 0xfffe
	s_and_not1_saveexec_b32 s0, s6
	s_cbranch_execz .LBB86_129
; %bb.128:
	v_cvt_f32_u32_e32 v8, s2
	s_delay_alu instid0(VALU_DEP_1) | instskip(NEXT) | instid1(TRANS32_DEP_1)
	v_rcp_iflag_f32_e32 v8, v8
	v_mul_f32_e32 v8, 0x4f7ffffe, v8
	s_delay_alu instid0(VALU_DEP_1) | instskip(NEXT) | instid1(VALU_DEP_1)
	v_cvt_u32_f32_e32 v8, v8
	v_mul_lo_u32 v9, s1, v8
	s_delay_alu instid0(VALU_DEP_1) | instskip(NEXT) | instid1(VALU_DEP_1)
	v_mul_hi_u32 v9, v8, v9
	v_add_nc_u32_e32 v8, v8, v9
	s_delay_alu instid0(VALU_DEP_1) | instskip(NEXT) | instid1(VALU_DEP_1)
	v_mul_hi_u32 v8, v12, v8
	v_mul_lo_u32 v9, v8, s2
	v_add_nc_u32_e32 v10, 1, v8
	s_delay_alu instid0(VALU_DEP_2) | instskip(NEXT) | instid1(VALU_DEP_1)
	v_sub_nc_u32_e32 v9, v12, v9
	v_subrev_nc_u32_e32 v11, s2, v9
	v_cmp_le_u32_e32 vcc_lo, s2, v9
	s_wait_alu 0xfffd
	s_delay_alu instid0(VALU_DEP_2) | instskip(SKIP_1) | instid1(VALU_DEP_2)
	v_dual_cndmask_b32 v9, v9, v11 :: v_dual_cndmask_b32 v8, v8, v10
	v_mov_b32_e32 v11, 0
	v_cmp_le_u32_e32 vcc_lo, s2, v9
	s_delay_alu instid0(VALU_DEP_3) | instskip(SKIP_1) | instid1(VALU_DEP_1)
	v_add_nc_u32_e32 v10, 1, v8
	s_wait_alu 0xfffd
	v_cndmask_b32_e32 v10, v8, v10, vcc_lo
.LBB86_129:
	s_wait_alu 0xfffe
	s_or_b32 exec_lo, exec_lo, s0
	v_cmp_gt_i64_e32 vcc_lo, s[22:23], v[4:5]
	v_dual_mov_b32 v5, 0 :: v_dual_mov_b32 v4, 0
	s_and_saveexec_b32 s0, vcc_lo
	s_cbranch_execz .LBB86_137
; %bb.130:
	s_add_co_i32 s1, s2, -1
	s_wait_alu 0xfffe
	v_dual_mov_b32 v5, 0 :: v_dual_and_b32 v8, s1, v0
	s_mov_b32 s1, exec_lo
	s_delay_alu instid0(VALU_DEP_1)
	v_dual_mov_b32 v4, 0 :: v_dual_lshlrev_b32 v17, 3, v8
	v_cmpx_lt_i64_e32 0, v[10:11]
	s_cbranch_execz .LBB86_134
; %bb.131:
	v_mov_b32_e32 v5, 0
	v_mov_b32_e32 v13, v11
	v_lshl_add_u32 v9, v2, 3, v17
	v_mov_b32_e32 v12, v10
	s_lshl_b32 s4, s2, 3
	v_mov_b32_e32 v4, v5
	s_mov_b32 s3, 0
.LBB86_132:                             ; =>This Inner Loop Header: Depth=1
	ds_load_b64 v[18:19], v9
	v_add_co_u32 v12, vcc_lo, v12, -1
	s_wait_alu 0xfffd
	v_add_co_ci_u32_e64 v13, null, -1, v13, vcc_lo
	s_wait_alu 0xfffe
	v_add_nc_u32_e32 v9, s4, v9
	s_delay_alu instid0(VALU_DEP_2)
	v_cmp_eq_u64_e32 vcc_lo, 0, v[12:13]
	s_or_b32 s3, vcc_lo, s3
	s_wait_dscnt 0x0
	v_dual_add_f32 v4, v4, v18 :: v_dual_add_f32 v5, v5, v19
	s_wait_alu 0xfffe
	s_and_not1_b32 exec_lo, exec_lo, s3
	s_cbranch_execnz .LBB86_132
; %bb.133:
	s_or_b32 exec_lo, exec_lo, s3
.LBB86_134:
	s_wait_alu 0xfffe
	s_or_b32 exec_lo, exec_lo, s1
	v_mad_co_u64_u32 v[2:3], null, v10, s2, v[2:3]
	v_mov_b32_e32 v9, 0
	s_mov_b32 s1, exec_lo
	s_delay_alu instid0(VALU_DEP_2) | instskip(NEXT) | instid1(VALU_DEP_3)
	v_mad_co_u64_u32 v[10:11], null, v11, s2, v[3:4]
	v_sub_co_u32 v11, vcc_lo, v14, v2
	s_wait_alu 0xfffd
	s_delay_alu instid0(VALU_DEP_2) | instskip(NEXT) | instid1(VALU_DEP_1)
	v_sub_co_ci_u32_e64 v12, null, v15, v10, vcc_lo
	v_cmpx_gt_i64_e64 v[11:12], v[8:9]
	s_cbranch_execz .LBB86_136
; %bb.135:
	v_lshl_add_u32 v2, v2, 3, v17
	ds_load_b64 v[2:3], v2
	s_wait_dscnt 0x0
	v_dual_add_f32 v4, v4, v2 :: v_dual_add_f32 v5, v5, v3
.LBB86_136:
	s_wait_alu 0xfffe
	s_or_b32 exec_lo, exec_lo, s1
.LBB86_137:
	s_wait_alu 0xfffe
	s_or_b32 exec_lo, exec_lo, s0
	v_cmp_gt_i64_e32 vcc_lo, s[22:23], v[0:1]
	s_wait_storecnt 0x0
	s_barrier_signal -1
	s_barrier_wait -1
	global_inv scope:SCOPE_SE
	ds_store_b64 v16, v[4:5]
	s_wait_loadcnt_dscnt 0x0
	s_barrier_signal -1
	s_barrier_wait -1
	global_inv scope:SCOPE_SE
	s_and_b32 exec_lo, exec_lo, vcc_lo
	s_cbranch_execz .LBB86_141
; %bb.138:
	v_mul_lo_u32 v2, s2, v0
	v_mov_b32_e32 v1, 0
	s_delay_alu instid0(VALU_DEP_2)
	v_dual_mov_b32 v2, 0 :: v_dual_lshlrev_b32 v3, 3, v2
.LBB86_139:                             ; =>This Inner Loop Header: Depth=1
	ds_load_b64 v[4:5], v3
	v_add_nc_u32_e32 v3, 8, v3
	s_add_co_i32 s2, s2, -1
	s_wait_alu 0xfffe
	s_cmp_eq_u32 s2, 0
	s_wait_dscnt 0x0
	v_dual_add_f32 v2, v2, v4 :: v_dual_add_f32 v1, v1, v5
	s_cbranch_scc0 .LBB86_139
; %bb.140:
	v_lshlrev_b32_e32 v0, 3, v0
	s_lshl_b32 s0, s10, 3
	v_lshlrev_b64_e32 v[5:6], 3, v[6:7]
	s_wait_alu 0xfffe
	s_delay_alu instid0(VALU_DEP_2)
	v_add3_u32 v0, 0x2000, s0, v0
	ds_load_2addr_b32 v[3:4], v0 offset1:1
	s_wait_dscnt 0x0
	v_dual_add_f32 v0, v2, v3 :: v_dual_add_f32 v1, v1, v4
	v_add_co_u32 v2, vcc_lo, s20, v5
	s_wait_alu 0xfffd
	v_add_co_ci_u32_e64 v3, null, s21, v6, vcc_lo
	s_clause 0x1
	global_atomic_add_f32 v[2:3], v0, off scope:SCOPE_DEV
	global_atomic_add_f32 v[2:3], v1, off offset:4 scope:SCOPE_DEV
.LBB86_141:
	s_endpgm
	.section	.rodata,"a",@progbits
	.p2align	6, 0x0
	.amdhsa_kernel _ZN9rocsparseL27csrmvn_symm_adaptive_kernelIlif21rocsparse_complex_numIfES2_S2_EEvbT_S3_PKS3_NS_24const_host_device_scalarIT4_EES5_PKT0_PKT1_PKT2_S8_PT3_21rocsparse_index_base_b
		.amdhsa_group_segment_fixed_size 8192
		.amdhsa_private_segment_fixed_size 0
		.amdhsa_kernarg_size 352
		.amdhsa_user_sgpr_count 2
		.amdhsa_user_sgpr_dispatch_ptr 0
		.amdhsa_user_sgpr_queue_ptr 0
		.amdhsa_user_sgpr_kernarg_segment_ptr 1
		.amdhsa_user_sgpr_dispatch_id 0
		.amdhsa_user_sgpr_private_segment_size 0
		.amdhsa_wavefront_size32 1
		.amdhsa_uses_dynamic_stack 0
		.amdhsa_enable_private_segment 0
		.amdhsa_system_sgpr_workgroup_id_x 1
		.amdhsa_system_sgpr_workgroup_id_y 0
		.amdhsa_system_sgpr_workgroup_id_z 0
		.amdhsa_system_sgpr_workgroup_info 0
		.amdhsa_system_vgpr_workitem_id 0
		.amdhsa_next_free_vgpr 22
		.amdhsa_next_free_sgpr 42
		.amdhsa_reserve_vcc 1
		.amdhsa_float_round_mode_32 0
		.amdhsa_float_round_mode_16_64 0
		.amdhsa_float_denorm_mode_32 3
		.amdhsa_float_denorm_mode_16_64 3
		.amdhsa_fp16_overflow 0
		.amdhsa_workgroup_processor_mode 1
		.amdhsa_memory_ordered 1
		.amdhsa_forward_progress 1
		.amdhsa_inst_pref_size 83
		.amdhsa_round_robin_scheduling 0
		.amdhsa_exception_fp_ieee_invalid_op 0
		.amdhsa_exception_fp_denorm_src 0
		.amdhsa_exception_fp_ieee_div_zero 0
		.amdhsa_exception_fp_ieee_overflow 0
		.amdhsa_exception_fp_ieee_underflow 0
		.amdhsa_exception_fp_ieee_inexact 0
		.amdhsa_exception_int_div_zero 0
	.end_amdhsa_kernel
	.section	.text._ZN9rocsparseL27csrmvn_symm_adaptive_kernelIlif21rocsparse_complex_numIfES2_S2_EEvbT_S3_PKS3_NS_24const_host_device_scalarIT4_EES5_PKT0_PKT1_PKT2_S8_PT3_21rocsparse_index_base_b,"axG",@progbits,_ZN9rocsparseL27csrmvn_symm_adaptive_kernelIlif21rocsparse_complex_numIfES2_S2_EEvbT_S3_PKS3_NS_24const_host_device_scalarIT4_EES5_PKT0_PKT1_PKT2_S8_PT3_21rocsparse_index_base_b,comdat
.Lfunc_end86:
	.size	_ZN9rocsparseL27csrmvn_symm_adaptive_kernelIlif21rocsparse_complex_numIfES2_S2_EEvbT_S3_PKS3_NS_24const_host_device_scalarIT4_EES5_PKT0_PKT1_PKT2_S8_PT3_21rocsparse_index_base_b, .Lfunc_end86-_ZN9rocsparseL27csrmvn_symm_adaptive_kernelIlif21rocsparse_complex_numIfES2_S2_EEvbT_S3_PKS3_NS_24const_host_device_scalarIT4_EES5_PKT0_PKT1_PKT2_S8_PT3_21rocsparse_index_base_b
                                        ; -- End function
	.set _ZN9rocsparseL27csrmvn_symm_adaptive_kernelIlif21rocsparse_complex_numIfES2_S2_EEvbT_S3_PKS3_NS_24const_host_device_scalarIT4_EES5_PKT0_PKT1_PKT2_S8_PT3_21rocsparse_index_base_b.num_vgpr, 22
	.set _ZN9rocsparseL27csrmvn_symm_adaptive_kernelIlif21rocsparse_complex_numIfES2_S2_EEvbT_S3_PKS3_NS_24const_host_device_scalarIT4_EES5_PKT0_PKT1_PKT2_S8_PT3_21rocsparse_index_base_b.num_agpr, 0
	.set _ZN9rocsparseL27csrmvn_symm_adaptive_kernelIlif21rocsparse_complex_numIfES2_S2_EEvbT_S3_PKS3_NS_24const_host_device_scalarIT4_EES5_PKT0_PKT1_PKT2_S8_PT3_21rocsparse_index_base_b.numbered_sgpr, 42
	.set _ZN9rocsparseL27csrmvn_symm_adaptive_kernelIlif21rocsparse_complex_numIfES2_S2_EEvbT_S3_PKS3_NS_24const_host_device_scalarIT4_EES5_PKT0_PKT1_PKT2_S8_PT3_21rocsparse_index_base_b.num_named_barrier, 0
	.set _ZN9rocsparseL27csrmvn_symm_adaptive_kernelIlif21rocsparse_complex_numIfES2_S2_EEvbT_S3_PKS3_NS_24const_host_device_scalarIT4_EES5_PKT0_PKT1_PKT2_S8_PT3_21rocsparse_index_base_b.private_seg_size, 0
	.set _ZN9rocsparseL27csrmvn_symm_adaptive_kernelIlif21rocsparse_complex_numIfES2_S2_EEvbT_S3_PKS3_NS_24const_host_device_scalarIT4_EES5_PKT0_PKT1_PKT2_S8_PT3_21rocsparse_index_base_b.uses_vcc, 1
	.set _ZN9rocsparseL27csrmvn_symm_adaptive_kernelIlif21rocsparse_complex_numIfES2_S2_EEvbT_S3_PKS3_NS_24const_host_device_scalarIT4_EES5_PKT0_PKT1_PKT2_S8_PT3_21rocsparse_index_base_b.uses_flat_scratch, 0
	.set _ZN9rocsparseL27csrmvn_symm_adaptive_kernelIlif21rocsparse_complex_numIfES2_S2_EEvbT_S3_PKS3_NS_24const_host_device_scalarIT4_EES5_PKT0_PKT1_PKT2_S8_PT3_21rocsparse_index_base_b.has_dyn_sized_stack, 0
	.set _ZN9rocsparseL27csrmvn_symm_adaptive_kernelIlif21rocsparse_complex_numIfES2_S2_EEvbT_S3_PKS3_NS_24const_host_device_scalarIT4_EES5_PKT0_PKT1_PKT2_S8_PT3_21rocsparse_index_base_b.has_recursion, 0
	.set _ZN9rocsparseL27csrmvn_symm_adaptive_kernelIlif21rocsparse_complex_numIfES2_S2_EEvbT_S3_PKS3_NS_24const_host_device_scalarIT4_EES5_PKT0_PKT1_PKT2_S8_PT3_21rocsparse_index_base_b.has_indirect_call, 0
	.section	.AMDGPU.csdata,"",@progbits
; Kernel info:
; codeLenInByte = 10504
; TotalNumSgprs: 44
; NumVgprs: 22
; ScratchSize: 0
; MemoryBound: 0
; FloatMode: 240
; IeeeMode: 1
; LDSByteSize: 8192 bytes/workgroup (compile time only)
; SGPRBlocks: 0
; VGPRBlocks: 2
; NumSGPRsForWavesPerEU: 44
; NumVGPRsForWavesPerEU: 22
; Occupancy: 16
; WaveLimiterHint : 1
; COMPUTE_PGM_RSRC2:SCRATCH_EN: 0
; COMPUTE_PGM_RSRC2:USER_SGPR: 2
; COMPUTE_PGM_RSRC2:TRAP_HANDLER: 0
; COMPUTE_PGM_RSRC2:TGID_X_EN: 1
; COMPUTE_PGM_RSRC2:TGID_Y_EN: 0
; COMPUTE_PGM_RSRC2:TGID_Z_EN: 0
; COMPUTE_PGM_RSRC2:TIDIG_COMP_CNT: 0
	.section	.text._ZL33csrmvn_symm_large_adaptive_kernelIlif21rocsparse_complex_numIfES1_S1_EvbT_PKS2_N9rocsparse24const_host_device_scalarIT4_EES4_PKT0_PKT1_PKT2_S8_PT3_21rocsparse_index_base_b,"axG",@progbits,_ZL33csrmvn_symm_large_adaptive_kernelIlif21rocsparse_complex_numIfES1_S1_EvbT_PKS2_N9rocsparse24const_host_device_scalarIT4_EES4_PKT0_PKT1_PKT2_S8_PT3_21rocsparse_index_base_b,comdat
	.globl	_ZL33csrmvn_symm_large_adaptive_kernelIlif21rocsparse_complex_numIfES1_S1_EvbT_PKS2_N9rocsparse24const_host_device_scalarIT4_EES4_PKT0_PKT1_PKT2_S8_PT3_21rocsparse_index_base_b ; -- Begin function _ZL33csrmvn_symm_large_adaptive_kernelIlif21rocsparse_complex_numIfES1_S1_EvbT_PKS2_N9rocsparse24const_host_device_scalarIT4_EES4_PKT0_PKT1_PKT2_S8_PT3_21rocsparse_index_base_b
	.p2align	8
	.type	_ZL33csrmvn_symm_large_adaptive_kernelIlif21rocsparse_complex_numIfES1_S1_EvbT_PKS2_N9rocsparse24const_host_device_scalarIT4_EES4_PKT0_PKT1_PKT2_S8_PT3_21rocsparse_index_base_b,@function
_ZL33csrmvn_symm_large_adaptive_kernelIlif21rocsparse_complex_numIfES1_S1_EvbT_PKS2_N9rocsparse24const_host_device_scalarIT4_EES4_PKT0_PKT1_PKT2_S8_PT3_21rocsparse_index_base_b: ; @_ZL33csrmvn_symm_large_adaptive_kernelIlif21rocsparse_complex_numIfES1_S1_EvbT_PKS2_N9rocsparse24const_host_device_scalarIT4_EES4_PKT0_PKT1_PKT2_S8_PT3_21rocsparse_index_base_b
; %bb.0:
	s_clause 0x1
	s_load_b64 s[6:7], s[0:1], 0x50
	s_load_b64 s[4:5], s[0:1], 0x18
	s_add_nc_u64 s[8:9], s[0:1], 24
	s_wait_kmcnt 0x0
	s_bitcmp1_b32 s7, 0
	s_cselect_b32 s3, -1, 0
	s_delay_alu instid0(SALU_CYCLE_1) | instskip(SKIP_2) | instid1(SALU_CYCLE_1)
	s_and_b32 s2, s3, exec_lo
	s_cselect_b32 s2, s8, s4
	s_cselect_b32 s4, s9, s5
	v_dual_mov_b32 v1, s2 :: v_dual_mov_b32 v2, s4
	flat_load_b64 v[1:2], v[1:2]
	s_wait_loadcnt_dscnt 0x0
	v_cmp_eq_f32_e32 vcc_lo, 0, v1
	v_cmp_eq_f32_e64 s2, 0, v2
	s_and_b32 s5, vcc_lo, s2
	s_mov_b32 s2, -1
	s_wait_alu 0xfffe
	s_and_saveexec_b32 s4, s5
	s_cbranch_execz .LBB87_2
; %bb.1:
	s_load_b64 s[8:9], s[0:1], 0x40
	s_add_nc_u64 s[10:11], s[0:1], 64
	s_and_b32 s2, s3, exec_lo
	s_wait_kmcnt 0x0
	s_cselect_b32 s2, s10, s8
	s_cselect_b32 s3, s11, s9
	s_wait_alu 0xfffe
	v_dual_mov_b32 v3, s2 :: v_dual_mov_b32 v4, s3
	flat_load_b64 v[3:4], v[3:4]
	s_wait_loadcnt_dscnt 0x0
	v_cmp_neq_f32_e32 vcc_lo, 1.0, v3
	v_cmp_neq_f32_e64 s2, 0, v4
	s_or_b32 s2, vcc_lo, s2
	s_wait_alu 0xfffe
	s_or_not1_b32 s2, s2, exec_lo
.LBB87_2:
	s_wait_alu 0xfffe
	s_or_b32 exec_lo, exec_lo, s4
	s_and_saveexec_b32 s3, s2
	s_cbranch_execz .LBB87_36
; %bb.3:
	s_load_b64 s[4:5], s[0:1], 0x10
	s_mov_b32 s22, 0
	s_mov_b32 s2, ttmp9
	s_mov_b32 s23, s22
	v_dual_mov_b32 v3, s22 :: v_dual_mov_b32 v14, 0
	s_ashr_i32 s3, ttmp9, 31
	v_dual_mov_b32 v4, s23 :: v_dual_lshlrev_b32 v11, 3, v0
	s_wait_alu 0xfffe
	s_lshl_b64 s[2:3], s[2:3], 3
	ds_store_2addr_stride64_b64 v11, v[3:4], v[3:4] offset1:4
	ds_store_2addr_stride64_b64 v11, v[3:4], v[3:4] offset0:8 offset1:12
	s_wait_dscnt 0x0
	s_barrier_signal -1
	s_barrier_wait -1
	global_inv scope:SCOPE_SE
	s_mov_b32 s7, s22
	s_wait_kmcnt 0x0
	s_wait_alu 0xfffe
	s_add_nc_u64 s[2:3], s[4:5], s[2:3]
	s_load_b128 s[16:19], s[2:3], 0x0
	s_clause 0x1
	s_load_b256 s[8:15], s[0:1], 0x20
	s_load_b64 s[20:21], s[0:1], 0x48
	v_sub_co_u32 v12, s1, v0, s6
	s_delay_alu instid0(VALU_DEP_1)
	v_sub_co_ci_u32_e64 v13, null, 0, 0, s1
	s_wait_kmcnt 0x0
	v_cmp_ge_i64_e64 s0, s[16:17], s[18:19]
	s_and_b32 vcc_lo, exec_lo, s0
	s_cbranch_vccnz .LBB87_27
; %bb.4:
	v_cmp_gt_u32_e64 s0, 64, v0
	v_cmp_gt_u32_e64 s1, 16, v0
	;; [unrolled: 1-line block ×3, first 2 shown]
	v_cmp_eq_u32_e64 s3, 0, v0
	s_mov_b64 s[22:23], s[16:17]
	s_branch .LBB87_6
.LBB87_5:                               ;   in Loop: Header=BB87_6 Depth=1
	s_wait_alu 0xfffe
	s_or_b32 exec_lo, exec_lo, s26
	s_add_nc_u64 s[22:23], s[22:23], 1
	s_wait_alu 0xfffe
	v_cmp_ge_i64_e64 s4, s[22:23], s[18:19]
	s_and_b32 vcc_lo, exec_lo, s4
	s_wait_alu 0xfffe
	s_cbranch_vccnz .LBB87_27
.LBB87_6:                               ; =>This Loop Header: Depth=1
                                        ;     Child Loop BB87_8 Depth 2
                                        ;     Child Loop BB87_20 Depth 2
	;; [unrolled: 1-line block ×3, first 2 shown]
	s_wait_alu 0xfffe
	s_lshl_b64 s[24:25], s[22:23], 3
	v_dual_mov_b32 v6, 0 :: v_dual_mov_b32 v5, 0
	s_wait_alu 0xfffe
	s_add_nc_u64 s[4:5], s[8:9], s[24:25]
	s_load_b128 s[28:31], s[4:5], 0x0
	s_mov_b32 s5, exec_lo
	s_wait_kmcnt 0x0
	v_add_co_u32 v3, vcc_lo, s28, v12
	s_wait_alu 0xfffd
	v_add_co_ci_u32_e64 v4, null, s29, v13, vcc_lo
	s_sub_nc_u64 s[26:27], s[30:31], s[6:7]
	s_wait_alu 0xfffe
	v_cmpx_gt_i64_e64 s[26:27], v[3:4]
	s_cbranch_execz .LBB87_10
; %bb.7:                                ;   in Loop: Header=BB87_6 Depth=1
	v_lshlrev_b64_e32 v[9:10], 2, v[3:4]
	v_mov_b32_e32 v6, 0
	s_mov_b32 s28, 0
	s_delay_alu instid0(VALU_DEP_1) | instskip(NEXT) | instid1(VALU_DEP_3)
	v_mov_b32_e32 v5, v6
	v_add_co_u32 v7, vcc_lo, s10, v9
	s_wait_alu 0xfffd
	v_add_co_ci_u32_e64 v8, null, s11, v10, vcc_lo
	v_add_co_u32 v9, vcc_lo, s12, v9
	s_wait_alu 0xfffd
	v_add_co_ci_u32_e64 v10, null, s13, v10, vcc_lo
.LBB87_8:                               ;   Parent Loop BB87_6 Depth=1
                                        ; =>  This Inner Loop Header: Depth=2
	global_load_b32 v0, v[7:8], off
	s_wait_loadcnt 0x0
	v_subrev_nc_u32_e32 v15, s6, v0
	s_delay_alu instid0(VALU_DEP_1) | instskip(NEXT) | instid1(VALU_DEP_1)
	v_ashrrev_i32_e32 v16, 31, v15
	v_lshlrev_b64_e32 v[15:16], 3, v[15:16]
	s_delay_alu instid0(VALU_DEP_1) | instskip(SKIP_1) | instid1(VALU_DEP_2)
	v_add_co_u32 v15, vcc_lo, s14, v15
	s_wait_alu 0xfffd
	v_add_co_ci_u32_e64 v16, null, s15, v16, vcc_lo
	v_add_co_u32 v3, vcc_lo, 0x100, v3
	global_load_b32 v0, v[9:10], off
	global_load_b64 v[15:16], v[15:16], off
	s_wait_alu 0xfffd
	v_add_co_ci_u32_e64 v4, null, 0, v4, vcc_lo
	v_add_co_u32 v7, vcc_lo, 0x400, v7
	s_wait_alu 0xfffd
	v_add_co_ci_u32_e64 v8, null, 0, v8, vcc_lo
	s_delay_alu instid0(VALU_DEP_3) | instskip(SKIP_4) | instid1(VALU_DEP_3)
	v_cmp_le_i64_e64 s4, s[26:27], v[3:4]
	v_add_co_u32 v9, vcc_lo, 0x400, v9
	s_wait_alu 0xfffd
	v_add_co_ci_u32_e64 v10, null, 0, v10, vcc_lo
	s_wait_alu 0xfffe
	s_or_b32 s28, s4, s28
	s_wait_loadcnt 0x0
	v_fmac_f32_e32 v5, v0, v15
	s_delay_alu instid0(VALU_DEP_1) | instskip(NEXT) | instid1(VALU_DEP_1)
	v_dual_fmac_f32 v6, 0, v15 :: v_dual_fmac_f32 v5, 0x80000000, v16
	v_fmac_f32_e32 v6, v0, v16
	s_wait_alu 0xfffe
	s_and_not1_b32 exec_lo, exec_lo, s28
	s_cbranch_execnz .LBB87_8
; %bb.9:                                ;   in Loop: Header=BB87_6 Depth=1
	s_or_b32 exec_lo, exec_lo, s28
.LBB87_10:                              ;   in Loop: Header=BB87_6 Depth=1
	s_wait_alu 0xfffe
	s_or_b32 exec_lo, exec_lo, s5
	ds_store_b64 v11, v[5:6]
	s_wait_loadcnt_dscnt 0x0
	s_barrier_signal -1
	s_barrier_wait -1
	global_inv scope:SCOPE_SE
	ds_load_2addr_stride64_b64 v[3:6], v11 offset1:4
	ds_load_2addr_stride64_b64 v[7:10], v11 offset0:8 offset1:12
	s_wait_dscnt 0x0
	v_dual_add_f32 v0, v7, v5 :: v_dual_add_f32 v5, v8, v6
	s_delay_alu instid0(VALU_DEP_1) | instskip(NEXT) | instid1(VALU_DEP_1)
	v_dual_add_f32 v0, v9, v0 :: v_dual_add_f32 v5, v10, v5
	v_dual_add_f32 v3, v0, v3 :: v_dual_add_f32 v4, v5, v4
	ds_store_b64 v11, v[3:4]
	s_wait_loadcnt_dscnt 0x0
	s_barrier_signal -1
	s_barrier_wait -1
	global_inv scope:SCOPE_SE
	s_and_saveexec_b32 s4, s0
	s_cbranch_execz .LBB87_12
; %bb.11:                               ;   in Loop: Header=BB87_6 Depth=1
	ds_load_2addr_stride64_b64 v[3:6], v11 offset1:1
	ds_load_2addr_stride64_b64 v[7:10], v11 offset0:2 offset1:3
	s_wait_dscnt 0x0
	v_dual_add_f32 v0, v7, v5 :: v_dual_add_f32 v5, v8, v6
	s_delay_alu instid0(VALU_DEP_1) | instskip(NEXT) | instid1(VALU_DEP_1)
	v_dual_add_f32 v0, v9, v0 :: v_dual_add_f32 v5, v10, v5
	v_dual_add_f32 v3, v0, v3 :: v_dual_add_f32 v4, v5, v4
	ds_store_b64 v11, v[3:4]
.LBB87_12:                              ;   in Loop: Header=BB87_6 Depth=1
	s_wait_alu 0xfffe
	s_or_b32 exec_lo, exec_lo, s4
	s_wait_loadcnt_dscnt 0x0
	s_barrier_signal -1
	s_barrier_wait -1
	global_inv scope:SCOPE_SE
	s_and_saveexec_b32 s4, s1
	s_cbranch_execz .LBB87_14
; %bb.13:                               ;   in Loop: Header=BB87_6 Depth=1
	ds_load_2addr_b64 v[3:6], v11 offset1:16
	ds_load_2addr_b64 v[7:10], v11 offset0:32 offset1:48
	s_wait_dscnt 0x0
	v_dual_add_f32 v0, v7, v5 :: v_dual_add_f32 v5, v8, v6
	s_delay_alu instid0(VALU_DEP_1) | instskip(NEXT) | instid1(VALU_DEP_1)
	v_dual_add_f32 v0, v9, v0 :: v_dual_add_f32 v5, v10, v5
	v_dual_add_f32 v3, v0, v3 :: v_dual_add_f32 v4, v5, v4
	ds_store_b64 v11, v[3:4]
.LBB87_14:                              ;   in Loop: Header=BB87_6 Depth=1
	s_wait_alu 0xfffe
	s_or_b32 exec_lo, exec_lo, s4
	s_wait_loadcnt_dscnt 0x0
	s_barrier_signal -1
	s_barrier_wait -1
	global_inv scope:SCOPE_SE
	s_and_saveexec_b32 s4, s2
	s_cbranch_execz .LBB87_16
; %bb.15:                               ;   in Loop: Header=BB87_6 Depth=1
	ds_load_2addr_b64 v[3:6], v11 offset1:4
	ds_load_2addr_b64 v[7:10], v11 offset0:8 offset1:12
	s_wait_dscnt 0x0
	v_dual_add_f32 v0, v7, v5 :: v_dual_add_f32 v5, v8, v6
	s_delay_alu instid0(VALU_DEP_1) | instskip(NEXT) | instid1(VALU_DEP_1)
	v_dual_add_f32 v0, v9, v0 :: v_dual_add_f32 v5, v10, v5
	v_dual_add_f32 v3, v0, v3 :: v_dual_add_f32 v4, v5, v4
	ds_store_b64 v11, v[3:4]
.LBB87_16:                              ;   in Loop: Header=BB87_6 Depth=1
	s_wait_alu 0xfffe
	s_or_b32 exec_lo, exec_lo, s4
	s_wait_loadcnt_dscnt 0x0
	s_barrier_signal -1
	s_barrier_wait -1
	global_inv scope:SCOPE_SE
	s_and_saveexec_b32 s4, s3
	s_cbranch_execz .LBB87_18
; %bb.17:                               ;   in Loop: Header=BB87_6 Depth=1
	ds_load_b128 v[3:6], v14 offset:16
	ds_load_b64 v[7:8], v14 offset:8
	ds_load_b64 v[9:10], v11
	s_wait_dscnt 0x1
	v_dual_add_f32 v0, v3, v7 :: v_dual_add_f32 v3, v4, v8
	s_delay_alu instid0(VALU_DEP_1) | instskip(SKIP_1) | instid1(VALU_DEP_1)
	v_add_f32_e32 v0, v5, v0
	s_wait_dscnt 0x0
	v_dual_add_f32 v4, v6, v3 :: v_dual_add_f32 v3, v0, v9
	s_delay_alu instid0(VALU_DEP_1)
	v_add_f32_e32 v4, v4, v10
	ds_store_b64 v11, v[3:4]
.LBB87_18:                              ;   in Loop: Header=BB87_6 Depth=1
	s_wait_alu 0xfffe
	s_or_b32 exec_lo, exec_lo, s4
	s_wait_loadcnt_dscnt 0x0
	s_barrier_signal -1
	s_barrier_wait -1
	global_inv scope:SCOPE_SE
	s_and_saveexec_b32 s26, s3
	s_cbranch_execz .LBB87_5
; %bb.19:                               ;   in Loop: Header=BB87_6 Depth=1
	ds_load_b64 v[3:4], v14
	s_mov_b32 s4, exec_lo
	s_brev_b32 s27, 1
	s_wait_dscnt 0x0
	v_mul_f32_e64 v0, v4, -v2
	s_delay_alu instid0(VALU_DEP_1)
	v_fmac_f32_e32 v0, v1, v3
.LBB87_20:                              ;   Parent Loop BB87_6 Depth=1
                                        ; =>  This Inner Loop Header: Depth=2
	s_wait_alu 0xfffe
	s_ctz_i32_b32 s5, s4
	s_wait_alu 0xfffe
	s_delay_alu instid0(VALU_DEP_1)
	v_readlane_b32 s28, v0, s5
	s_lshl_b32 s5, 1, s5
	s_wait_alu 0xfffe
	s_and_not1_b32 s4, s4, s5
	s_wait_alu 0xfffe
	s_cmp_lg_u32 s4, 0
	s_add_f32 s27, s27, s28
	s_cbranch_scc1 .LBB87_20
; %bb.21:                               ;   in Loop: Header=BB87_6 Depth=1
	v_mbcnt_lo_u32_b32 v0, exec_lo, 0
	s_add_nc_u64 s[4:5], s[20:21], s[24:25]
	s_mov_b32 s24, exec_lo
	s_delay_alu instid0(VALU_DEP_1)
	v_cmpx_eq_u32_e32 0, v0
	s_wait_alu 0xfffe
	s_xor_b32 s24, exec_lo, s24
	s_cbranch_execz .LBB87_23
; %bb.22:                               ;   in Loop: Header=BB87_6 Depth=1
	v_mov_b32_e32 v0, s27
	global_atomic_add_f32 v14, v0, s[4:5] scope:SCOPE_DEV
.LBB87_23:                              ;   in Loop: Header=BB87_6 Depth=1
	s_wait_alu 0xfffe
	s_or_b32 exec_lo, exec_lo, s24
	v_mul_f32_e32 v0, v1, v4
	s_mov_b32 s25, exec_lo
	s_brev_b32 s24, 1
	s_delay_alu instid0(VALU_DEP_1)
	v_fmac_f32_e32 v0, v2, v3
.LBB87_24:                              ;   Parent Loop BB87_6 Depth=1
                                        ; =>  This Inner Loop Header: Depth=2
	s_wait_alu 0xfffe
	s_ctz_i32_b32 s27, s25
	s_wait_alu 0xfffe
	s_delay_alu instid0(VALU_DEP_1)
	v_readlane_b32 s28, v0, s27
	s_lshl_b32 s27, 1, s27
	s_wait_alu 0xfffe
	s_and_not1_b32 s25, s25, s27
	s_wait_alu 0xfffe
	s_cmp_lg_u32 s25, 0
	s_add_f32 s24, s24, s28
	s_cbranch_scc1 .LBB87_24
; %bb.25:                               ;   in Loop: Header=BB87_6 Depth=1
	v_mbcnt_lo_u32_b32 v0, exec_lo, 0
	s_mov_b32 s25, exec_lo
	s_delay_alu instid0(VALU_DEP_1)
	v_cmpx_eq_u32_e32 0, v0
	s_wait_alu 0xfffe
	s_xor_b32 s25, exec_lo, s25
	s_cbranch_execz .LBB87_5
; %bb.26:                               ;   in Loop: Header=BB87_6 Depth=1
	v_mov_b32_e32 v0, s24
	global_atomic_add_f32 v14, v0, s[4:5] offset:4 scope:SCOPE_DEV
	s_branch .LBB87_5
.LBB87_27:
	s_lshl_b64 s[0:1], s[16:17], 3
	s_lshl_b64 s[2:3], s[18:19], 3
	s_wait_alu 0xfffe
	s_add_nc_u64 s[0:1], s[8:9], s[0:1]
	s_add_nc_u64 s[2:3], s[8:9], s[2:3]
	s_clause 0x1
	s_load_b64 s[0:1], s[0:1], 0x0
	s_load_b64 s[2:3], s[2:3], 0x0
	s_wait_kmcnt 0x0
	v_add_co_u32 v3, vcc_lo, s0, v12
	s_wait_alu 0xfffd
	v_add_co_ci_u32_e64 v4, null, s1, v13, vcc_lo
	s_sub_nc_u64 s[2:3], s[2:3], s[6:7]
	s_wait_alu 0xfffe
	v_cmp_gt_i64_e32 vcc_lo, s[2:3], v[3:4]
	s_and_b32 exec_lo, exec_lo, vcc_lo
	s_cbranch_execz .LBB87_36
; %bb.28:
	s_add_nc_u64 s[4:5], s[18:19], -1
	s_add_nc_u64 s[0:1], s[18:19], -2
	s_wait_alu 0xfffe
	v_cmp_lt_i64_e64 s7, s[16:17], s[4:5]
	s_cmp_lg_u64 s[16:17], s[0:1]
	v_dual_mul_f32 v0, 0x80000000, v2 :: v_dual_mul_f32 v13, 0, v1
	s_cselect_b32 s0, -1, 0
	s_wait_alu 0xfffe
	s_and_b32 s1, s7, s0
	s_mov_b32 s7, 0
	s_branch .LBB87_30
.LBB87_29:                              ;   in Loop: Header=BB87_30 Depth=1
	s_wait_alu 0xfffe
	s_or_b32 exec_lo, exec_lo, s0
	v_add_co_u32 v3, vcc_lo, 0x100, v3
	s_wait_alu 0xfffd
	v_add_co_ci_u32_e64 v4, null, 0, v4, vcc_lo
	s_delay_alu instid0(VALU_DEP_1)
	v_cmp_le_i64_e32 vcc_lo, s[2:3], v[3:4]
	s_or_b32 s7, vcc_lo, s7
	s_wait_alu 0xfffe
	s_and_not1_b32 exec_lo, exec_lo, s7
	s_cbranch_execz .LBB87_36
.LBB87_30:                              ; =>This Loop Header: Depth=1
                                        ;     Child Loop BB87_32 Depth 2
	v_dual_mov_b32 v5, s16 :: v_dual_mov_b32 v6, s17
	v_dual_mov_b32 v8, s5 :: v_dual_mov_b32 v7, s4
	s_wait_alu 0xfffe
	s_and_not1_b32 vcc_lo, exec_lo, s1
	s_wait_alu 0xfffe
	s_cbranch_vccnz .LBB87_34
; %bb.31:                               ;   in Loop: Header=BB87_30 Depth=1
	v_dual_mov_b32 v5, s16 :: v_dual_mov_b32 v6, s17
	v_dual_mov_b32 v8, s5 :: v_dual_mov_b32 v7, s4
	s_mov_b32 s18, 0
.LBB87_32:                              ;   Parent Loop BB87_30 Depth=1
                                        ; =>  This Inner Loop Header: Depth=2
	s_delay_alu instid0(VALU_DEP_1) | instskip(SKIP_1) | instid1(VALU_DEP_2)
	v_add_co_u32 v9, vcc_lo, v7, v5
	s_wait_alu 0xfffd
	v_add_co_ci_u32_e64 v10, null, v8, v6, vcc_lo
	s_delay_alu instid0(VALU_DEP_1) | instskip(NEXT) | instid1(VALU_DEP_1)
	v_lshrrev_b32_e32 v11, 31, v10
	v_add_co_u32 v9, vcc_lo, v9, v11
	s_wait_alu 0xfffd
	v_add_co_ci_u32_e64 v10, null, 0, v10, vcc_lo
	s_delay_alu instid0(VALU_DEP_1) | instskip(NEXT) | instid1(VALU_DEP_1)
	v_ashrrev_i64 v[9:10], 1, v[9:10]
	v_lshlrev_b64_e32 v[11:12], 3, v[9:10]
	s_delay_alu instid0(VALU_DEP_1) | instskip(SKIP_1) | instid1(VALU_DEP_2)
	v_add_co_u32 v11, vcc_lo, s8, v11
	s_wait_alu 0xfffd
	v_add_co_ci_u32_e64 v12, null, s9, v12, vcc_lo
	global_load_b64 v[11:12], v[11:12], off
	s_wait_loadcnt 0x0
	v_sub_co_u32 v11, vcc_lo, v11, s6
	s_wait_alu 0xfffd
	v_subrev_co_ci_u32_e64 v12, null, 0, v12, vcc_lo
	s_delay_alu instid0(VALU_DEP_1) | instskip(SKIP_3) | instid1(VALU_DEP_2)
	v_cmp_lt_i64_e32 vcc_lo, v[3:4], v[11:12]
	s_wait_alu 0xfffd
	v_dual_cndmask_b32 v8, v8, v10 :: v_dual_cndmask_b32 v7, v7, v9
	v_dual_cndmask_b32 v6, v10, v6 :: v_dual_cndmask_b32 v5, v9, v5
	v_add_co_u32 v9, vcc_lo, v7, -1
	s_wait_alu 0xfffd
	s_delay_alu instid0(VALU_DEP_3) | instskip(NEXT) | instid1(VALU_DEP_3)
	v_add_co_ci_u32_e64 v10, null, -1, v8, vcc_lo
	v_cmp_ge_i64_e32 vcc_lo, v[5:6], v[7:8]
	s_delay_alu instid0(VALU_DEP_2)
	v_cmp_eq_u64_e64 s0, v[5:6], v[9:10]
	s_or_b32 s0, vcc_lo, s0
	s_wait_alu 0xfffe
	s_and_b32 s0, exec_lo, s0
	s_wait_alu 0xfffe
	s_or_b32 s18, s0, s18
	s_wait_alu 0xfffe
	s_and_not1_b32 exec_lo, exec_lo, s18
	s_cbranch_execnz .LBB87_32
; %bb.33:                               ;   in Loop: Header=BB87_30 Depth=1
	s_or_b32 exec_lo, exec_lo, s18
.LBB87_34:                              ;   in Loop: Header=BB87_30 Depth=1
	v_lshlrev_b64_e32 v[9:10], 3, v[7:8]
	v_lshlrev_b64_e32 v[11:12], 2, v[3:4]
	s_mov_b32 s0, exec_lo
	s_delay_alu instid0(VALU_DEP_2) | instskip(SKIP_1) | instid1(VALU_DEP_3)
	v_add_co_u32 v9, vcc_lo, s8, v9
	s_wait_alu 0xfffd
	v_add_co_ci_u32_e64 v10, null, s9, v10, vcc_lo
	s_delay_alu instid0(VALU_DEP_3)
	v_add_co_u32 v14, vcc_lo, s10, v11
	s_wait_alu 0xfffd
	v_add_co_ci_u32_e64 v15, null, s11, v12, vcc_lo
	global_load_b64 v[9:10], v[9:10], off
	global_load_b32 v14, v[14:15], off
	s_wait_loadcnt 0x1
	v_sub_co_u32 v9, vcc_lo, v9, s6
	s_wait_alu 0xfffd
	v_subrev_co_ci_u32_e64 v10, null, 0, v10, vcc_lo
	s_delay_alu instid0(VALU_DEP_1) | instskip(SKIP_2) | instid1(VALU_DEP_1)
	v_cmp_lt_i64_e32 vcc_lo, v[3:4], v[9:10]
	s_wait_loadcnt 0x0
	v_subrev_nc_u32_e32 v9, s6, v14
	v_ashrrev_i32_e32 v10, 31, v9
	s_wait_alu 0xfffd
	v_dual_cndmask_b32 v6, v8, v6 :: v_dual_cndmask_b32 v5, v7, v5
	s_delay_alu instid0(VALU_DEP_1)
	v_cmpx_ne_u64_e64 v[5:6], v[9:10]
	s_cbranch_execz .LBB87_29
; %bb.35:                               ;   in Loop: Header=BB87_30 Depth=1
	v_lshlrev_b64_e32 v[5:6], 3, v[5:6]
	v_add_co_u32 v7, vcc_lo, s12, v11
	s_wait_alu 0xfffd
	v_add_co_ci_u32_e64 v8, null, s13, v12, vcc_lo
	s_delay_alu instid0(VALU_DEP_3)
	v_add_co_u32 v5, vcc_lo, s14, v5
	global_load_b32 v7, v[7:8], off
	s_wait_alu 0xfffd
	v_add_co_ci_u32_e64 v6, null, s15, v6, vcc_lo
	global_load_b64 v[5:6], v[5:6], off
	s_wait_loadcnt 0x1
	v_fma_f32 v11, v2, v7, v13
	v_fma_f32 v12, v1, v7, v0
	v_lshlrev_b64_e32 v[7:8], 3, v[9:10]
	s_wait_loadcnt 0x0
	s_delay_alu instid0(VALU_DEP_3) | instskip(NEXT) | instid1(VALU_DEP_3)
	v_mul_f32_e64 v9, v6, -v11
	v_mul_f32_e32 v10, v12, v6
	s_delay_alu instid0(VALU_DEP_3)
	v_add_co_u32 v6, vcc_lo, s20, v7
	s_wait_alu 0xfffd
	v_add_co_ci_u32_e64 v7, null, s21, v8, vcc_lo
	v_fmac_f32_e32 v9, v12, v5
	v_fmac_f32_e32 v10, v11, v5
	s_clause 0x1
	global_atomic_add_f32 v[6:7], v9, off scope:SCOPE_DEV
	global_atomic_add_f32 v[6:7], v10, off offset:4 scope:SCOPE_DEV
	s_branch .LBB87_29
.LBB87_36:
	s_endpgm
	.section	.rodata,"a",@progbits
	.p2align	6, 0x0
	.amdhsa_kernel _ZL33csrmvn_symm_large_adaptive_kernelIlif21rocsparse_complex_numIfES1_S1_EvbT_PKS2_N9rocsparse24const_host_device_scalarIT4_EES4_PKT0_PKT1_PKT2_S8_PT3_21rocsparse_index_base_b
		.amdhsa_group_segment_fixed_size 8192
		.amdhsa_private_segment_fixed_size 0
		.amdhsa_kernarg_size 88
		.amdhsa_user_sgpr_count 2
		.amdhsa_user_sgpr_dispatch_ptr 0
		.amdhsa_user_sgpr_queue_ptr 0
		.amdhsa_user_sgpr_kernarg_segment_ptr 1
		.amdhsa_user_sgpr_dispatch_id 0
		.amdhsa_user_sgpr_private_segment_size 0
		.amdhsa_wavefront_size32 1
		.amdhsa_uses_dynamic_stack 0
		.amdhsa_enable_private_segment 0
		.amdhsa_system_sgpr_workgroup_id_x 1
		.amdhsa_system_sgpr_workgroup_id_y 0
		.amdhsa_system_sgpr_workgroup_id_z 0
		.amdhsa_system_sgpr_workgroup_info 0
		.amdhsa_system_vgpr_workitem_id 0
		.amdhsa_next_free_vgpr 17
		.amdhsa_next_free_sgpr 32
		.amdhsa_reserve_vcc 1
		.amdhsa_float_round_mode_32 0
		.amdhsa_float_round_mode_16_64 0
		.amdhsa_float_denorm_mode_32 3
		.amdhsa_float_denorm_mode_16_64 3
		.amdhsa_fp16_overflow 0
		.amdhsa_workgroup_processor_mode 1
		.amdhsa_memory_ordered 1
		.amdhsa_forward_progress 1
		.amdhsa_inst_pref_size 19
		.amdhsa_round_robin_scheduling 0
		.amdhsa_exception_fp_ieee_invalid_op 0
		.amdhsa_exception_fp_denorm_src 0
		.amdhsa_exception_fp_ieee_div_zero 0
		.amdhsa_exception_fp_ieee_overflow 0
		.amdhsa_exception_fp_ieee_underflow 0
		.amdhsa_exception_fp_ieee_inexact 0
		.amdhsa_exception_int_div_zero 0
	.end_amdhsa_kernel
	.section	.text._ZL33csrmvn_symm_large_adaptive_kernelIlif21rocsparse_complex_numIfES1_S1_EvbT_PKS2_N9rocsparse24const_host_device_scalarIT4_EES4_PKT0_PKT1_PKT2_S8_PT3_21rocsparse_index_base_b,"axG",@progbits,_ZL33csrmvn_symm_large_adaptive_kernelIlif21rocsparse_complex_numIfES1_S1_EvbT_PKS2_N9rocsparse24const_host_device_scalarIT4_EES4_PKT0_PKT1_PKT2_S8_PT3_21rocsparse_index_base_b,comdat
.Lfunc_end87:
	.size	_ZL33csrmvn_symm_large_adaptive_kernelIlif21rocsparse_complex_numIfES1_S1_EvbT_PKS2_N9rocsparse24const_host_device_scalarIT4_EES4_PKT0_PKT1_PKT2_S8_PT3_21rocsparse_index_base_b, .Lfunc_end87-_ZL33csrmvn_symm_large_adaptive_kernelIlif21rocsparse_complex_numIfES1_S1_EvbT_PKS2_N9rocsparse24const_host_device_scalarIT4_EES4_PKT0_PKT1_PKT2_S8_PT3_21rocsparse_index_base_b
                                        ; -- End function
	.set _ZL33csrmvn_symm_large_adaptive_kernelIlif21rocsparse_complex_numIfES1_S1_EvbT_PKS2_N9rocsparse24const_host_device_scalarIT4_EES4_PKT0_PKT1_PKT2_S8_PT3_21rocsparse_index_base_b.num_vgpr, 17
	.set _ZL33csrmvn_symm_large_adaptive_kernelIlif21rocsparse_complex_numIfES1_S1_EvbT_PKS2_N9rocsparse24const_host_device_scalarIT4_EES4_PKT0_PKT1_PKT2_S8_PT3_21rocsparse_index_base_b.num_agpr, 0
	.set _ZL33csrmvn_symm_large_adaptive_kernelIlif21rocsparse_complex_numIfES1_S1_EvbT_PKS2_N9rocsparse24const_host_device_scalarIT4_EES4_PKT0_PKT1_PKT2_S8_PT3_21rocsparse_index_base_b.numbered_sgpr, 32
	.set _ZL33csrmvn_symm_large_adaptive_kernelIlif21rocsparse_complex_numIfES1_S1_EvbT_PKS2_N9rocsparse24const_host_device_scalarIT4_EES4_PKT0_PKT1_PKT2_S8_PT3_21rocsparse_index_base_b.num_named_barrier, 0
	.set _ZL33csrmvn_symm_large_adaptive_kernelIlif21rocsparse_complex_numIfES1_S1_EvbT_PKS2_N9rocsparse24const_host_device_scalarIT4_EES4_PKT0_PKT1_PKT2_S8_PT3_21rocsparse_index_base_b.private_seg_size, 0
	.set _ZL33csrmvn_symm_large_adaptive_kernelIlif21rocsparse_complex_numIfES1_S1_EvbT_PKS2_N9rocsparse24const_host_device_scalarIT4_EES4_PKT0_PKT1_PKT2_S8_PT3_21rocsparse_index_base_b.uses_vcc, 1
	.set _ZL33csrmvn_symm_large_adaptive_kernelIlif21rocsparse_complex_numIfES1_S1_EvbT_PKS2_N9rocsparse24const_host_device_scalarIT4_EES4_PKT0_PKT1_PKT2_S8_PT3_21rocsparse_index_base_b.uses_flat_scratch, 0
	.set _ZL33csrmvn_symm_large_adaptive_kernelIlif21rocsparse_complex_numIfES1_S1_EvbT_PKS2_N9rocsparse24const_host_device_scalarIT4_EES4_PKT0_PKT1_PKT2_S8_PT3_21rocsparse_index_base_b.has_dyn_sized_stack, 0
	.set _ZL33csrmvn_symm_large_adaptive_kernelIlif21rocsparse_complex_numIfES1_S1_EvbT_PKS2_N9rocsparse24const_host_device_scalarIT4_EES4_PKT0_PKT1_PKT2_S8_PT3_21rocsparse_index_base_b.has_recursion, 0
	.set _ZL33csrmvn_symm_large_adaptive_kernelIlif21rocsparse_complex_numIfES1_S1_EvbT_PKS2_N9rocsparse24const_host_device_scalarIT4_EES4_PKT0_PKT1_PKT2_S8_PT3_21rocsparse_index_base_b.has_indirect_call, 0
	.section	.AMDGPU.csdata,"",@progbits
; Kernel info:
; codeLenInByte = 2428
; TotalNumSgprs: 34
; NumVgprs: 17
; ScratchSize: 0
; MemoryBound: 0
; FloatMode: 240
; IeeeMode: 1
; LDSByteSize: 8192 bytes/workgroup (compile time only)
; SGPRBlocks: 0
; VGPRBlocks: 2
; NumSGPRsForWavesPerEU: 34
; NumVGPRsForWavesPerEU: 17
; Occupancy: 16
; WaveLimiterHint : 1
; COMPUTE_PGM_RSRC2:SCRATCH_EN: 0
; COMPUTE_PGM_RSRC2:USER_SGPR: 2
; COMPUTE_PGM_RSRC2:TRAP_HANDLER: 0
; COMPUTE_PGM_RSRC2:TGID_X_EN: 1
; COMPUTE_PGM_RSRC2:TGID_Y_EN: 0
; COMPUTE_PGM_RSRC2:TGID_Z_EN: 0
; COMPUTE_PGM_RSRC2:TIDIG_COMP_CNT: 0
	.section	.text._ZN9rocsparseL22csrmvn_adaptive_kernelIllf21rocsparse_complex_numIfES2_S2_EEvbT_PKS3_PjPKT0_NS_24const_host_device_scalarIT4_EES5_S9_PKT1_PKT2_SC_PT3_21rocsparse_index_base_b,"axG",@progbits,_ZN9rocsparseL22csrmvn_adaptive_kernelIllf21rocsparse_complex_numIfES2_S2_EEvbT_PKS3_PjPKT0_NS_24const_host_device_scalarIT4_EES5_S9_PKT1_PKT2_SC_PT3_21rocsparse_index_base_b,comdat
	.globl	_ZN9rocsparseL22csrmvn_adaptive_kernelIllf21rocsparse_complex_numIfES2_S2_EEvbT_PKS3_PjPKT0_NS_24const_host_device_scalarIT4_EES5_S9_PKT1_PKT2_SC_PT3_21rocsparse_index_base_b ; -- Begin function _ZN9rocsparseL22csrmvn_adaptive_kernelIllf21rocsparse_complex_numIfES2_S2_EEvbT_PKS3_PjPKT0_NS_24const_host_device_scalarIT4_EES5_S9_PKT1_PKT2_SC_PT3_21rocsparse_index_base_b
	.p2align	8
	.type	_ZN9rocsparseL22csrmvn_adaptive_kernelIllf21rocsparse_complex_numIfES2_S2_EEvbT_PKS3_PjPKT0_NS_24const_host_device_scalarIT4_EES5_S9_PKT1_PKT2_SC_PT3_21rocsparse_index_base_b,@function
_ZN9rocsparseL22csrmvn_adaptive_kernelIllf21rocsparse_complex_numIfES2_S2_EEvbT_PKS3_PjPKT0_NS_24const_host_device_scalarIT4_EES5_S9_PKT1_PKT2_SC_PT3_21rocsparse_index_base_b: ; @_ZN9rocsparseL22csrmvn_adaptive_kernelIllf21rocsparse_complex_numIfES2_S2_EEvbT_PKS3_PjPKT0_NS_24const_host_device_scalarIT4_EES5_S9_PKT1_PKT2_SC_PT3_21rocsparse_index_base_b
; %bb.0:
	s_clause 0x2
	s_load_b64 s[34:35], s[0:1], 0x60
	s_load_b64 s[2:3], s[0:1], 0x28
	s_load_b64 s[4:5], s[0:1], 0x50
	s_add_nc_u64 s[6:7], s[0:1], 40
	s_wait_kmcnt 0x0
	s_bitcmp1_b32 s35, 0
	s_cselect_b32 s2, s6, s2
	s_cselect_b32 s3, s7, s3
	s_delay_alu instid0(SALU_CYCLE_1)
	v_dual_mov_b32 v1, s2 :: v_dual_mov_b32 v2, s3
	s_add_nc_u64 s[2:3], s[0:1], 0x50
	s_wait_alu 0xfffe
	s_cselect_b32 s2, s2, s4
	s_cselect_b32 s3, s3, s5
	flat_load_b64 v[1:2], v[1:2]
	s_wait_alu 0xfffe
	v_dual_mov_b32 v3, s2 :: v_dual_mov_b32 v4, s3
	flat_load_b64 v[5:6], v[3:4]
	s_wait_loadcnt_dscnt 0x101
	v_cmp_eq_f32_e32 vcc_lo, 0, v1
	v_cmp_eq_f32_e64 s2, 0, v2
	s_and_b32 s4, vcc_lo, s2
	s_mov_b32 s2, -1
	s_and_saveexec_b32 s3, s4
	s_cbranch_execz .LBB88_2
; %bb.1:
	s_wait_loadcnt_dscnt 0x0
	v_cmp_neq_f32_e32 vcc_lo, 1.0, v5
	v_cmp_neq_f32_e64 s2, 0, v6
	s_wait_alu 0xfffe
	s_or_b32 s2, vcc_lo, s2
	s_wait_alu 0xfffe
	s_or_not1_b32 s2, s2, exec_lo
.LBB88_2:
	s_wait_alu 0xfffe
	s_or_b32 exec_lo, exec_lo, s3
	s_and_saveexec_b32 s3, s2
	s_cbranch_execz .LBB88_114
; %bb.3:
	s_clause 0x1
	s_load_b64 s[2:3], s[0:1], 0x10
	s_load_b64 s[6:7], s[0:1], 0x20
	s_mov_b32 s38, ttmp9
	s_ashr_i32 s39, ttmp9, 31
	s_delay_alu instid0(SALU_CYCLE_1)
	s_lshl_b64 s[4:5], s[38:39], 3
	s_wait_kmcnt 0x0
	s_add_nc_u64 s[2:3], s[2:3], s[4:5]
	s_load_b128 s[20:23], s[2:3], 0x0
	s_clause 0x1
	s_load_b256 s[12:19], s[0:1], 0x30
	s_load_b64 s[24:25], s[0:1], 0x58
	s_add_nc_u64 s[2:3], s[6:7], s[4:5]
	s_wait_kmcnt 0x0
	s_lshl_b64 s[36:37], s[20:21], 3
	s_delay_alu instid0(SALU_CYCLE_1)
	s_add_nc_u64 s[30:31], s[12:13], s[36:37]
	s_load_b64 s[26:27], s[2:3], 0x0
	s_load_b64 s[28:29], s[30:31], 0x0
	s_sub_nc_u64 s[2:3], s[22:23], s[20:21]
	s_wait_alu 0xfffe
	v_cmp_lt_i64_e64 s4, s[2:3], 2
	s_and_b32 vcc_lo, exec_lo, s4
	s_mov_b32 s4, -1
	s_cbranch_vccz .LBB88_70
; %bb.4:
	s_cmp_lg_u64 s[2:3], 1
	v_cmp_gt_u32_e64 s2, 0x80, v0
	s_cselect_b32 s4, -1, 0
	s_wait_kmcnt 0x0
	s_cmp_lg_u64 s[26:27], 0
	v_cmp_gt_u32_e64 s3, 64, v0
	s_cselect_b32 s5, -1, 0
	v_cmp_gt_u32_e64 s6, 8, v0
	s_or_b32 s5, s4, s5
	v_cmp_gt_u32_e64 s4, 32, v0
	s_and_b32 vcc_lo, exec_lo, s5
	v_cmp_gt_u32_e64 s5, 16, v0
	v_cmp_gt_u32_e64 s7, 4, v0
	;; [unrolled: 1-line block ×3, first 2 shown]
	v_cmp_eq_u32_e64 s9, 0, v0
	s_mov_b32 s10, -1
	s_cbranch_vccnz .LBB88_32
; %bb.5:
	v_sub_co_u32 v14, s10, v0, s34
	s_delay_alu instid0(VALU_DEP_1)
	v_sub_co_ci_u32_e64 v15, null, 0, 0, s10
	s_wait_loadcnt_dscnt 0x0
	v_cmp_neq_f32_e32 vcc_lo, 0, v5
	v_cmp_neq_f32_e64 s10, 0, v6
	v_dual_mov_b32 v13, 0 :: v_dual_mul_f32 v16, 0x80000000, v2
	v_dual_mul_f32 v17, 0, v1 :: v_dual_lshlrev_b32 v18, 3, v0
	s_mov_b32 s35, 0
	s_or_b32 s33, vcc_lo, s10
	s_mov_b64 s[40:41], s[20:21]
	s_branch .LBB88_8
.LBB88_6:                               ;   in Loop: Header=BB88_8 Depth=1
	s_or_b32 exec_lo, exec_lo, s42
	s_wait_dscnt 0x0
	global_store_b64 v13, v[3:4], s[10:11]
.LBB88_7:                               ;   in Loop: Header=BB88_8 Depth=1
	s_wait_alu 0xfffe
	s_or_b32 exec_lo, exec_lo, s44
	s_add_nc_u64 s[40:41], s[40:41], 1
	s_wait_alu 0xfffe
	v_cmp_ge_i64_e64 s10, s[40:41], s[22:23]
	s_and_b32 vcc_lo, exec_lo, s10
	s_wait_alu 0xfffe
	s_cbranch_vccnz .LBB88_31
.LBB88_8:                               ; =>This Loop Header: Depth=1
                                        ;     Child Loop BB88_10 Depth 2
	s_lshl_b64 s[42:43], s[40:41], 3
	v_dual_mov_b32 v8, 0 :: v_dual_mov_b32 v7, 0
	s_add_nc_u64 s[10:11], s[12:13], s[42:43]
	s_load_b128 s[44:47], s[10:11], 0x0
	s_mov_b32 s11, exec_lo
	s_wait_kmcnt 0x0
	v_add_co_u32 v3, vcc_lo, s44, v14
	s_wait_alu 0xfffd
	v_add_co_ci_u32_e64 v4, null, s45, v15, vcc_lo
	s_sub_nc_u64 s[44:45], s[46:47], s[34:35]
	s_wait_alu 0xfffe
	v_cmpx_gt_i64_e64 s[44:45], v[3:4]
	s_cbranch_execz .LBB88_12
; %bb.9:                                ;   in Loop: Header=BB88_8 Depth=1
	v_lshlrev_b64_e32 v[9:10], 2, v[3:4]
	v_lshlrev_b64_e32 v[11:12], 3, v[3:4]
	v_mov_b32_e32 v8, 0
	s_mov_b32 s46, 0
	s_delay_alu instid0(VALU_DEP_3)
	v_add_co_u32 v9, vcc_lo, s16, v9
	s_wait_alu 0xfffd
	v_add_co_ci_u32_e64 v10, null, s17, v10, vcc_lo
	v_add_co_u32 v11, vcc_lo, s14, v11
	s_wait_alu 0xfffd
	v_add_co_ci_u32_e64 v12, null, s15, v12, vcc_lo
	v_mov_b32_e32 v7, v8
.LBB88_10:                              ;   Parent Loop BB88_8 Depth=1
                                        ; =>  This Inner Loop Header: Depth=2
	global_load_b64 v[19:20], v[11:12], off
	global_load_b32 v21, v[9:10], off
	s_wait_loadcnt 0x1
	v_sub_co_u32 v19, vcc_lo, v19, s34
	s_wait_alu 0xfffd
	v_subrev_co_ci_u32_e64 v20, null, 0, v20, vcc_lo
	s_wait_loadcnt 0x0
	v_fma_f32 v22, v1, v21, v16
	v_fma_f32 v21, v2, v21, v17
	s_delay_alu instid0(VALU_DEP_3) | instskip(NEXT) | instid1(VALU_DEP_1)
	v_lshlrev_b64_e32 v[19:20], 3, v[19:20]
	v_add_co_u32 v19, vcc_lo, s18, v19
	s_wait_alu 0xfffd
	s_delay_alu instid0(VALU_DEP_2)
	v_add_co_ci_u32_e64 v20, null, s19, v20, vcc_lo
	v_add_co_u32 v3, vcc_lo, 0x100, v3
	s_wait_alu 0xfffd
	v_add_co_ci_u32_e64 v4, null, 0, v4, vcc_lo
	global_load_b64 v[19:20], v[19:20], off
	v_add_co_u32 v9, vcc_lo, 0x400, v9
	v_cmp_le_i64_e64 s10, s[44:45], v[3:4]
	s_wait_alu 0xfffd
	v_add_co_ci_u32_e64 v10, null, 0, v10, vcc_lo
	v_add_co_u32 v11, vcc_lo, 0x800, v11
	s_wait_alu 0xfffd
	v_add_co_ci_u32_e64 v12, null, 0, v12, vcc_lo
	s_or_b32 s46, s10, s46
	s_wait_loadcnt 0x0
	v_fmac_f32_e32 v7, v22, v19
	v_fmac_f32_e32 v8, v21, v19
	s_delay_alu instid0(VALU_DEP_2) | instskip(NEXT) | instid1(VALU_DEP_2)
	v_fma_f32 v7, -v21, v20, v7
	v_fmac_f32_e32 v8, v22, v20
	s_and_not1_b32 exec_lo, exec_lo, s46
	s_cbranch_execnz .LBB88_10
; %bb.11:                               ;   in Loop: Header=BB88_8 Depth=1
	s_or_b32 exec_lo, exec_lo, s46
.LBB88_12:                              ;   in Loop: Header=BB88_8 Depth=1
	s_delay_alu instid0(SALU_CYCLE_1)
	s_or_b32 exec_lo, exec_lo, s11
	ds_store_b64 v18, v[7:8]
	s_wait_dscnt 0x0
	s_barrier_signal -1
	s_barrier_wait -1
	global_inv scope:SCOPE_SE
	s_and_saveexec_b32 s10, s2
	s_cbranch_execz .LBB88_14
; %bb.13:                               ;   in Loop: Header=BB88_8 Depth=1
	ds_load_2addr_stride64_b64 v[7:10], v18 offset1:2
	s_wait_dscnt 0x0
	v_dual_add_f32 v3, v9, v7 :: v_dual_add_f32 v4, v10, v8
	ds_store_b64 v18, v[3:4]
.LBB88_14:                              ;   in Loop: Header=BB88_8 Depth=1
	s_wait_alu 0xfffe
	s_or_b32 exec_lo, exec_lo, s10
	s_wait_loadcnt_dscnt 0x0
	s_barrier_signal -1
	s_barrier_wait -1
	global_inv scope:SCOPE_SE
	s_and_saveexec_b32 s10, s3
	s_cbranch_execz .LBB88_16
; %bb.15:                               ;   in Loop: Header=BB88_8 Depth=1
	ds_load_2addr_stride64_b64 v[7:10], v18 offset1:1
	s_wait_dscnt 0x0
	v_dual_add_f32 v3, v9, v7 :: v_dual_add_f32 v4, v10, v8
	ds_store_b64 v18, v[3:4]
.LBB88_16:                              ;   in Loop: Header=BB88_8 Depth=1
	s_wait_alu 0xfffe
	s_or_b32 exec_lo, exec_lo, s10
	s_wait_loadcnt_dscnt 0x0
	s_barrier_signal -1
	s_barrier_wait -1
	global_inv scope:SCOPE_SE
	s_and_saveexec_b32 s10, s4
	s_cbranch_execz .LBB88_18
; %bb.17:                               ;   in Loop: Header=BB88_8 Depth=1
	ds_load_2addr_b64 v[7:10], v18 offset1:32
	s_wait_dscnt 0x0
	v_dual_add_f32 v3, v9, v7 :: v_dual_add_f32 v4, v10, v8
	ds_store_b64 v18, v[3:4]
.LBB88_18:                              ;   in Loop: Header=BB88_8 Depth=1
	s_wait_alu 0xfffe
	s_or_b32 exec_lo, exec_lo, s10
	s_wait_loadcnt_dscnt 0x0
	s_barrier_signal -1
	s_barrier_wait -1
	global_inv scope:SCOPE_SE
	s_and_saveexec_b32 s10, s5
	s_cbranch_execz .LBB88_20
; %bb.19:                               ;   in Loop: Header=BB88_8 Depth=1
	ds_load_2addr_b64 v[7:10], v18 offset1:16
	s_wait_dscnt 0x0
	v_dual_add_f32 v3, v9, v7 :: v_dual_add_f32 v4, v10, v8
	ds_store_b64 v18, v[3:4]
.LBB88_20:                              ;   in Loop: Header=BB88_8 Depth=1
	;; [unrolled: 14-line block ×6, first 2 shown]
	s_wait_alu 0xfffe
	s_or_b32 exec_lo, exec_lo, s10
	s_wait_loadcnt_dscnt 0x0
	s_barrier_signal -1
	s_barrier_wait -1
	global_inv scope:SCOPE_SE
	s_and_saveexec_b32 s44, s9
	s_cbranch_execz .LBB88_7
; %bb.29:                               ;   in Loop: Header=BB88_8 Depth=1
	ds_load_b64 v[3:4], v13
	s_add_nc_u64 s[10:11], s[24:25], s[42:43]
	s_and_saveexec_b32 s42, s33
	s_cbranch_execz .LBB88_6
; %bb.30:                               ;   in Loop: Header=BB88_8 Depth=1
	global_load_b64 v[7:8], v13, s[10:11]
	s_wait_loadcnt_dscnt 0x0
	v_fma_f32 v3, v5, v7, v3
	v_fmac_f32_e32 v4, v6, v7
	s_delay_alu instid0(VALU_DEP_2) | instskip(NEXT) | instid1(VALU_DEP_2)
	v_fma_f32 v3, -v6, v8, v3
	v_fmac_f32_e32 v4, v5, v8
	s_branch .LBB88_6
.LBB88_31:
	s_mov_b32 s10, 0
.LBB88_32:
	s_wait_alu 0xfffe
	s_and_b32 vcc_lo, exec_lo, s10
	s_wait_alu 0xfffe
	s_cbranch_vccz .LBB88_69
; %bb.33:
	s_load_b64 s[6:7], s[0:1], 0x18
	v_dual_mov_b32 v3, 0 :: v_dual_mov_b32 v4, 0
	s_lshl_b64 s[2:3], s[38:39], 2
	s_cmp_lg_u64 s[26:27], 0
	v_cmp_eq_u32_e32 vcc_lo, 0, v0
	s_cselect_b32 s33, -1, 0
	s_cmp_eq_u64 s[26:27], 0
	s_sub_nc_u64 s[8:9], s[38:39], s[26:27]
	s_mov_b32 s35, 0
	s_wait_kmcnt 0x0
	s_wait_alu 0xfffe
	s_add_nc_u64 s[4:5], s[6:7], s[2:3]
	s_cselect_b32 s2, -1, 0
	global_load_b32 v13, v3, s[4:5]
	s_wait_alu 0xfffe
	s_and_b32 s2, vcc_lo, s2
	s_wait_alu 0xfffe
	s_and_saveexec_b32 s3, s2
	s_cbranch_execz .LBB88_37
; %bb.34:
	s_wait_loadcnt_dscnt 0x100
	v_dual_mov_b32 v10, 0 :: v_dual_add_f32 v9, -1.0, v5
	s_add_nc_u64 s[38:39], s[24:25], s[36:37]
	s_mov_b32 s10, exec_lo
	s_mov_b32 s11, exec_lo
	global_load_b64 v[7:8], v10, s[38:39]
	s_wait_alu 0xfffe
	v_mbcnt_lo_u32_b32 v11, s10, 0
	s_wait_loadcnt 0x0
	s_wait_storecnt 0x0
	global_inv scope:SCOPE_DEV
	v_mul_f32_e64 v3, v8, -v6
	v_mul_f32_e32 v4, v9, v8
	v_cmpx_eq_u32_e32 0, v11
	s_cbranch_execz .LBB88_36
; %bb.35:
	s_bcnt1_i32_b32 s2, s10
	s_lshl_b64 s[38:39], s[8:9], 2
	s_wait_alu 0xfffe
	s_and_b32 s2, s2, 1
	s_add_nc_u64 s[38:39], s[6:7], s[38:39]
	s_wait_alu 0xfffe
	v_mov_b32_e32 v8, s2
	global_atomic_xor_b32 v10, v8, s[38:39] scope:SCOPE_DEV
.LBB88_36:
	s_or_b32 exec_lo, exec_lo, s11
	v_fmac_f32_e32 v3, v9, v7
	v_fmac_f32_e32 v4, v6, v7
.LBB88_37:
	s_wait_alu 0xfffe
	s_or_b32 exec_lo, exec_lo, s3
	s_load_b64 s[2:3], s[30:31], 0x8
	s_mul_u64 s[10:11], s[26:27], 0xc00
	s_sub_nc_u64 s[38:39], s[28:29], s[34:35]
	s_wait_alu 0xfffe
	s_add_nc_u64 s[38:39], s[38:39], s[10:11]
	s_delay_alu instid0(SALU_CYCLE_1)
	v_add_co_u32 v7, s10, s38, v0
	s_wait_alu 0xf1ff
	v_add_co_ci_u32_e64 v8, null, s39, 0, s10
	s_wait_kmcnt 0x0
	s_sub_nc_u64 s[10:11], s[2:3], s[34:35]
	s_mov_b32 s35, exec_lo
	s_wait_alu 0xfffe
	v_cmpx_gt_i64_e64 s[10:11], v[7:8]
	s_cbranch_execz .LBB88_41
; %bb.38:
	s_add_nc_u64 s[38:39], s[38:39], 0xc00
	v_lshlrev_b64_e32 v[9:10], 2, v[7:8]
	s_wait_alu 0xfffe
	v_cmp_lt_i64_e64 s2, s[38:39], s[10:11]
	v_lshlrev_b64_e32 v[11:12], 3, v[7:8]
	v_dual_mul_f32 v14, 0x80000000, v2 :: v_dual_mul_f32 v15, 0, v1
	s_and_b32 s2, s2, exec_lo
	v_add_co_u32 v9, s2, s16, v9
	s_wait_alu 0xf1fe
	v_add_co_ci_u32_e64 v10, null, s17, v10, s2
	v_add_co_u32 v11, s2, s14, v11
	s_wait_alu 0xf1ff
	v_add_co_ci_u32_e64 v12, null, s15, v12, s2
	s_cselect_b32 s11, s39, s11
	s_cselect_b32 s10, s38, s10
	s_mov_b32 s38, 0
.LBB88_39:                              ; =>This Inner Loop Header: Depth=1
	global_load_b64 v[16:17], v[11:12], off
	global_load_b32 v18, v[9:10], off
	s_wait_loadcnt 0x1
	v_sub_co_u32 v16, s2, v16, s34
	s_wait_alu 0xf1ff
	v_subrev_co_ci_u32_e64 v17, null, 0, v17, s2
	s_wait_loadcnt 0x0
	v_fma_f32 v19, v1, v18, v14
	v_fma_f32 v18, v2, v18, v15
	s_delay_alu instid0(VALU_DEP_3) | instskip(NEXT) | instid1(VALU_DEP_1)
	v_lshlrev_b64_e32 v[16:17], 3, v[16:17]
	v_add_co_u32 v16, s2, s18, v16
	s_wait_alu 0xf1ff
	s_delay_alu instid0(VALU_DEP_2)
	v_add_co_ci_u32_e64 v17, null, s19, v17, s2
	v_add_co_u32 v7, s2, 0x100, v7
	s_wait_alu 0xf1ff
	v_add_co_ci_u32_e64 v8, null, 0, v8, s2
	global_load_b64 v[16:17], v[16:17], off
	v_add_co_u32 v9, s2, 0x400, v9
	s_wait_alu 0xfffe
	v_cmp_le_i64_e64 s3, s[10:11], v[7:8]
	s_wait_alu 0xf1ff
	v_add_co_ci_u32_e64 v10, null, 0, v10, s2
	v_add_co_u32 v11, s2, 0x800, v11
	s_wait_alu 0xf1ff
	v_add_co_ci_u32_e64 v12, null, 0, v12, s2
	s_or_b32 s38, s3, s38
	s_wait_loadcnt 0x0
	v_fmac_f32_e32 v3, v19, v16
	v_fmac_f32_e32 v4, v18, v16
	s_delay_alu instid0(VALU_DEP_2) | instskip(NEXT) | instid1(VALU_DEP_2)
	v_fma_f32 v3, -v18, v17, v3
	v_fmac_f32_e32 v4, v19, v17
	s_wait_alu 0xfffe
	s_and_not1_b32 exec_lo, exec_lo, s38
	s_cbranch_execnz .LBB88_39
; %bb.40:
	s_or_b32 exec_lo, exec_lo, s38
.LBB88_41:
	s_delay_alu instid0(SALU_CYCLE_1)
	s_or_b32 exec_lo, exec_lo, s35
	v_lshlrev_b32_e32 v7, 3, v0
	s_mov_b32 s3, exec_lo
	ds_store_b64 v7, v[3:4]
	s_wait_storecnt 0x0
	s_wait_loadcnt_dscnt 0x0
	s_barrier_signal -1
	s_barrier_wait -1
	global_inv scope:SCOPE_SE
	v_cmpx_gt_u32_e32 0x80, v0
	s_cbranch_execz .LBB88_43
; %bb.42:
	ds_load_2addr_stride64_b64 v[8:11], v7 offset1:2
	s_wait_dscnt 0x0
	v_dual_add_f32 v3, v10, v8 :: v_dual_add_f32 v4, v11, v9
	ds_store_b64 v7, v[3:4]
.LBB88_43:
	s_wait_alu 0xfffe
	s_or_b32 exec_lo, exec_lo, s3
	s_delay_alu instid0(SALU_CYCLE_1)
	s_mov_b32 s3, exec_lo
	s_wait_loadcnt_dscnt 0x0
	s_barrier_signal -1
	s_barrier_wait -1
	global_inv scope:SCOPE_SE
	v_cmpx_gt_u32_e32 64, v0
	s_cbranch_execz .LBB88_45
; %bb.44:
	ds_load_2addr_stride64_b64 v[8:11], v7 offset1:1
	s_wait_dscnt 0x0
	v_dual_add_f32 v3, v10, v8 :: v_dual_add_f32 v4, v11, v9
	ds_store_b64 v7, v[3:4]
.LBB88_45:
	s_wait_alu 0xfffe
	s_or_b32 exec_lo, exec_lo, s3
	s_delay_alu instid0(SALU_CYCLE_1)
	s_mov_b32 s3, exec_lo
	s_wait_loadcnt_dscnt 0x0
	s_barrier_signal -1
	s_barrier_wait -1
	global_inv scope:SCOPE_SE
	v_cmpx_gt_u32_e32 32, v0
	s_cbranch_execz .LBB88_47
; %bb.46:
	ds_load_2addr_b64 v[8:11], v7 offset1:32
	s_wait_dscnt 0x0
	v_dual_add_f32 v3, v10, v8 :: v_dual_add_f32 v4, v11, v9
	ds_store_b64 v7, v[3:4]
.LBB88_47:
	s_wait_alu 0xfffe
	s_or_b32 exec_lo, exec_lo, s3
	s_delay_alu instid0(SALU_CYCLE_1)
	s_mov_b32 s3, exec_lo
	s_wait_loadcnt_dscnt 0x0
	s_barrier_signal -1
	s_barrier_wait -1
	global_inv scope:SCOPE_SE
	v_cmpx_gt_u32_e32 16, v0
	s_cbranch_execz .LBB88_49
; %bb.48:
	ds_load_2addr_b64 v[8:11], v7 offset1:16
	s_wait_dscnt 0x0
	v_dual_add_f32 v3, v10, v8 :: v_dual_add_f32 v4, v11, v9
	ds_store_b64 v7, v[3:4]
.LBB88_49:
	;; [unrolled: 16-line block ×5, first 2 shown]
	s_wait_alu 0xfffe
	s_or_b32 exec_lo, exec_lo, s3
	s_wait_loadcnt_dscnt 0x0
	s_barrier_signal -1
	s_barrier_wait -1
	global_inv scope:SCOPE_SE
	s_and_saveexec_b32 s2, vcc_lo
	s_cbranch_execz .LBB88_57
; %bb.56:
	v_mov_b32_e32 v11, 0
	ds_load_2addr_b64 v[7:10], v11 offset1:1
	s_wait_dscnt 0x0
	v_dual_add_f32 v3, v9, v7 :: v_dual_add_f32 v4, v10, v8
	ds_store_b64 v11, v[3:4]
.LBB88_57:
	s_wait_alu 0xfffe
	s_or_b32 exec_lo, exec_lo, s2
	s_wait_loadcnt_dscnt 0x0
	s_barrier_signal -1
	s_barrier_wait -1
	global_inv scope:SCOPE_SE
	s_and_saveexec_b32 s10, vcc_lo
	s_cbranch_execz .LBB88_68
; %bb.58:
	s_and_not1_b32 vcc_lo, exec_lo, s33
	s_wait_alu 0xfffe
	s_cbranch_vccnz .LBB88_64
; %bb.59:
	v_mov_b32_e32 v3, 0
	s_lshl_b64 s[2:3], s[8:9], 2
	s_wait_alu 0xfffe
	s_add_nc_u64 s[2:3], s[6:7], s[2:3]
	s_branch .LBB88_61
.LBB88_60:                              ;   in Loop: Header=BB88_61 Depth=1
	s_wait_alu 0xfffe
	s_or_b32 exec_lo, exec_lo, s6
	s_wait_loadcnt 0x0
	v_readfirstlane_b32 s6, v4
	s_wait_alu 0xf1ff
	s_delay_alu instid0(VALU_DEP_1)
	v_cmp_eq_u32_e32 vcc_lo, s6, v13
	s_cbranch_vccz .LBB88_63
.LBB88_61:                              ; =>This Inner Loop Header: Depth=1
	v_mbcnt_lo_u32_b32 v4, exec_lo, 0
	s_delay_alu instid0(VALU_DEP_1)
	v_cmp_eq_u32_e32 vcc_lo, 0, v4
                                        ; implicit-def: $vgpr4
	s_and_saveexec_b32 s6, vcc_lo
	s_cbranch_execz .LBB88_60
; %bb.62:                               ;   in Loop: Header=BB88_61 Depth=1
	global_load_b32 v4, v3, s[2:3] scope:SCOPE_DEV
	s_branch .LBB88_60
.LBB88_63:
	v_mov_b32_e32 v3, 0
	global_load_u16 v4, v3, s[4:5]
	s_wait_loadcnt 0x0
	v_xor_b32_e32 v4, 1, v4
	global_store_b16 v3, v4, s[4:5]
.LBB88_64:
	v_mov_b32_e32 v7, 0
	s_mov_b32 s4, exec_lo
	s_add_nc_u64 s[2:3], s[24:25], s[36:37]
	v_mbcnt_lo_u32_b32 v8, s4, 0
	s_mov_b32 s5, exec_lo
	ds_load_b64 v[3:4], v7
	v_cmpx_eq_u32_e32 0, v8
	s_cbranch_execz .LBB88_66
; %bb.65:
	s_bcnt1_i32_b32 s4, s4
	s_wait_alu 0xfffe
	v_cvt_f32_ubyte0_e32 v8, s4
	s_wait_dscnt 0x0
	s_delay_alu instid0(VALU_DEP_1)
	v_mul_f32_e32 v3, v3, v8
	global_atomic_add_f32 v7, v3, s[2:3] scope:SCOPE_DEV
.LBB88_66:
	s_wait_alu 0xfffe
	s_or_b32 exec_lo, exec_lo, s5
	s_delay_alu instid0(SALU_CYCLE_1) | instskip(SKIP_3) | instid1(VALU_DEP_1)
	s_mov_b32 s4, exec_lo
	s_wait_dscnt 0x0
	s_wait_alu 0xfffe
	v_mbcnt_lo_u32_b32 v3, s4, 0
	v_cmp_eq_u32_e32 vcc_lo, 0, v3
	s_and_b32 s5, exec_lo, vcc_lo
	s_wait_alu 0xfffe
	s_mov_b32 exec_lo, s5
	s_cbranch_execz .LBB88_68
; %bb.67:
	s_bcnt1_i32_b32 s4, s4
	s_wait_alu 0xfffe
	v_cvt_f32_ubyte0_e32 v3, s4
	s_delay_alu instid0(VALU_DEP_1)
	v_dual_mul_f32 v3, v4, v3 :: v_dual_mov_b32 v4, 0
	global_atomic_add_f32 v4, v3, s[2:3] offset:4 scope:SCOPE_DEV
.LBB88_68:
	s_wait_alu 0xfffe
	s_or_b32 exec_lo, exec_lo, s10
.LBB88_69:
	s_mov_b32 s4, 0
.LBB88_70:
	s_wait_alu 0xfffe
	s_and_not1_b32 vcc_lo, exec_lo, s4
	s_wait_alu 0xfffe
	s_cbranch_vccnz .LBB88_114
; %bb.71:
	s_load_b64 s[0:1], s[0:1], 0x8
	v_sub_co_u32 v3, s2, v0, s34
	s_wait_alu 0xf1ff
	v_sub_co_ci_u32_e64 v4, null, 0, 0, s2
	s_mov_b32 s35, 0
	s_wait_kmcnt 0x0
	v_add_co_u32 v3, vcc_lo, s28, v3
	s_wait_alu 0xfffd
	v_add_co_ci_u32_e64 v4, null, s29, v4, vcc_lo
	s_delay_alu instid0(VALU_DEP_2) | instskip(SKIP_1) | instid1(VALU_DEP_2)
	v_add_co_u32 v7, vcc_lo, 0x300, v3
	s_wait_alu 0xfffd
	v_add_co_ci_u32_e64 v8, null, 0, v4, vcc_lo
	s_delay_alu instid0(VALU_DEP_1)
	v_cmp_le_i64_e32 vcc_lo, s[0:1], v[7:8]
	s_and_saveexec_b32 s0, vcc_lo
	s_wait_alu 0xfffe
	s_xor_b32 s1, exec_lo, s0
	s_cbranch_execz .LBB88_76
; %bb.72:
	s_lshl_b64 s[2:3], s[22:23], 3
	s_mov_b32 s4, exec_lo
	s_wait_alu 0xfffe
	s_add_nc_u64 s[2:3], s[12:13], s[2:3]
	s_load_b64 s[2:3], s[2:3], 0x0
	s_wait_kmcnt 0x0
	s_sub_nc_u64 s[2:3], s[2:3], s[34:35]
	s_wait_alu 0xfffe
	v_cmpx_gt_i64_e64 s[2:3], v[3:4]
	s_cbranch_execz .LBB88_75
; %bb.73:
	v_lshlrev_b64_e32 v[7:8], 2, v[3:4]
	v_lshlrev_b64_e32 v[9:10], 3, v[3:4]
	v_dual_mul_f32 v12, 0x80000000, v2 :: v_dual_lshlrev_b32 v11, 3, v0
	v_mul_f32_e32 v13, 0, v1
	s_mov_b32 s5, 0
	s_delay_alu instid0(VALU_DEP_4)
	v_add_co_u32 v7, vcc_lo, s16, v7
	s_wait_alu 0xfffd
	v_add_co_ci_u32_e64 v8, null, s17, v8, vcc_lo
	v_add_co_u32 v9, vcc_lo, s14, v9
	s_wait_alu 0xfffd
	v_add_co_ci_u32_e64 v10, null, s15, v10, vcc_lo
.LBB88_74:                              ; =>This Inner Loop Header: Depth=1
	global_load_b64 v[14:15], v[9:10], off
	global_load_b32 v16, v[7:8], off
	s_wait_loadcnt 0x1
	v_sub_co_u32 v14, vcc_lo, v14, s34
	s_wait_alu 0xfffd
	v_subrev_co_ci_u32_e64 v15, null, 0, v15, vcc_lo
	s_wait_loadcnt 0x0
	v_fma_f32 v18, v2, v16, v13
	v_fma_f32 v19, v1, v16, v12
	s_delay_alu instid0(VALU_DEP_3) | instskip(NEXT) | instid1(VALU_DEP_1)
	v_lshlrev_b64_e32 v[14:15], 3, v[14:15]
	v_add_co_u32 v14, vcc_lo, s18, v14
	s_wait_alu 0xfffd
	s_delay_alu instid0(VALU_DEP_2)
	v_add_co_ci_u32_e64 v15, null, s19, v15, vcc_lo
	v_add_co_u32 v3, vcc_lo, 0x100, v3
	s_wait_alu 0xfffd
	v_add_co_ci_u32_e64 v4, null, 0, v4, vcc_lo
	global_load_b64 v[14:15], v[14:15], off
	v_add_co_u32 v7, vcc_lo, 0x400, v7
	v_cmp_le_i64_e64 s0, s[2:3], v[3:4]
	s_wait_alu 0xfffd
	v_add_co_ci_u32_e64 v8, null, 0, v8, vcc_lo
	v_add_co_u32 v9, vcc_lo, 0x800, v9
	s_wait_alu 0xfffd
	v_add_co_ci_u32_e64 v10, null, 0, v10, vcc_lo
	s_wait_alu 0xfffe
	s_or_b32 s5, s0, s5
	s_wait_loadcnt 0x0
	v_mul_f32_e64 v16, v15, -v18
	v_mul_f32_e32 v17, v19, v15
	s_delay_alu instid0(VALU_DEP_2) | instskip(NEXT) | instid1(VALU_DEP_2)
	v_fmac_f32_e32 v16, v19, v14
	v_fmac_f32_e32 v17, v18, v14
	ds_store_b64 v11, v[16:17]
	v_add_nc_u32_e32 v11, 0x800, v11
	s_wait_alu 0xfffe
	s_and_not1_b32 exec_lo, exec_lo, s5
	s_cbranch_execnz .LBB88_74
.LBB88_75:
	s_or_b32 exec_lo, exec_lo, s4
                                        ; implicit-def: $vgpr1_vgpr2
                                        ; implicit-def: $vgpr3_vgpr4
.LBB88_76:
	s_wait_alu 0xfffe
	s_or_saveexec_b32 s0, s1
	v_lshlrev_b32_e32 v15, 3, v0
	s_wait_alu 0xfffe
	s_xor_b32 exec_lo, exec_lo, s0
	s_cbranch_execz .LBB88_78
; %bb.77:
	v_lshlrev_b64_e32 v[7:8], 3, v[3:4]
	v_lshlrev_b64_e32 v[3:4], 2, v[3:4]
	v_dual_mul_f32 v20, 0x80000000, v2 :: v_dual_mul_f32 v21, 0, v1
	s_delay_alu instid0(VALU_DEP_3) | instskip(SKIP_1) | instid1(VALU_DEP_4)
	v_add_co_u32 v7, vcc_lo, s14, v7
	s_wait_alu 0xfffd
	v_add_co_ci_u32_e64 v8, null, s15, v8, vcc_lo
	s_delay_alu instid0(VALU_DEP_4)
	v_add_co_u32 v3, vcc_lo, s16, v3
	s_wait_alu 0xfffd
	v_add_co_ci_u32_e64 v4, null, s17, v4, vcc_lo
	s_clause 0x3
	global_load_b64 v[9:10], v[7:8], off
	global_load_b64 v[11:12], v[7:8], off offset:2048
	global_load_b64 v[13:14], v[7:8], off offset:4096
	;; [unrolled: 1-line block ×3, first 2 shown]
	s_clause 0x3
	global_load_b32 v16, v[3:4], off
	global_load_b32 v17, v[3:4], off offset:1024
	global_load_b32 v18, v[3:4], off offset:2048
	;; [unrolled: 1-line block ×3, first 2 shown]
	s_wait_loadcnt 0x7
	v_sub_co_u32 v9, vcc_lo, v9, s34
	s_wait_alu 0xfffd
	v_subrev_co_ci_u32_e64 v10, null, 0, v10, vcc_lo
	s_wait_loadcnt 0x6
	v_sub_co_u32 v11, vcc_lo, v11, s34
	s_wait_alu 0xfffd
	v_subrev_co_ci_u32_e64 v12, null, 0, v12, vcc_lo
	;; [unrolled: 4-line block ×3, first 2 shown]
	s_wait_loadcnt 0x4
	v_sub_co_u32 v7, vcc_lo, v7, s34
	v_lshlrev_b64_e32 v[9:10], 3, v[9:10]
	s_wait_alu 0xfffd
	v_subrev_co_ci_u32_e64 v8, null, 0, v8, vcc_lo
	v_lshlrev_b64_e32 v[3:4], 3, v[11:12]
	v_lshlrev_b64_e32 v[11:12], 3, v[13:14]
	s_wait_loadcnt 0x3
	v_fma_f32 v22, v1, v16, v20
	v_lshlrev_b64_e32 v[7:8], 3, v[7:8]
	v_add_co_u32 v9, vcc_lo, s18, v9
	s_wait_alu 0xfffd
	v_add_co_ci_u32_e64 v10, null, s19, v10, vcc_lo
	v_add_co_u32 v3, vcc_lo, s18, v3
	s_wait_alu 0xfffd
	v_add_co_ci_u32_e64 v4, null, s19, v4, vcc_lo
	;; [unrolled: 3-line block ×4, first 2 shown]
	s_clause 0x3
	global_load_b64 v[9:10], v[9:10], off
	global_load_b64 v[3:4], v[3:4], off
	;; [unrolled: 1-line block ×4, first 2 shown]
	v_fma_f32 v23, v2, v16, v21
	s_wait_loadcnt 0x6
	v_fma_f32 v24, v1, v17, v20
	v_fma_f32 v25, v2, v17, v21
	s_wait_loadcnt 0x5
	v_fma_f32 v26, v1, v18, v20
	v_fma_f32 v27, v2, v18, v21
	s_wait_loadcnt 0x4
	v_fmac_f32_e32 v20, v1, v19
	s_wait_loadcnt 0x2
	v_dual_fmac_f32 v21, v2, v19 :: v_dual_mul_f32 v14, v24, v4
	v_mul_f32_e64 v1, v10, -v23
	v_mul_f32_e64 v13, v4, -v25
	s_wait_loadcnt 0x1
	v_mul_f32_e32 v17, v26, v12
	s_wait_loadcnt 0x0
	v_dual_mul_f32 v2, v22, v10 :: v_dual_mul_f32 v19, v20, v8
	v_mul_f32_e64 v16, v12, -v27
	v_mul_f32_e64 v18, v8, -v21
	v_dual_fmac_f32 v1, v22, v9 :: v_dual_fmac_f32 v14, v25, v3
	s_delay_alu instid0(VALU_DEP_4) | instskip(NEXT) | instid1(VALU_DEP_4)
	v_dual_fmac_f32 v2, v23, v9 :: v_dual_fmac_f32 v13, v24, v3
	v_fmac_f32_e32 v16, v26, v11
	v_fmac_f32_e32 v17, v27, v11
	v_fmac_f32_e32 v18, v20, v7
	v_fmac_f32_e32 v19, v21, v7
	ds_store_2addr_stride64_b64 v15, v[1:2], v[13:14] offset1:4
	ds_store_2addr_stride64_b64 v15, v[16:17], v[18:19] offset0:8 offset1:12
.LBB88_78:
	s_or_b32 exec_lo, exec_lo, s0
	v_cmp_lt_i64_e64 s0, s[26:27], 2
	s_wait_storecnt 0x0
	s_wait_loadcnt_dscnt 0x0
	s_barrier_signal -1
	s_barrier_wait -1
	global_inv scope:SCOPE_SE
	s_and_b32 vcc_lo, exec_lo, s0
	s_mov_b32 s0, -1
	s_wait_alu 0xfffe
	s_cbranch_vccz .LBB88_89
; %bb.79:
	v_add_co_u32 v7, s0, s20, v0
	s_wait_alu 0xf1ff
	v_add_co_ci_u32_e64 v8, null, s21, 0, s0
	s_mov_b32 s1, exec_lo
	v_cmpx_gt_i64_e64 s[22:23], v[7:8]
	s_cbranch_execz .LBB88_88
; %bb.80:
	v_cmp_neq_f32_e32 vcc_lo, 0, v5
	v_cmp_neq_f32_e64 s0, 0, v6
	s_lshl_b32 s4, s28, 3
	s_mov_b32 s2, 0
	s_wait_alu 0xfffe
	s_sub_co_i32 s4, 0, s4
	s_or_b32 s3, vcc_lo, s0
	s_branch .LBB88_82
.LBB88_81:                              ;   in Loop: Header=BB88_82 Depth=1
	s_wait_alu 0xfffe
	s_or_b32 exec_lo, exec_lo, s0
	v_add_co_u32 v7, vcc_lo, 0x100, v7
	s_wait_alu 0xfffd
	v_add_co_ci_u32_e64 v8, null, 0, v8, vcc_lo
	v_add_co_u32 v1, s0, s24, v9
	s_wait_alu 0xf1ff
	v_add_co_ci_u32_e64 v2, null, s25, v10, s0
	s_delay_alu instid0(VALU_DEP_3)
	v_cmp_le_i64_e32 vcc_lo, s[22:23], v[7:8]
	global_store_b64 v[1:2], v[11:12], off
	s_or_b32 s2, vcc_lo, s2
	s_wait_alu 0xfffe
	s_and_not1_b32 exec_lo, exec_lo, s2
	s_cbranch_execz .LBB88_88
.LBB88_82:                              ; =>This Loop Header: Depth=1
                                        ;     Child Loop BB88_84 Depth 2
	v_lshlrev_b64_e32 v[9:10], 3, v[7:8]
	v_dual_mov_b32 v12, 0 :: v_dual_mov_b32 v11, 0
	s_mov_b32 s0, exec_lo
	s_delay_alu instid0(VALU_DEP_2) | instskip(SKIP_1) | instid1(VALU_DEP_3)
	v_add_co_u32 v1, vcc_lo, s12, v9
	s_wait_alu 0xfffd
	v_add_co_ci_u32_e64 v2, null, s13, v10, vcc_lo
	global_load_b128 v[1:4], v[1:2], off
	s_wait_loadcnt 0x0
	v_cmpx_lt_i64_e64 v[1:2], v[3:4]
	s_cbranch_execz .LBB88_86
; %bb.83:                               ;   in Loop: Header=BB88_82 Depth=1
	v_mov_b32_e32 v12, 0
	v_sub_co_u32 v3, vcc_lo, v3, s28
	s_wait_alu 0xfffd
	v_subrev_co_ci_u32_e64 v4, null, s29, v4, vcc_lo
	v_sub_co_u32 v13, vcc_lo, v1, s28
	s_wait_alu 0xfffd
	v_subrev_co_ci_u32_e64 v14, null, s29, v2, vcc_lo
	s_wait_alu 0xfffe
	v_lshl_add_u32 v1, v1, 3, s4
	v_mov_b32_e32 v11, v12
	s_mov_b32 s5, 0
.LBB88_84:                              ;   Parent Loop BB88_82 Depth=1
                                        ; =>  This Inner Loop Header: Depth=2
	ds_load_b64 v[16:17], v1
	v_add_co_u32 v13, vcc_lo, v13, 1
	s_wait_alu 0xfffd
	v_add_co_ci_u32_e64 v14, null, 0, v14, vcc_lo
	v_add_nc_u32_e32 v1, 8, v1
	s_delay_alu instid0(VALU_DEP_2)
	v_cmp_ge_i64_e32 vcc_lo, v[13:14], v[3:4]
	s_wait_alu 0xfffe
	s_or_b32 s5, vcc_lo, s5
	s_wait_dscnt 0x0
	v_dual_add_f32 v11, v11, v16 :: v_dual_add_f32 v12, v12, v17
	s_wait_alu 0xfffe
	s_and_not1_b32 exec_lo, exec_lo, s5
	s_cbranch_execnz .LBB88_84
; %bb.85:                               ;   in Loop: Header=BB88_82 Depth=1
	s_or_b32 exec_lo, exec_lo, s5
.LBB88_86:                              ;   in Loop: Header=BB88_82 Depth=1
	s_wait_alu 0xfffe
	s_or_b32 exec_lo, exec_lo, s0
	s_and_saveexec_b32 s0, s3
	s_cbranch_execz .LBB88_81
; %bb.87:                               ;   in Loop: Header=BB88_82 Depth=1
	v_add_co_u32 v1, vcc_lo, s24, v9
	s_wait_alu 0xfffd
	v_add_co_ci_u32_e64 v2, null, s25, v10, vcc_lo
	global_load_b64 v[1:2], v[1:2], off
	s_wait_loadcnt 0x0
	v_fmac_f32_e32 v11, v5, v1
	v_fmac_f32_e32 v12, v6, v1
	s_delay_alu instid0(VALU_DEP_2) | instskip(NEXT) | instid1(VALU_DEP_2)
	v_fma_f32 v11, -v6, v2, v11
	v_fmac_f32_e32 v12, v5, v2
	s_branch .LBB88_81
.LBB88_88:
	s_wait_alu 0xfffe
	s_or_b32 exec_lo, exec_lo, s1
	s_mov_b32 s0, 0
.LBB88_89:
	s_wait_alu 0xfffe
	s_and_not1_b32 vcc_lo, exec_lo, s0
	s_wait_alu 0xfffe
	s_cbranch_vccnz .LBB88_114
; %bb.90:
	s_clz_i32_u32 s0, s26
	s_mov_b32 s1, exec_lo
	s_wait_alu 0xfffe
	s_min_u32 s0, s0, 32
	s_wait_alu 0xfffe
	s_sub_co_i32 s0, 31, s0
	s_wait_alu 0xfffe
	v_lshrrev_b32_e32 v9, s0, v0
	s_delay_alu instid0(VALU_DEP_1)
	v_add_co_u32 v1, s0, s20, v9
	s_wait_alu 0xf1ff
	v_add_co_ci_u32_e64 v2, null, s21, 0, s0
	s_add_co_i32 s0, s26, -1
	s_wait_alu 0xfffe
	v_dual_mov_b32 v4, 0 :: v_dual_and_b32 v3, s0, v0
	v_cmp_le_i64_e64 s0, s[22:23], v[1:2]
	s_delay_alu instid0(VALU_DEP_2)
	v_dual_mov_b32 v7, v4 :: v_dual_mov_b32 v8, v4
	v_cmpx_gt_i64_e64 s[22:23], v[1:2]
	s_cbranch_execz .LBB88_96
; %bb.91:
	v_lshlrev_b32_e32 v0, 3, v9
	global_load_b128 v[7:10], v0, s[30:31]
	v_sub_co_u32 v0, s2, v3, s28
	s_wait_alu 0xf1ff
	v_sub_co_ci_u32_e64 v12, null, 0, s29, s2
	s_mov_b32 s2, exec_lo
	s_wait_loadcnt 0x0
	v_sub_co_u32 v9, vcc_lo, v9, s28
	s_wait_alu 0xfffd
	v_subrev_co_ci_u32_e64 v10, null, s29, v10, vcc_lo
	v_add_co_u32 v11, vcc_lo, v7, v0
	s_wait_alu 0xfffd
	v_add_co_ci_u32_e64 v12, null, v8, v12, vcc_lo
	v_dual_mov_b32 v8, 0 :: v_dual_mov_b32 v7, 0
	s_delay_alu instid0(VALU_DEP_2)
	v_cmpx_lt_i64_e64 v[11:12], v[9:10]
	s_cbranch_execz .LBB88_95
; %bb.92:
	v_mov_b32_e32 v8, 0
	v_lshlrev_b32_e32 v0, 3, v11
	s_lshl_b32 s4, s26, 3
	s_mov_b32 s3, 0
	s_delay_alu instid0(VALU_DEP_2)
	v_mov_b32_e32 v7, v8
.LBB88_93:                              ; =>This Inner Loop Header: Depth=1
	ds_load_b64 v[13:14], v0
	v_add_co_u32 v11, vcc_lo, v11, s26
	s_wait_alu 0xfffd
	v_add_co_ci_u32_e64 v12, null, s27, v12, vcc_lo
	s_wait_alu 0xfffe
	v_add_nc_u32_e32 v0, s4, v0
	s_delay_alu instid0(VALU_DEP_2)
	v_cmp_ge_i64_e32 vcc_lo, v[11:12], v[9:10]
	s_or_b32 s3, vcc_lo, s3
	s_wait_dscnt 0x0
	v_dual_add_f32 v7, v7, v13 :: v_dual_add_f32 v8, v8, v14
	s_wait_alu 0xfffe
	s_and_not1_b32 exec_lo, exec_lo, s3
	s_cbranch_execnz .LBB88_93
; %bb.94:
	s_or_b32 exec_lo, exec_lo, s3
.LBB88_95:
	s_wait_alu 0xfffe
	s_or_b32 exec_lo, exec_lo, s2
.LBB88_96:
	s_delay_alu instid0(SALU_CYCLE_1)
	s_or_b32 exec_lo, exec_lo, s1
	v_cmp_gt_u64_e64 s1, 0x81, s[26:27]
	s_wait_loadcnt 0x0
	s_wait_storecnt 0x0
	s_barrier_signal -1
	s_barrier_wait -1
	global_inv scope:SCOPE_SE
	ds_store_b64 v15, v[7:8]
	s_and_b32 vcc_lo, exec_lo, s1
	s_wait_loadcnt_dscnt 0x0
	s_barrier_signal -1
	s_barrier_wait -1
	global_inv scope:SCOPE_SE
	s_wait_alu 0xfffe
	s_cbranch_vccnz .LBB88_98
; %bb.97:
	ds_load_b64 v[9:10], v15 offset:1024
	s_wait_loadcnt_dscnt 0x0
	s_barrier_signal -1
	s_barrier_wait -1
	global_inv scope:SCOPE_SE
	v_dual_add_f32 v7, v7, v9 :: v_dual_add_f32 v8, v8, v10
	ds_store_b64 v15, v[7:8]
.LBB88_98:
	v_cmp_gt_u64_e64 s1, 0x41, s[26:27]
	s_wait_loadcnt_dscnt 0x0
	s_barrier_signal -1
	s_barrier_wait -1
	global_inv scope:SCOPE_SE
	s_and_b32 vcc_lo, exec_lo, s1
	s_wait_alu 0xfffe
	s_cbranch_vccnz .LBB88_100
; %bb.99:
	ds_load_b64 v[9:10], v15 offset:512
	s_wait_loadcnt_dscnt 0x0
	s_barrier_signal -1
	s_barrier_wait -1
	global_inv scope:SCOPE_SE
	v_dual_add_f32 v7, v7, v9 :: v_dual_add_f32 v8, v8, v10
	ds_store_b64 v15, v[7:8]
.LBB88_100:
	v_cmp_lt_u64_e64 s1, s[26:27], 33
	s_wait_loadcnt_dscnt 0x0
	s_barrier_signal -1
	s_barrier_wait -1
	global_inv scope:SCOPE_SE
	s_and_b32 vcc_lo, exec_lo, s1
	s_wait_alu 0xfffe
	s_cbranch_vccnz .LBB88_102
; %bb.101:
	ds_load_b64 v[9:10], v15 offset:256
	s_wait_loadcnt_dscnt 0x0
	s_barrier_signal -1
	s_barrier_wait -1
	global_inv scope:SCOPE_SE
	v_dual_add_f32 v7, v7, v9 :: v_dual_add_f32 v8, v8, v10
	ds_store_b64 v15, v[7:8]
.LBB88_102:
	v_cmp_lt_u64_e64 s1, s[26:27], 17
	;; [unrolled: 17-line block ×4, first 2 shown]
	s_wait_loadcnt_dscnt 0x0
	s_barrier_signal -1
	s_barrier_wait -1
	global_inv scope:SCOPE_SE
	s_and_b32 vcc_lo, exec_lo, s1
	s_wait_alu 0xfffe
	s_cbranch_vccnz .LBB88_108
; %bb.107:
	ds_load_b64 v[9:10], v15 offset:32
	s_wait_loadcnt_dscnt 0x0
	s_barrier_signal -1
	s_barrier_wait -1
	global_inv scope:SCOPE_SE
	v_dual_add_f32 v7, v7, v9 :: v_dual_add_f32 v8, v8, v10
	ds_store_b64 v15, v[7:8]
.LBB88_108:
	s_cmp_eq_u64 s[26:27], 2
	s_wait_loadcnt_dscnt 0x0
	s_barrier_signal -1
	s_barrier_wait -1
	global_inv scope:SCOPE_SE
	s_cbranch_scc1 .LBB88_110
; %bb.109:
	ds_load_b64 v[9:10], v15 offset:16
	s_wait_loadcnt_dscnt 0x0
	s_barrier_signal -1
	s_barrier_wait -1
	global_inv scope:SCOPE_SE
	v_dual_add_f32 v7, v7, v9 :: v_dual_add_f32 v8, v8, v10
	ds_store_b64 v15, v[7:8]
.LBB88_110:
	s_wait_loadcnt_dscnt 0x0
	s_barrier_signal -1
	s_barrier_wait -1
	global_inv scope:SCOPE_SE
	ds_load_b64 v[9:10], v15 offset:8
	v_cmp_eq_u64_e32 vcc_lo, 0, v[3:4]
	s_xor_b32 s0, s0, -1
	s_wait_loadcnt_dscnt 0x0
	s_barrier_signal -1
	s_barrier_wait -1
	global_inv scope:SCOPE_SE
	s_wait_alu 0xfffe
	s_and_b32 s0, vcc_lo, s0
	v_dual_add_f32 v3, v7, v9 :: v_dual_add_f32 v4, v8, v10
	ds_store_b64 v15, v[3:4]
	s_wait_alu 0xfffe
	s_and_b32 exec_lo, exec_lo, s0
	s_cbranch_execz .LBB88_114
; %bb.111:
	v_cmp_neq_f32_e32 vcc_lo, 0, v5
	v_cmp_neq_f32_e64 s0, 0, v6
	v_lshlrev_b64_e32 v[0:1], 3, v[1:2]
	s_or_b32 s1, vcc_lo, s0
	s_wait_alu 0xfffe
	s_and_saveexec_b32 s0, s1
	s_cbranch_execz .LBB88_113
; %bb.112:
	s_delay_alu instid0(VALU_DEP_1)
	v_add_co_u32 v7, vcc_lo, s24, v0
	s_wait_alu 0xfffd
	v_add_co_ci_u32_e64 v8, null, s25, v1, vcc_lo
	global_load_b64 v[7:8], v[7:8], off
	s_wait_loadcnt 0x0
	v_fmac_f32_e32 v3, v5, v7
	v_fmac_f32_e32 v4, v6, v7
	s_delay_alu instid0(VALU_DEP_2) | instskip(NEXT) | instid1(VALU_DEP_2)
	v_fma_f32 v3, -v6, v8, v3
	v_fmac_f32_e32 v4, v5, v8
.LBB88_113:
	s_wait_alu 0xfffe
	s_or_b32 exec_lo, exec_lo, s0
	v_add_co_u32 v0, vcc_lo, s24, v0
	s_wait_alu 0xfffd
	v_add_co_ci_u32_e64 v1, null, s25, v1, vcc_lo
	global_store_b64 v[0:1], v[3:4], off
.LBB88_114:
	s_endpgm
	.section	.rodata,"a",@progbits
	.p2align	6, 0x0
	.amdhsa_kernel _ZN9rocsparseL22csrmvn_adaptive_kernelIllf21rocsparse_complex_numIfES2_S2_EEvbT_PKS3_PjPKT0_NS_24const_host_device_scalarIT4_EES5_S9_PKT1_PKT2_SC_PT3_21rocsparse_index_base_b
		.amdhsa_group_segment_fixed_size 8192
		.amdhsa_private_segment_fixed_size 0
		.amdhsa_kernarg_size 104
		.amdhsa_user_sgpr_count 2
		.amdhsa_user_sgpr_dispatch_ptr 0
		.amdhsa_user_sgpr_queue_ptr 0
		.amdhsa_user_sgpr_kernarg_segment_ptr 1
		.amdhsa_user_sgpr_dispatch_id 0
		.amdhsa_user_sgpr_private_segment_size 0
		.amdhsa_wavefront_size32 1
		.amdhsa_uses_dynamic_stack 0
		.amdhsa_enable_private_segment 0
		.amdhsa_system_sgpr_workgroup_id_x 1
		.amdhsa_system_sgpr_workgroup_id_y 0
		.amdhsa_system_sgpr_workgroup_id_z 0
		.amdhsa_system_sgpr_workgroup_info 0
		.amdhsa_system_vgpr_workitem_id 0
		.amdhsa_next_free_vgpr 28
		.amdhsa_next_free_sgpr 48
		.amdhsa_reserve_vcc 1
		.amdhsa_float_round_mode_32 0
		.amdhsa_float_round_mode_16_64 0
		.amdhsa_float_denorm_mode_32 3
		.amdhsa_float_denorm_mode_16_64 3
		.amdhsa_fp16_overflow 0
		.amdhsa_workgroup_processor_mode 1
		.amdhsa_memory_ordered 1
		.amdhsa_forward_progress 1
		.amdhsa_inst_pref_size 49
		.amdhsa_round_robin_scheduling 0
		.amdhsa_exception_fp_ieee_invalid_op 0
		.amdhsa_exception_fp_denorm_src 0
		.amdhsa_exception_fp_ieee_div_zero 0
		.amdhsa_exception_fp_ieee_overflow 0
		.amdhsa_exception_fp_ieee_underflow 0
		.amdhsa_exception_fp_ieee_inexact 0
		.amdhsa_exception_int_div_zero 0
	.end_amdhsa_kernel
	.section	.text._ZN9rocsparseL22csrmvn_adaptive_kernelIllf21rocsparse_complex_numIfES2_S2_EEvbT_PKS3_PjPKT0_NS_24const_host_device_scalarIT4_EES5_S9_PKT1_PKT2_SC_PT3_21rocsparse_index_base_b,"axG",@progbits,_ZN9rocsparseL22csrmvn_adaptive_kernelIllf21rocsparse_complex_numIfES2_S2_EEvbT_PKS3_PjPKT0_NS_24const_host_device_scalarIT4_EES5_S9_PKT1_PKT2_SC_PT3_21rocsparse_index_base_b,comdat
.Lfunc_end88:
	.size	_ZN9rocsparseL22csrmvn_adaptive_kernelIllf21rocsparse_complex_numIfES2_S2_EEvbT_PKS3_PjPKT0_NS_24const_host_device_scalarIT4_EES5_S9_PKT1_PKT2_SC_PT3_21rocsparse_index_base_b, .Lfunc_end88-_ZN9rocsparseL22csrmvn_adaptive_kernelIllf21rocsparse_complex_numIfES2_S2_EEvbT_PKS3_PjPKT0_NS_24const_host_device_scalarIT4_EES5_S9_PKT1_PKT2_SC_PT3_21rocsparse_index_base_b
                                        ; -- End function
	.set _ZN9rocsparseL22csrmvn_adaptive_kernelIllf21rocsparse_complex_numIfES2_S2_EEvbT_PKS3_PjPKT0_NS_24const_host_device_scalarIT4_EES5_S9_PKT1_PKT2_SC_PT3_21rocsparse_index_base_b.num_vgpr, 28
	.set _ZN9rocsparseL22csrmvn_adaptive_kernelIllf21rocsparse_complex_numIfES2_S2_EEvbT_PKS3_PjPKT0_NS_24const_host_device_scalarIT4_EES5_S9_PKT1_PKT2_SC_PT3_21rocsparse_index_base_b.num_agpr, 0
	.set _ZN9rocsparseL22csrmvn_adaptive_kernelIllf21rocsparse_complex_numIfES2_S2_EEvbT_PKS3_PjPKT0_NS_24const_host_device_scalarIT4_EES5_S9_PKT1_PKT2_SC_PT3_21rocsparse_index_base_b.numbered_sgpr, 48
	.set _ZN9rocsparseL22csrmvn_adaptive_kernelIllf21rocsparse_complex_numIfES2_S2_EEvbT_PKS3_PjPKT0_NS_24const_host_device_scalarIT4_EES5_S9_PKT1_PKT2_SC_PT3_21rocsparse_index_base_b.num_named_barrier, 0
	.set _ZN9rocsparseL22csrmvn_adaptive_kernelIllf21rocsparse_complex_numIfES2_S2_EEvbT_PKS3_PjPKT0_NS_24const_host_device_scalarIT4_EES5_S9_PKT1_PKT2_SC_PT3_21rocsparse_index_base_b.private_seg_size, 0
	.set _ZN9rocsparseL22csrmvn_adaptive_kernelIllf21rocsparse_complex_numIfES2_S2_EEvbT_PKS3_PjPKT0_NS_24const_host_device_scalarIT4_EES5_S9_PKT1_PKT2_SC_PT3_21rocsparse_index_base_b.uses_vcc, 1
	.set _ZN9rocsparseL22csrmvn_adaptive_kernelIllf21rocsparse_complex_numIfES2_S2_EEvbT_PKS3_PjPKT0_NS_24const_host_device_scalarIT4_EES5_S9_PKT1_PKT2_SC_PT3_21rocsparse_index_base_b.uses_flat_scratch, 0
	.set _ZN9rocsparseL22csrmvn_adaptive_kernelIllf21rocsparse_complex_numIfES2_S2_EEvbT_PKS3_PjPKT0_NS_24const_host_device_scalarIT4_EES5_S9_PKT1_PKT2_SC_PT3_21rocsparse_index_base_b.has_dyn_sized_stack, 0
	.set _ZN9rocsparseL22csrmvn_adaptive_kernelIllf21rocsparse_complex_numIfES2_S2_EEvbT_PKS3_PjPKT0_NS_24const_host_device_scalarIT4_EES5_S9_PKT1_PKT2_SC_PT3_21rocsparse_index_base_b.has_recursion, 0
	.set _ZN9rocsparseL22csrmvn_adaptive_kernelIllf21rocsparse_complex_numIfES2_S2_EEvbT_PKS3_PjPKT0_NS_24const_host_device_scalarIT4_EES5_S9_PKT1_PKT2_SC_PT3_21rocsparse_index_base_b.has_indirect_call, 0
	.section	.AMDGPU.csdata,"",@progbits
; Kernel info:
; codeLenInByte = 6156
; TotalNumSgprs: 50
; NumVgprs: 28
; ScratchSize: 0
; MemoryBound: 0
; FloatMode: 240
; IeeeMode: 1
; LDSByteSize: 8192 bytes/workgroup (compile time only)
; SGPRBlocks: 0
; VGPRBlocks: 3
; NumSGPRsForWavesPerEU: 50
; NumVGPRsForWavesPerEU: 28
; Occupancy: 16
; WaveLimiterHint : 1
; COMPUTE_PGM_RSRC2:SCRATCH_EN: 0
; COMPUTE_PGM_RSRC2:USER_SGPR: 2
; COMPUTE_PGM_RSRC2:TRAP_HANDLER: 0
; COMPUTE_PGM_RSRC2:TGID_X_EN: 1
; COMPUTE_PGM_RSRC2:TGID_Y_EN: 0
; COMPUTE_PGM_RSRC2:TGID_Z_EN: 0
; COMPUTE_PGM_RSRC2:TIDIG_COMP_CNT: 0
	.section	.text._ZN9rocsparseL27csrmvn_symm_adaptive_kernelIllf21rocsparse_complex_numIfES2_S2_EEvbT_S3_PKS3_NS_24const_host_device_scalarIT4_EES5_PKT0_PKT1_PKT2_S8_PT3_21rocsparse_index_base_b,"axG",@progbits,_ZN9rocsparseL27csrmvn_symm_adaptive_kernelIllf21rocsparse_complex_numIfES2_S2_EEvbT_S3_PKS3_NS_24const_host_device_scalarIT4_EES5_PKT0_PKT1_PKT2_S8_PT3_21rocsparse_index_base_b,comdat
	.globl	_ZN9rocsparseL27csrmvn_symm_adaptive_kernelIllf21rocsparse_complex_numIfES2_S2_EEvbT_S3_PKS3_NS_24const_host_device_scalarIT4_EES5_PKT0_PKT1_PKT2_S8_PT3_21rocsparse_index_base_b ; -- Begin function _ZN9rocsparseL27csrmvn_symm_adaptive_kernelIllf21rocsparse_complex_numIfES2_S2_EEvbT_S3_PKS3_NS_24const_host_device_scalarIT4_EES5_PKT0_PKT1_PKT2_S8_PT3_21rocsparse_index_base_b
	.p2align	8
	.type	_ZN9rocsparseL27csrmvn_symm_adaptive_kernelIllf21rocsparse_complex_numIfES2_S2_EEvbT_S3_PKS3_NS_24const_host_device_scalarIT4_EES5_PKT0_PKT1_PKT2_S8_PT3_21rocsparse_index_base_b,@function
_ZN9rocsparseL27csrmvn_symm_adaptive_kernelIllf21rocsparse_complex_numIfES2_S2_EEvbT_S3_PKS3_NS_24const_host_device_scalarIT4_EES5_PKT0_PKT1_PKT2_S8_PT3_21rocsparse_index_base_b: ; @_ZN9rocsparseL27csrmvn_symm_adaptive_kernelIllf21rocsparse_complex_numIfES2_S2_EEvbT_S3_PKS3_NS_24const_host_device_scalarIT4_EES5_PKT0_PKT1_PKT2_S8_PT3_21rocsparse_index_base_b
; %bb.0:
	s_clause 0x1
	s_load_b64 s[24:25], s[0:1], 0x58
	s_load_b64 s[4:5], s[0:1], 0x20
	s_add_nc_u64 s[6:7], s[0:1], 32
	s_wait_kmcnt 0x0
	s_bitcmp1_b32 s25, 0
	s_cselect_b32 s3, -1, 0
	s_delay_alu instid0(SALU_CYCLE_1) | instskip(SKIP_2) | instid1(SALU_CYCLE_1)
	s_and_b32 s2, s3, exec_lo
	s_cselect_b32 s2, s6, s4
	s_cselect_b32 s4, s7, s5
	v_dual_mov_b32 v1, s2 :: v_dual_mov_b32 v2, s4
	flat_load_b64 v[6:7], v[1:2]
	s_wait_loadcnt_dscnt 0x0
	v_cmp_eq_f32_e32 vcc_lo, 0, v6
	v_cmp_eq_f32_e64 s2, 0, v7
	s_and_b32 s5, vcc_lo, s2
	s_mov_b32 s2, -1
	s_wait_alu 0xfffe
	s_and_saveexec_b32 s4, s5
	s_cbranch_execz .LBB89_2
; %bb.1:
	s_load_b64 s[6:7], s[0:1], 0x48
	s_add_nc_u64 s[8:9], s[0:1], 0x48
	s_and_b32 s2, s3, exec_lo
	s_wait_kmcnt 0x0
	s_cselect_b32 s2, s8, s6
	s_cselect_b32 s3, s9, s7
	s_wait_alu 0xfffe
	v_dual_mov_b32 v1, s2 :: v_dual_mov_b32 v2, s3
	flat_load_b64 v[1:2], v[1:2]
	s_wait_loadcnt_dscnt 0x0
	v_cmp_neq_f32_e32 vcc_lo, 1.0, v1
	v_cmp_neq_f32_e64 s2, 0, v2
	s_or_b32 s2, vcc_lo, s2
	s_wait_alu 0xfffe
	s_or_not1_b32 s2, s2, exec_lo
.LBB89_2:
	s_wait_alu 0xfffe
	s_or_b32 exec_lo, exec_lo, s4
	s_and_saveexec_b32 s3, s2
	s_cbranch_execz .LBB89_141
; %bb.3:
	s_load_b64 s[4:5], s[0:1], 0x18
	s_mov_b32 s25, 0
	s_mov_b32 s2, ttmp9
	s_mov_b32 s6, s25
	s_mov_b32 s7, s25
	v_dual_mov_b32 v1, s6 :: v_dual_lshlrev_b32 v14, 3, v0
	s_ashr_i32 s3, ttmp9, 31
	v_mov_b32_e32 v2, s7
	s_wait_alu 0xfffe
	s_lshl_b64 s[2:3], s[2:3], 3
	ds_store_2addr_stride64_b64 v14, v[1:2], v[1:2] offset1:4
	ds_store_2addr_stride64_b64 v14, v[1:2], v[1:2] offset0:8 offset1:12
	s_wait_dscnt 0x0
	s_barrier_signal -1
	s_barrier_wait -1
	global_inv scope:SCOPE_SE
	s_wait_kmcnt 0x0
	s_wait_alu 0xfffe
	s_add_nc_u64 s[2:3], s[4:5], s[2:3]
	s_load_b128 s[16:19], s[2:3], 0x0
	s_clause 0x1
	s_load_b256 s[8:15], s[0:1], 0x28
	s_load_b64 s[20:21], s[0:1], 0x50
	s_wait_kmcnt 0x0
	s_sub_nc_u64 s[22:23], s[18:19], s[16:17]
	s_delay_alu instid0(SALU_CYCLE_1)
	v_cmp_gt_i64_e64 s2, s[22:23], 2
	s_and_b32 vcc_lo, exec_lo, s2
	s_mov_b32 s2, -1
	s_cbranch_vccnz .LBB89_40
; %bb.4:
	v_cmp_le_i64_e64 s2, s[18:19], s[16:17]
	v_sub_co_u32 v5, s3, v0, s24
	v_mov_b32_e32 v13, 0
	s_wait_alu 0xf1ff
	v_sub_co_ci_u32_e64 v12, null, 0, 0, s3
	s_wait_alu 0xfffe
	s_and_b32 vcc_lo, exec_lo, s2
	s_cbranch_vccnz .LBB89_30
; %bb.5:
	v_cmp_gt_u32_e64 s2, 0x100, v0
	v_cmp_gt_u32_e64 s3, 64, v0
	;; [unrolled: 1-line block ×4, first 2 shown]
	v_cmp_eq_u32_e64 s6, 0, v0
	s_mov_b64 s[26:27], s[16:17]
	s_branch .LBB89_7
.LBB89_6:                               ;   in Loop: Header=BB89_7 Depth=1
	s_wait_alu 0xfffe
	s_or_b32 exec_lo, exec_lo, s7
	s_add_nc_u64 s[26:27], s[26:27], 1
	s_wait_alu 0xfffe
	v_cmp_ge_i64_e64 s7, s[26:27], s[18:19]
	s_and_b32 vcc_lo, exec_lo, s7
	s_wait_alu 0xfffe
	s_cbranch_vccnz .LBB89_30
.LBB89_7:                               ; =>This Loop Header: Depth=1
                                        ;     Child Loop BB89_9 Depth 2
                                        ;     Child Loop BB89_23 Depth 2
	;; [unrolled: 1-line block ×3, first 2 shown]
	s_lshl_b64 s[28:29], s[26:27], 3
	v_dual_mov_b32 v4, 0 :: v_dual_mov_b32 v3, 0
	s_add_nc_u64 s[30:31], s[8:9], s[28:29]
	s_mov_b32 s33, exec_lo
	s_load_b128 s[36:39], s[30:31], 0x0
	s_wait_kmcnt 0x0
	v_add_co_u32 v1, vcc_lo, s36, v5
	s_wait_alu 0xfffd
	v_add_co_ci_u32_e64 v2, null, s37, v12, vcc_lo
	s_sub_nc_u64 s[30:31], s[38:39], s[24:25]
	s_wait_alu 0xfffe
	v_cmpx_gt_i64_e64 s[30:31], v[1:2]
	s_cbranch_execz .LBB89_11
; %bb.8:                                ;   in Loop: Header=BB89_7 Depth=1
	v_lshlrev_b64_e32 v[8:9], 3, v[1:2]
	v_lshlrev_b64_e32 v[10:11], 2, v[1:2]
	v_mov_b32_e32 v4, 0
	s_mov_b32 s34, 0
	s_delay_alu instid0(VALU_DEP_3)
	v_add_co_u32 v8, vcc_lo, s10, v8
	s_wait_alu 0xfffd
	v_add_co_ci_u32_e64 v9, null, s11, v9, vcc_lo
	v_add_co_u32 v10, vcc_lo, s12, v10
	s_wait_alu 0xfffd
	v_add_co_ci_u32_e64 v11, null, s13, v11, vcc_lo
	v_mov_b32_e32 v3, v4
.LBB89_9:                               ;   Parent Loop BB89_7 Depth=1
                                        ; =>  This Inner Loop Header: Depth=2
	global_load_b64 v[15:16], v[8:9], off
	s_wait_loadcnt 0x0
	v_sub_co_u32 v15, vcc_lo, v15, s24
	s_wait_alu 0xfffd
	v_subrev_co_ci_u32_e64 v16, null, 0, v16, vcc_lo
	s_delay_alu instid0(VALU_DEP_1) | instskip(NEXT) | instid1(VALU_DEP_1)
	v_lshlrev_b64_e32 v[15:16], 3, v[15:16]
	v_add_co_u32 v15, vcc_lo, s14, v15
	s_wait_alu 0xfffd
	s_delay_alu instid0(VALU_DEP_2)
	v_add_co_ci_u32_e64 v16, null, s15, v16, vcc_lo
	v_add_co_u32 v1, vcc_lo, 0x100, v1
	global_load_b32 v17, v[10:11], off
	global_load_b64 v[15:16], v[15:16], off
	s_wait_alu 0xfffd
	v_add_co_ci_u32_e64 v2, null, 0, v2, vcc_lo
	v_add_co_u32 v8, vcc_lo, 0x800, v8
	s_wait_alu 0xfffd
	v_add_co_ci_u32_e64 v9, null, 0, v9, vcc_lo
	s_delay_alu instid0(VALU_DEP_3)
	v_cmp_le_i64_e64 s7, s[30:31], v[1:2]
	v_add_co_u32 v10, vcc_lo, 0x400, v10
	s_wait_alu 0xfffd
	v_add_co_ci_u32_e64 v11, null, 0, v11, vcc_lo
	s_or_b32 s34, s7, s34
	s_wait_loadcnt 0x0
	v_fmac_f32_e32 v3, v17, v15
	s_delay_alu instid0(VALU_DEP_1) | instskip(NEXT) | instid1(VALU_DEP_1)
	v_dual_fmac_f32 v4, 0, v15 :: v_dual_fmac_f32 v3, 0x80000000, v16
	v_fmac_f32_e32 v4, v17, v16
	s_and_not1_b32 exec_lo, exec_lo, s34
	s_cbranch_execnz .LBB89_9
; %bb.10:                               ;   in Loop: Header=BB89_7 Depth=1
	s_or_b32 exec_lo, exec_lo, s34
.LBB89_11:                              ;   in Loop: Header=BB89_7 Depth=1
	s_delay_alu instid0(SALU_CYCLE_1)
	s_or_b32 exec_lo, exec_lo, s33
	ds_store_b64 v14, v[3:4]
	s_wait_loadcnt_dscnt 0x0
	s_barrier_signal -1
	s_barrier_wait -1
	global_inv scope:SCOPE_SE
	s_and_saveexec_b32 s7, s2
	s_cbranch_execz .LBB89_13
; %bb.12:                               ;   in Loop: Header=BB89_7 Depth=1
	ds_load_2addr_stride64_b64 v[1:4], v14 offset1:4
	ds_load_2addr_stride64_b64 v[8:11], v14 offset0:8 offset1:12
	s_wait_dscnt 0x0
	v_dual_add_f32 v3, v8, v3 :: v_dual_add_f32 v4, v9, v4
	s_delay_alu instid0(VALU_DEP_1) | instskip(NEXT) | instid1(VALU_DEP_1)
	v_dual_add_f32 v3, v10, v3 :: v_dual_add_f32 v4, v11, v4
	v_dual_add_f32 v1, v3, v1 :: v_dual_add_f32 v2, v4, v2
	ds_store_b64 v14, v[1:2]
.LBB89_13:                              ;   in Loop: Header=BB89_7 Depth=1
	s_wait_alu 0xfffe
	s_or_b32 exec_lo, exec_lo, s7
	s_wait_loadcnt_dscnt 0x0
	s_barrier_signal -1
	s_barrier_wait -1
	global_inv scope:SCOPE_SE
	s_and_saveexec_b32 s7, s3
	s_cbranch_execz .LBB89_15
; %bb.14:                               ;   in Loop: Header=BB89_7 Depth=1
	ds_load_2addr_stride64_b64 v[1:4], v14 offset1:1
	ds_load_2addr_stride64_b64 v[8:11], v14 offset0:2 offset1:3
	s_wait_dscnt 0x0
	v_dual_add_f32 v3, v8, v3 :: v_dual_add_f32 v4, v9, v4
	s_delay_alu instid0(VALU_DEP_1) | instskip(NEXT) | instid1(VALU_DEP_1)
	v_dual_add_f32 v3, v10, v3 :: v_dual_add_f32 v4, v11, v4
	v_dual_add_f32 v1, v3, v1 :: v_dual_add_f32 v2, v4, v2
	ds_store_b64 v14, v[1:2]
.LBB89_15:                              ;   in Loop: Header=BB89_7 Depth=1
	s_wait_alu 0xfffe
	s_or_b32 exec_lo, exec_lo, s7
	s_wait_loadcnt_dscnt 0x0
	s_barrier_signal -1
	s_barrier_wait -1
	global_inv scope:SCOPE_SE
	s_and_saveexec_b32 s7, s4
	s_cbranch_execz .LBB89_17
; %bb.16:                               ;   in Loop: Header=BB89_7 Depth=1
	ds_load_2addr_b64 v[1:4], v14 offset1:16
	ds_load_2addr_b64 v[8:11], v14 offset0:32 offset1:48
	s_wait_dscnt 0x0
	v_dual_add_f32 v3, v8, v3 :: v_dual_add_f32 v4, v9, v4
	s_delay_alu instid0(VALU_DEP_1) | instskip(NEXT) | instid1(VALU_DEP_1)
	v_dual_add_f32 v3, v10, v3 :: v_dual_add_f32 v4, v11, v4
	v_dual_add_f32 v1, v3, v1 :: v_dual_add_f32 v2, v4, v2
	ds_store_b64 v14, v[1:2]
.LBB89_17:                              ;   in Loop: Header=BB89_7 Depth=1
	s_wait_alu 0xfffe
	s_or_b32 exec_lo, exec_lo, s7
	s_wait_loadcnt_dscnt 0x0
	s_barrier_signal -1
	s_barrier_wait -1
	global_inv scope:SCOPE_SE
	s_and_saveexec_b32 s7, s5
	s_cbranch_execz .LBB89_19
; %bb.18:                               ;   in Loop: Header=BB89_7 Depth=1
	ds_load_2addr_b64 v[1:4], v14 offset1:4
	ds_load_2addr_b64 v[8:11], v14 offset0:8 offset1:12
	s_wait_dscnt 0x0
	v_dual_add_f32 v3, v8, v3 :: v_dual_add_f32 v4, v9, v4
	s_delay_alu instid0(VALU_DEP_1) | instskip(NEXT) | instid1(VALU_DEP_1)
	v_dual_add_f32 v3, v10, v3 :: v_dual_add_f32 v4, v11, v4
	v_dual_add_f32 v1, v3, v1 :: v_dual_add_f32 v2, v4, v2
	ds_store_b64 v14, v[1:2]
.LBB89_19:                              ;   in Loop: Header=BB89_7 Depth=1
	s_wait_alu 0xfffe
	s_or_b32 exec_lo, exec_lo, s7
	s_wait_loadcnt_dscnt 0x0
	s_barrier_signal -1
	s_barrier_wait -1
	global_inv scope:SCOPE_SE
	s_and_saveexec_b32 s7, s6
	s_cbranch_execz .LBB89_21
; %bb.20:                               ;   in Loop: Header=BB89_7 Depth=1
	ds_load_b128 v[1:4], v13 offset:16
	ds_load_b64 v[8:9], v13 offset:8
	ds_load_b64 v[10:11], v14
	s_wait_dscnt 0x1
	v_dual_add_f32 v1, v1, v8 :: v_dual_add_f32 v2, v2, v9
	s_delay_alu instid0(VALU_DEP_1) | instskip(SKIP_1) | instid1(VALU_DEP_1)
	v_dual_add_f32 v1, v3, v1 :: v_dual_add_f32 v2, v4, v2
	s_wait_dscnt 0x0
	v_dual_add_f32 v1, v1, v10 :: v_dual_add_f32 v2, v2, v11
	ds_store_b64 v14, v[1:2]
.LBB89_21:                              ;   in Loop: Header=BB89_7 Depth=1
	s_wait_alu 0xfffe
	s_or_b32 exec_lo, exec_lo, s7
	s_wait_loadcnt_dscnt 0x0
	s_barrier_signal -1
	s_barrier_wait -1
	global_inv scope:SCOPE_SE
	s_and_saveexec_b32 s7, s6
	s_cbranch_execz .LBB89_6
; %bb.22:                               ;   in Loop: Header=BB89_7 Depth=1
	ds_load_b64 v[1:2], v13
	s_mov_b32 s31, exec_lo
	s_brev_b32 s30, 1
	s_wait_dscnt 0x0
	v_mul_f32_e64 v3, v2, -v7
	s_delay_alu instid0(VALU_DEP_1)
	v_fmac_f32_e32 v3, v6, v1
.LBB89_23:                              ;   Parent Loop BB89_7 Depth=1
                                        ; =>  This Inner Loop Header: Depth=2
	s_wait_alu 0xfffe
	s_ctz_i32_b32 s33, s31
	s_wait_alu 0xfffe
	s_delay_alu instid0(VALU_DEP_1)
	v_readlane_b32 s34, v3, s33
	s_lshl_b32 s33, 1, s33
	s_wait_alu 0xfffe
	s_and_not1_b32 s31, s31, s33
	s_wait_alu 0xfffe
	s_cmp_lg_u32 s31, 0
	s_add_f32 s30, s30, s34
	s_cbranch_scc1 .LBB89_23
; %bb.24:                               ;   in Loop: Header=BB89_7 Depth=1
	v_mbcnt_lo_u32_b32 v3, exec_lo, 0
	s_add_nc_u64 s[28:29], s[20:21], s[28:29]
	s_mov_b32 s31, exec_lo
	s_delay_alu instid0(VALU_DEP_1)
	v_cmpx_eq_u32_e32 0, v3
	s_wait_alu 0xfffe
	s_xor_b32 s31, exec_lo, s31
	s_cbranch_execz .LBB89_26
; %bb.25:                               ;   in Loop: Header=BB89_7 Depth=1
	v_mov_b32_e32 v3, s30
	global_atomic_add_f32 v13, v3, s[28:29] scope:SCOPE_DEV
.LBB89_26:                              ;   in Loop: Header=BB89_7 Depth=1
	s_wait_alu 0xfffe
	s_or_b32 exec_lo, exec_lo, s31
	v_mul_f32_e32 v2, v6, v2
	s_mov_b32 s31, exec_lo
	s_brev_b32 s30, 1
	s_delay_alu instid0(VALU_DEP_1)
	v_fmac_f32_e32 v2, v7, v1
.LBB89_27:                              ;   Parent Loop BB89_7 Depth=1
                                        ; =>  This Inner Loop Header: Depth=2
	s_wait_alu 0xfffe
	s_ctz_i32_b32 s33, s31
	s_wait_alu 0xfffe
	s_delay_alu instid0(VALU_DEP_1)
	v_readlane_b32 s34, v2, s33
	s_lshl_b32 s33, 1, s33
	s_wait_alu 0xfffe
	s_and_not1_b32 s31, s31, s33
	s_wait_alu 0xfffe
	s_cmp_lg_u32 s31, 0
	s_add_f32 s30, s30, s34
	s_cbranch_scc1 .LBB89_27
; %bb.28:                               ;   in Loop: Header=BB89_7 Depth=1
	v_mbcnt_lo_u32_b32 v1, exec_lo, 0
	s_mov_b32 s31, exec_lo
	s_delay_alu instid0(VALU_DEP_1)
	v_cmpx_eq_u32_e32 0, v1
	s_wait_alu 0xfffe
	s_xor_b32 s31, exec_lo, s31
	s_cbranch_execz .LBB89_6
; %bb.29:                               ;   in Loop: Header=BB89_7 Depth=1
	v_mov_b32_e32 v1, s30
	global_atomic_add_f32 v13, v1, s[28:29] offset:4 scope:SCOPE_DEV
	s_branch .LBB89_6
.LBB89_30:
	s_lshl_b64 s[2:3], s[16:17], 3
	s_lshl_b64 s[4:5], s[18:19], 3
	s_wait_alu 0xfffe
	s_add_nc_u64 s[2:3], s[8:9], s[2:3]
	s_add_nc_u64 s[4:5], s[8:9], s[4:5]
	s_clause 0x1
	s_load_b64 s[2:3], s[2:3], 0x0
	s_load_b64 s[4:5], s[4:5], 0x0
	s_wait_kmcnt 0x0
	v_add_co_u32 v1, vcc_lo, s2, v5
	s_wait_alu 0xfffd
	v_add_co_ci_u32_e64 v2, null, s3, v12, vcc_lo
	s_sub_nc_u64 s[4:5], s[4:5], s[24:25]
	s_mov_b32 s3, exec_lo
	s_wait_alu 0xfffe
	v_cmpx_gt_i64_e64 s[4:5], v[1:2]
	s_cbranch_execz .LBB89_39
; %bb.31:
	s_add_nc_u64 s[6:7], s[18:19], -1
	s_add_nc_u64 s[26:27], s[18:19], -2
	s_wait_alu 0xfffe
	v_cmp_lt_i64_e64 s2, s[16:17], s[6:7]
	s_cmp_lg_u64 s[16:17], s[26:27]
	v_dual_mul_f32 v5, 0x80000000, v7 :: v_dual_mul_f32 v10, 0, v6
	s_cselect_b32 s25, -1, 0
	s_mov_b32 s26, 0
	s_wait_alu 0xfffe
	s_and_b32 s25, s2, s25
	s_branch .LBB89_33
.LBB89_32:                              ;   in Loop: Header=BB89_33 Depth=1
	s_wait_alu 0xfffe
	s_or_b32 exec_lo, exec_lo, s2
	v_add_co_u32 v1, vcc_lo, 0x100, v1
	s_wait_alu 0xfffd
	v_add_co_ci_u32_e64 v2, null, 0, v2, vcc_lo
	s_delay_alu instid0(VALU_DEP_1)
	v_cmp_le_i64_e32 vcc_lo, s[4:5], v[1:2]
	s_or_b32 s26, vcc_lo, s26
	s_wait_alu 0xfffe
	s_and_not1_b32 exec_lo, exec_lo, s26
	s_cbranch_execz .LBB89_39
.LBB89_33:                              ; =>This Loop Header: Depth=1
                                        ;     Child Loop BB89_35 Depth 2
	v_dual_mov_b32 v3, s16 :: v_dual_mov_b32 v4, s17
	v_dual_mov_b32 v9, s7 :: v_dual_mov_b32 v8, s6
	s_wait_alu 0xfffe
	s_and_not1_b32 vcc_lo, exec_lo, s25
	s_wait_alu 0xfffe
	s_cbranch_vccnz .LBB89_37
; %bb.34:                               ;   in Loop: Header=BB89_33 Depth=1
	v_dual_mov_b32 v3, s16 :: v_dual_mov_b32 v4, s17
	v_dual_mov_b32 v9, s7 :: v_dual_mov_b32 v8, s6
	s_mov_b32 s27, 0
.LBB89_35:                              ;   Parent Loop BB89_33 Depth=1
                                        ; =>  This Inner Loop Header: Depth=2
	s_delay_alu instid0(VALU_DEP_1) | instskip(SKIP_1) | instid1(VALU_DEP_2)
	v_add_co_u32 v11, vcc_lo, v8, v3
	s_wait_alu 0xfffd
	v_add_co_ci_u32_e64 v12, null, v9, v4, vcc_lo
	s_delay_alu instid0(VALU_DEP_1) | instskip(NEXT) | instid1(VALU_DEP_1)
	v_lshrrev_b32_e32 v13, 31, v12
	v_add_co_u32 v11, vcc_lo, v11, v13
	s_wait_alu 0xfffd
	v_add_co_ci_u32_e64 v12, null, 0, v12, vcc_lo
	s_delay_alu instid0(VALU_DEP_1) | instskip(NEXT) | instid1(VALU_DEP_1)
	v_ashrrev_i64 v[11:12], 1, v[11:12]
	v_lshlrev_b64_e32 v[15:16], 3, v[11:12]
	s_delay_alu instid0(VALU_DEP_1) | instskip(SKIP_1) | instid1(VALU_DEP_2)
	v_add_co_u32 v15, vcc_lo, s8, v15
	s_wait_alu 0xfffd
	v_add_co_ci_u32_e64 v16, null, s9, v16, vcc_lo
	global_load_b64 v[15:16], v[15:16], off
	s_wait_loadcnt 0x0
	v_sub_co_u32 v15, vcc_lo, v15, s24
	s_wait_alu 0xfffd
	v_subrev_co_ci_u32_e64 v16, null, 0, v16, vcc_lo
	s_delay_alu instid0(VALU_DEP_1) | instskip(SKIP_3) | instid1(VALU_DEP_2)
	v_cmp_lt_i64_e32 vcc_lo, v[1:2], v[15:16]
	s_wait_alu 0xfffd
	v_dual_cndmask_b32 v9, v9, v12 :: v_dual_cndmask_b32 v8, v8, v11
	v_dual_cndmask_b32 v4, v12, v4 :: v_dual_cndmask_b32 v3, v11, v3
	v_add_co_u32 v11, vcc_lo, v8, -1
	s_wait_alu 0xfffd
	s_delay_alu instid0(VALU_DEP_3) | instskip(NEXT) | instid1(VALU_DEP_3)
	v_add_co_ci_u32_e64 v12, null, -1, v9, vcc_lo
	v_cmp_ge_i64_e32 vcc_lo, v[3:4], v[8:9]
	s_delay_alu instid0(VALU_DEP_2)
	v_cmp_eq_u64_e64 s2, v[3:4], v[11:12]
	s_or_b32 s2, vcc_lo, s2
	s_wait_alu 0xfffe
	s_and_b32 s2, exec_lo, s2
	s_wait_alu 0xfffe
	s_or_b32 s27, s2, s27
	s_wait_alu 0xfffe
	s_and_not1_b32 exec_lo, exec_lo, s27
	s_cbranch_execnz .LBB89_35
; %bb.36:                               ;   in Loop: Header=BB89_33 Depth=1
	s_or_b32 exec_lo, exec_lo, s27
.LBB89_37:                              ;   in Loop: Header=BB89_33 Depth=1
	v_lshlrev_b64_e32 v[11:12], 3, v[8:9]
	v_lshlrev_b64_e32 v[15:16], 3, v[1:2]
	s_mov_b32 s2, exec_lo
	s_delay_alu instid0(VALU_DEP_2) | instskip(SKIP_1) | instid1(VALU_DEP_3)
	v_add_co_u32 v11, vcc_lo, s8, v11
	s_wait_alu 0xfffd
	v_add_co_ci_u32_e64 v12, null, s9, v12, vcc_lo
	s_delay_alu instid0(VALU_DEP_3)
	v_add_co_u32 v15, vcc_lo, s10, v15
	s_wait_alu 0xfffd
	v_add_co_ci_u32_e64 v16, null, s11, v16, vcc_lo
	global_load_b64 v[11:12], v[11:12], off
	global_load_b64 v[15:16], v[15:16], off
	s_wait_loadcnt 0x1
	v_sub_co_u32 v11, vcc_lo, v11, s24
	s_wait_alu 0xfffd
	v_subrev_co_ci_u32_e64 v12, null, 0, v12, vcc_lo
	s_delay_alu instid0(VALU_DEP_1)
	v_cmp_lt_i64_e32 vcc_lo, v[1:2], v[11:12]
	s_wait_alu 0xfffd
	v_dual_cndmask_b32 v9, v9, v4 :: v_dual_cndmask_b32 v8, v8, v3
	s_wait_loadcnt 0x0
	v_sub_co_u32 v3, vcc_lo, v15, s24
	s_wait_alu 0xfffd
	v_subrev_co_ci_u32_e64 v4, null, 0, v16, vcc_lo
	s_delay_alu instid0(VALU_DEP_1)
	v_cmpx_ne_u64_e64 v[3:4], v[8:9]
	s_cbranch_execz .LBB89_32
; %bb.38:                               ;   in Loop: Header=BB89_33 Depth=1
	v_lshlrev_b64_e32 v[11:12], 2, v[1:2]
	v_lshlrev_b64_e32 v[8:9], 3, v[8:9]
	;; [unrolled: 1-line block ×3, first 2 shown]
	s_delay_alu instid0(VALU_DEP_3) | instskip(SKIP_1) | instid1(VALU_DEP_4)
	v_add_co_u32 v11, vcc_lo, s12, v11
	s_wait_alu 0xfffd
	v_add_co_ci_u32_e64 v12, null, s13, v12, vcc_lo
	s_delay_alu instid0(VALU_DEP_4)
	v_add_co_u32 v8, vcc_lo, s14, v8
	s_wait_alu 0xfffd
	v_add_co_ci_u32_e64 v9, null, s15, v9, vcc_lo
	global_load_b32 v11, v[11:12], off
	global_load_b64 v[8:9], v[8:9], off
	v_add_co_u32 v3, vcc_lo, s20, v3
	s_wait_alu 0xfffd
	v_add_co_ci_u32_e64 v4, null, s21, v4, vcc_lo
	s_wait_loadcnt 0x1
	v_fma_f32 v12, v7, v11, v10
	v_fma_f32 v11, v6, v11, v5
	s_wait_loadcnt 0x0
	s_delay_alu instid0(VALU_DEP_2) | instskip(NEXT) | instid1(VALU_DEP_2)
	v_mul_f32_e64 v13, v9, -v12
	v_mul_f32_e32 v9, v11, v9
	s_delay_alu instid0(VALU_DEP_2) | instskip(NEXT) | instid1(VALU_DEP_2)
	v_fmac_f32_e32 v13, v11, v8
	v_fmac_f32_e32 v9, v12, v8
	s_clause 0x1
	global_atomic_add_f32 v[3:4], v13, off scope:SCOPE_DEV
	global_atomic_add_f32 v[3:4], v9, off offset:4 scope:SCOPE_DEV
	s_branch .LBB89_32
.LBB89_39:
	s_or_b32 exec_lo, exec_lo, s3
	s_mov_b32 s2, 0
.LBB89_40:
	s_wait_alu 0xfffe
	s_and_b32 vcc_lo, exec_lo, s2
	s_wait_alu 0xfffe
	s_cbranch_vccz .LBB89_141
; %bb.41:
	s_load_b32 s2, s[0:1], 0x6c
	s_mov_b32 s25, 0
	s_mov_b64 s[28:29], 0
	s_wait_alu 0xfffe
	s_mov_b32 s7, s25
	s_wait_kmcnt 0x0
	s_and_b32 s6, s2, 0xffff
	s_wait_alu 0xfffe
	v_cmp_lt_u64_e64 s2, s[6:7], s[22:23]
	s_and_b32 vcc_lo, exec_lo, s2
	s_wait_alu 0xfffe
	s_cbranch_vccnz .LBB89_43
; %bb.42:
	v_cvt_f32_u32_e32 v1, s22
	s_sub_co_i32 s3, 0, s22
	s_delay_alu instid0(VALU_DEP_1) | instskip(NEXT) | instid1(TRANS32_DEP_1)
	v_rcp_iflag_f32_e32 v1, v1
	v_mul_f32_e32 v1, 0x4f7ffffe, v1
	s_delay_alu instid0(VALU_DEP_1) | instskip(NEXT) | instid1(VALU_DEP_1)
	v_cvt_u32_f32_e32 v1, v1
	v_readfirstlane_b32 s2, v1
	s_wait_alu 0xfffe
	s_mul_i32 s3, s3, s2
	s_wait_alu 0xfffe
	s_mul_hi_u32 s3, s2, s3
	s_wait_alu 0xfffe
	s_add_co_i32 s2, s2, s3
	s_wait_alu 0xfffe
	s_mul_hi_u32 s2, s6, s2
	s_wait_alu 0xfffe
	s_mul_i32 s3, s2, s22
	s_add_co_i32 s4, s2, 1
	s_wait_alu 0xfffe
	s_sub_co_i32 s3, s6, s3
	s_wait_alu 0xfffe
	s_sub_co_i32 s5, s3, s22
	s_cmp_ge_u32 s3, s22
	s_cselect_b32 s2, s4, s2
	s_wait_alu 0xfffe
	s_cselect_b32 s3, s5, s3
	s_add_co_i32 s4, s2, 1
	s_wait_alu 0xfffe
	s_cmp_ge_u32 s3, s22
	s_cselect_b32 s28, s4, s2
.LBB89_43:
	s_lshl_b64 s[2:3], s[16:17], 3
	v_sub_co_u32 v1, s7, v0, s24
	s_wait_alu 0xfffe
	s_add_nc_u64 s[26:27], s[8:9], s[2:3]
	s_load_b64 s[4:5], s[26:27], 0x0
	s_load_b128 s[0:3], s[0:1], 0x8
	v_sub_co_ci_u32_e64 v2, null, 0, 0, s7
	s_wait_kmcnt 0x0
	v_add_co_u32 v4, vcc_lo, s4, v1
	s_wait_alu 0xfffd
	s_delay_alu instid0(VALU_DEP_2) | instskip(SKIP_1) | instid1(VALU_DEP_3)
	v_add_co_ci_u32_e64 v5, null, s5, v2, vcc_lo
	v_mov_b32_e32 v1, 0
	v_add_co_u32 v2, vcc_lo, 0x300, v4
	s_wait_alu 0xfffd
	s_delay_alu instid0(VALU_DEP_3) | instskip(NEXT) | instid1(VALU_DEP_1)
	v_add_co_ci_u32_e64 v3, null, 0, v5, vcc_lo
	v_cmp_le_i64_e32 vcc_lo, s[0:1], v[2:3]
	s_and_saveexec_b32 s0, vcc_lo
	s_wait_alu 0xfffe
	s_xor_b32 s7, exec_lo, s0
	s_cbranch_execz .LBB89_48
; %bb.44:
	s_lshl_b64 s[0:1], s[18:19], 3
	s_mov_b32 s29, exec_lo
	s_wait_alu 0xfffe
	s_add_nc_u64 s[0:1], s[8:9], s[0:1]
	s_load_b64 s[0:1], s[0:1], 0x0
	s_wait_kmcnt 0x0
	s_sub_nc_u64 s[30:31], s[0:1], s[4:5]
	s_wait_alu 0xfffe
	v_cmpx_gt_i64_e64 s[30:31], v[0:1]
	s_cbranch_execz .LBB89_47
; %bb.45:
	v_lshlrev_b64_e32 v[8:9], 2, v[4:5]
	v_dual_mov_b32 v11, v1 :: v_dual_mul_f32 v12, 0x80000000, v7
	v_mul_f32_e32 v13, 0, v6
	v_dual_mov_b32 v15, v14 :: v_dual_mov_b32 v10, v0
	s_delay_alu instid0(VALU_DEP_4)
	v_add_co_u32 v8, s0, s12, v8
	s_wait_alu 0xf1ff
	v_add_co_ci_u32_e64 v9, null, s13, v9, s0
	s_mov_b32 s33, 0
.LBB89_46:                              ; =>This Inner Loop Header: Depth=1
	global_load_b32 v17, v[8:9], off
	v_add_co_u32 v10, s0, 0x100, v10
	s_wait_alu 0xf1ff
	v_add_co_ci_u32_e64 v11, null, 0, v11, s0
	v_add_co_u32 v8, s0, 0x400, v8
	s_wait_alu 0xf1ff
	v_add_co_ci_u32_e64 v9, null, 0, v9, s0
	s_delay_alu instid0(VALU_DEP_3)
	v_cmp_le_i64_e64 s1, s[30:31], v[10:11]
	s_wait_alu 0xfffe
	s_or_b32 s33, s1, s33
	s_wait_loadcnt 0x0
	v_fma_f32 v16, v6, v17, v12
	v_fma_f32 v17, v7, v17, v13
	ds_store_b64 v15, v[16:17]
	v_add_nc_u32_e32 v15, 0x800, v15
	s_wait_alu 0xfffe
	s_and_not1_b32 exec_lo, exec_lo, s33
	s_cbranch_execnz .LBB89_46
.LBB89_47:
	s_or_b32 exec_lo, exec_lo, s29
                                        ; implicit-def: $vgpr6_vgpr7
.LBB89_48:
	s_wait_alu 0xfffe
	s_and_not1_saveexec_b32 s1, s7
	s_cbranch_execz .LBB89_50
; %bb.49:
	v_lshlrev_b64_e32 v[8:9], 2, v[4:5]
	s_delay_alu instid0(VALU_DEP_1) | instskip(SKIP_1) | instid1(VALU_DEP_2)
	v_add_co_u32 v8, s0, s12, v8
	s_wait_alu 0xf1ff
	v_add_co_ci_u32_e64 v9, null, s13, v9, s0
	s_clause 0x3
	global_load_b32 v11, v[8:9], off
	global_load_b32 v13, v[8:9], off offset:1024
	global_load_b32 v16, v[8:9], off offset:2048
	;; [unrolled: 1-line block ×3, first 2 shown]
	v_dual_mul_f32 v8, 0x80000000, v7 :: v_dual_mul_f32 v9, 0, v6
	s_wait_loadcnt 0x3
	s_delay_alu instid0(VALU_DEP_1) | instskip(NEXT) | instid1(VALU_DEP_2)
	v_fma_f32 v10, v6, v11, v8
	v_fma_f32 v11, v7, v11, v9
	s_wait_loadcnt 0x2
	v_fma_f32 v12, v6, v13, v8
	v_fma_f32 v13, v7, v13, v9
	s_wait_loadcnt 0x1
	;; [unrolled: 3-line block ×3, first 2 shown]
	v_fmac_f32_e32 v8, v6, v17
	v_fmac_f32_e32 v9, v7, v17
	ds_store_2addr_stride64_b64 v14, v[10:11], v[12:13] offset1:4
	ds_store_2addr_stride64_b64 v14, v[15:16], v[8:9] offset0:8 offset1:12
.LBB89_50:
	s_wait_alu 0xfffe
	s_or_b32 exec_lo, exec_lo, s1
	v_lshl_add_u32 v15, v0, 3, 0x2000
	s_mov_b32 s1, exec_lo
	v_cmpx_gt_i64_e64 s[2:3], v[0:1]
	s_cbranch_execz .LBB89_53
; %bb.51:
	v_mov_b32_e32 v7, v1
	v_lshl_add_u32 v8, v0, 3, 0x2000
	v_dual_mov_b32 v9, 0 :: v_dual_mov_b32 v6, v0
	s_mov_b32 s7, 0
.LBB89_52:                              ; =>This Inner Loop Header: Depth=1
	s_delay_alu instid0(VALU_DEP_1)
	v_add_co_u32 v6, s0, 0x100, v6
	s_wait_alu 0xf1ff
	v_add_co_ci_u32_e64 v7, null, 0, v7, s0
	ds_store_2addr_b32 v8, v9, v9 offset1:1
	v_add_nc_u32_e32 v8, 0x800, v8
	v_cmp_le_i64_e64 s0, s[2:3], v[6:7]
	s_wait_alu 0xfffe
	s_or_b32 s7, s0, s7
	s_wait_alu 0xfffe
	s_and_not1_b32 exec_lo, exec_lo, s7
	s_cbranch_execnz .LBB89_52
.LBB89_53:
	s_wait_alu 0xfffe
	s_or_b32 exec_lo, exec_lo, s1
	v_cmp_ge_i64_e64 s7, s[18:19], s[2:3]
	s_sub_nc_u64 s[0:1], s[18:19], s[2:3]
	s_wait_storecnt 0x0
	s_wait_loadcnt_dscnt 0x0
	s_barrier_signal -1
	s_barrier_wait -1
	global_inv scope:SCOPE_SE
	s_and_b32 s7, s7, exec_lo
	s_wait_alu 0xfffe
	s_cselect_b32 s13, s1, 0
	s_cselect_b32 s12, s0, 0
	s_and_saveexec_b32 s0, vcc_lo
	s_wait_alu 0xfffe
	s_xor_b32 s7, exec_lo, s0
	s_cbranch_execz .LBB89_70
; %bb.54:
	s_lshl_b64 s[0:1], s[18:19], 3
	s_mov_b32 s29, exec_lo
	s_wait_alu 0xfffe
	s_add_nc_u64 s[0:1], s[8:9], s[0:1]
	s_load_b64 s[0:1], s[0:1], 0x0
	s_wait_kmcnt 0x0
	s_sub_nc_u64 s[30:31], s[0:1], s[4:5]
	s_wait_alu 0xfffe
	v_cmpx_gt_i64_e64 s[30:31], v[0:1]
	s_cbranch_execz .LBB89_69
; %bb.55:
	s_add_nc_u64 s[34:35], s[18:19], -2
	s_sub_nc_u64 s[36:37], s[0:1], s[24:25]
	s_cmp_lg_u64 s[16:17], s[34:35]
	s_add_nc_u64 s[34:35], s[18:19], -1
	s_cselect_b32 s33, -1, 0
	s_mov_b64 s[38:39], 0
	s_mov_b32 s1, 0
	s_branch .LBB89_58
.LBB89_56:                              ;   in Loop: Header=BB89_58 Depth=1
	s_wait_alu 0xfffe
	s_or_b32 exec_lo, exec_lo, s0
.LBB89_57:                              ;   in Loop: Header=BB89_58 Depth=1
	s_delay_alu instid0(SALU_CYCLE_1)
	s_or_b32 exec_lo, exec_lo, s40
	v_lshlrev_b64_e32 v[2:3], 3, v[2:3]
	v_lshlrev_b32_e32 v11, 3, v10
	s_add_nc_u64 s[38:39], s[38:39], 0x100
	s_wait_alu 0xfffe
	v_add_co_u32 v7, s0, s38, v0
	s_delay_alu instid0(VALU_DEP_3)
	v_add_co_u32 v2, vcc_lo, s14, v2
	s_wait_alu 0xfffd
	v_add_co_ci_u32_e64 v3, null, s15, v3, vcc_lo
	ds_load_b32 v12, v11 offset:4
	s_wait_alu 0xf1ff
	v_add_co_ci_u32_e64 v8, null, s39, 0, s0
	global_load_b64 v[2:3], v[2:3], off
	v_cmp_le_i64_e32 vcc_lo, s[30:31], v[7:8]
	s_or_b32 s1, vcc_lo, s1
	s_wait_loadcnt_dscnt 0x0
	v_mul_f32_e64 v9, v3, -v12
	v_mul_f32_e32 v10, v3, v6
	s_delay_alu instid0(VALU_DEP_2) | instskip(NEXT) | instid1(VALU_DEP_2)
	v_fmac_f32_e32 v9, v6, v2
	v_fmac_f32_e32 v10, v12, v2
	ds_store_b64 v11, v[9:10]
	s_wait_alu 0xfffe
	s_and_not1_b32 exec_lo, exec_lo, s1
	s_cbranch_execz .LBB89_69
.LBB89_58:                              ; =>This Loop Header: Depth=1
                                        ;     Child Loop BB89_60 Depth 2
	v_add_co_u32 v6, vcc_lo, s38, v4
	s_wait_alu 0xfffd
	v_add_co_ci_u32_e64 v7, null, s39, v5, vcc_lo
	v_dual_mov_b32 v8, s16 :: v_dual_mov_b32 v9, s17
	v_dual_mov_b32 v10, s34 :: v_dual_mov_b32 v11, s35
	s_wait_alu 0xfffe
	s_and_not1_b32 vcc_lo, exec_lo, s33
	s_wait_alu 0xfffe
	s_cbranch_vccnz .LBB89_62
; %bb.59:                               ;   in Loop: Header=BB89_58 Depth=1
	v_dual_mov_b32 v8, s16 :: v_dual_mov_b32 v9, s17
	v_dual_mov_b32 v10, s34 :: v_dual_mov_b32 v11, s35
	s_mov_b32 s40, 0
.LBB89_60:                              ;   Parent Loop BB89_58 Depth=1
                                        ; =>  This Inner Loop Header: Depth=2
	s_delay_alu instid0(VALU_DEP_1) | instskip(SKIP_1) | instid1(VALU_DEP_2)
	v_add_co_u32 v2, vcc_lo, v10, v8
	s_wait_alu 0xfffd
	v_add_co_ci_u32_e64 v3, null, v11, v9, vcc_lo
	s_delay_alu instid0(VALU_DEP_1) | instskip(NEXT) | instid1(VALU_DEP_1)
	v_lshrrev_b32_e32 v12, 31, v3
	v_add_co_u32 v2, vcc_lo, v2, v12
	s_wait_alu 0xfffd
	v_add_co_ci_u32_e64 v3, null, 0, v3, vcc_lo
	s_delay_alu instid0(VALU_DEP_1) | instskip(NEXT) | instid1(VALU_DEP_1)
	v_ashrrev_i64 v[2:3], 1, v[2:3]
	v_lshlrev_b64_e32 v[12:13], 3, v[2:3]
	s_delay_alu instid0(VALU_DEP_1) | instskip(SKIP_1) | instid1(VALU_DEP_2)
	v_add_co_u32 v12, vcc_lo, s8, v12
	s_wait_alu 0xfffd
	v_add_co_ci_u32_e64 v13, null, s9, v13, vcc_lo
	global_load_b64 v[12:13], v[12:13], off
	s_wait_loadcnt 0x0
	v_sub_co_u32 v12, vcc_lo, v12, s24
	s_wait_alu 0xfffd
	v_subrev_co_ci_u32_e64 v13, null, 0, v13, vcc_lo
	s_delay_alu instid0(VALU_DEP_1) | instskip(SKIP_3) | instid1(VALU_DEP_2)
	v_cmp_lt_i64_e32 vcc_lo, v[6:7], v[12:13]
	s_wait_alu 0xfffd
	v_dual_cndmask_b32 v11, v11, v3 :: v_dual_cndmask_b32 v10, v10, v2
	v_dual_cndmask_b32 v9, v3, v9 :: v_dual_cndmask_b32 v8, v2, v8
	v_add_co_u32 v2, vcc_lo, v10, -1
	s_wait_alu 0xfffd
	s_delay_alu instid0(VALU_DEP_3) | instskip(NEXT) | instid1(VALU_DEP_3)
	v_add_co_ci_u32_e64 v3, null, -1, v11, vcc_lo
	v_cmp_ge_i64_e32 vcc_lo, v[8:9], v[10:11]
	s_delay_alu instid0(VALU_DEP_2)
	v_cmp_eq_u64_e64 s0, v[8:9], v[2:3]
	s_or_b32 s0, vcc_lo, s0
	s_wait_alu 0xfffe
	s_and_b32 s0, exec_lo, s0
	s_wait_alu 0xfffe
	s_or_b32 s40, s0, s40
	s_delay_alu instid0(SALU_CYCLE_1)
	s_and_not1_b32 exec_lo, exec_lo, s40
	s_cbranch_execnz .LBB89_60
; %bb.61:                               ;   in Loop: Header=BB89_58 Depth=1
	s_or_b32 exec_lo, exec_lo, s40
.LBB89_62:                              ;   in Loop: Header=BB89_58 Depth=1
	v_lshlrev_b64_e32 v[2:3], 3, v[10:11]
	v_lshlrev_b64_e32 v[12:13], 3, v[6:7]
	s_delay_alu instid0(VALU_DEP_2) | instskip(SKIP_1) | instid1(VALU_DEP_3)
	v_add_co_u32 v2, vcc_lo, s8, v2
	s_wait_alu 0xfffd
	v_add_co_ci_u32_e64 v3, null, s9, v3, vcc_lo
	s_delay_alu instid0(VALU_DEP_3)
	v_add_co_u32 v12, vcc_lo, s10, v12
	s_wait_alu 0xfffd
	v_add_co_ci_u32_e64 v13, null, s11, v13, vcc_lo
	global_load_b64 v[2:3], v[2:3], off
	global_load_b64 v[12:13], v[12:13], off
	s_wait_loadcnt 0x1
	v_sub_co_u32 v2, vcc_lo, v2, s24
	s_wait_alu 0xfffd
	v_subrev_co_ci_u32_e64 v3, null, 0, v3, vcc_lo
	s_delay_alu instid0(VALU_DEP_1)
	v_cmp_lt_i64_e32 vcc_lo, v[6:7], v[2:3]
	s_wait_loadcnt 0x0
	v_sub_co_u32 v2, s0, v12, s24
	s_wait_alu 0xf1ff
	v_subrev_co_ci_u32_e64 v3, null, 0, v13, s0
	v_cmp_le_i64_e64 s0, s[36:37], v[6:7]
	s_wait_alu 0xfffd
	v_dual_cndmask_b32 v9, v11, v9 :: v_dual_cndmask_b32 v8, v10, v8
	v_add_co_u32 v10, null, s38, v0
                                        ; implicit-def: $vgpr6
	s_delay_alu instid0(VALU_DEP_2) | instskip(NEXT) | instid1(VALU_DEP_2)
	v_cmp_eq_u64_e32 vcc_lo, v[2:3], v[8:9]
	v_lshlrev_b32_e32 v11, 3, v10
	s_or_b32 s0, vcc_lo, s0
	s_wait_alu 0xfffe
	s_and_saveexec_b32 s40, s0
	s_delay_alu instid0(SALU_CYCLE_1)
	s_xor_b32 s0, exec_lo, s40
; %bb.63:                               ;   in Loop: Header=BB89_58 Depth=1
	ds_load_b32 v6, v11
                                        ; implicit-def: $vgpr11
                                        ; implicit-def: $vgpr8_vgpr9
; %bb.64:                               ;   in Loop: Header=BB89_58 Depth=1
	s_wait_alu 0xfffe
	s_and_not1_saveexec_b32 s40, s0
	s_cbranch_execz .LBB89_57
; %bb.65:                               ;   in Loop: Header=BB89_58 Depth=1
	v_cmp_gt_i64_e32 vcc_lo, s[12:13], v[2:3]
	v_cmp_le_i64_e64 s0, s[18:19], v[2:3]
	v_lshlrev_b64_e32 v[7:8], 3, v[8:9]
                                        ; implicit-def: $vgpr6
	s_or_b32 s0, vcc_lo, s0
	s_wait_alu 0xfffe
	s_and_saveexec_b32 s41, s0
	s_delay_alu instid0(SALU_CYCLE_1)
	s_xor_b32 s0, exec_lo, s41
	s_cbranch_execz .LBB89_67
; %bb.66:                               ;   in Loop: Header=BB89_58 Depth=1
	s_wait_dscnt 0x0
	v_add_co_u32 v6, vcc_lo, s14, v7
	s_wait_alu 0xfffd
	v_add_co_ci_u32_e64 v7, null, s15, v8, vcc_lo
	global_load_b64 v[8:9], v[6:7], off
	ds_load_b64 v[6:7], v11
	v_lshlrev_b64_e32 v[11:12], 3, v[2:3]
	s_delay_alu instid0(VALU_DEP_1) | instskip(SKIP_1) | instid1(VALU_DEP_2)
	v_add_co_u32 v11, vcc_lo, s20, v11
	s_wait_alu 0xfffd
	v_add_co_ci_u32_e64 v12, null, s21, v12, vcc_lo
	s_wait_loadcnt_dscnt 0x0
	v_mul_f32_e64 v13, v9, -v7
	v_mul_f32_e32 v9, v9, v6
	s_delay_alu instid0(VALU_DEP_2) | instskip(NEXT) | instid1(VALU_DEP_2)
	v_fmac_f32_e32 v13, v6, v8
	v_fmac_f32_e32 v9, v7, v8
                                        ; implicit-def: $vgpr7_vgpr8
	s_clause 0x1
	global_atomic_add_f32 v[11:12], v13, off scope:SCOPE_DEV
	global_atomic_add_f32 v[11:12], v9, off offset:4 scope:SCOPE_DEV
                                        ; implicit-def: $vgpr11
.LBB89_67:                              ;   in Loop: Header=BB89_58 Depth=1
	s_wait_alu 0xfffe
	s_and_not1_saveexec_b32 s0, s0
	s_cbranch_execz .LBB89_56
; %bb.68:                               ;   in Loop: Header=BB89_58 Depth=1
	s_wait_dscnt 0x0
	v_add_co_u32 v6, vcc_lo, s14, v7
	s_wait_alu 0xfffd
	v_add_co_ci_u32_e64 v7, null, s15, v8, vcc_lo
	global_load_b64 v[8:9], v[6:7], off
	ds_load_b64 v[6:7], v11
	v_subrev_nc_u32_e32 v11, s12, v2
	s_delay_alu instid0(VALU_DEP_1) | instskip(SKIP_2) | instid1(VALU_DEP_1)
	v_lshl_add_u32 v11, v11, 3, 0x2000
	s_wait_loadcnt_dscnt 0x0
	v_mul_f32_e64 v12, v9, -v7
	v_dual_mul_f32 v9, v9, v6 :: v_dual_fmac_f32 v12, v6, v8
	s_delay_alu instid0(VALU_DEP_1)
	v_fmac_f32_e32 v9, v7, v8
	ds_add_f32 v11, v12
	ds_add_f32 v11, v9 offset:4
	s_branch .LBB89_56
.LBB89_69:
	s_or_b32 exec_lo, exec_lo, s29
                                        ; implicit-def: $vgpr2_vgpr3
                                        ; implicit-def: $vgpr4
.LBB89_70:
	s_wait_alu 0xfffe
	s_and_not1_saveexec_b32 s1, s7
	s_cbranch_execz .LBB89_112
; %bb.71:
	s_add_nc_u64 s[30:31], s[18:19], -1
	s_add_nc_u64 s[34:35], s[18:19], -2
	v_dual_mov_b32 v8, s16 :: v_dual_mov_b32 v9, s17
	s_wait_alu 0xfffe
	v_dual_mov_b32 v10, s30 :: v_dual_mov_b32 v11, s31
	s_cmp_lg_u64 s[16:17], s[34:35]
	s_cselect_b32 s7, -1, 0
	s_cmp_eq_u64 s[16:17], s[34:35]
	s_cbranch_scc1 .LBB89_75
; %bb.72:
	v_dual_mov_b32 v8, s16 :: v_dual_mov_b32 v9, s17
	v_dual_mov_b32 v10, s30 :: v_dual_mov_b32 v11, s31
	s_mov_b32 s29, 0
.LBB89_73:                              ; =>This Inner Loop Header: Depth=1
	s_delay_alu instid0(VALU_DEP_1) | instskip(SKIP_1) | instid1(VALU_DEP_2)
	v_add_co_u32 v6, vcc_lo, v10, v8
	s_wait_alu 0xfffd
	v_add_co_ci_u32_e64 v7, null, v11, v9, vcc_lo
	s_delay_alu instid0(VALU_DEP_1) | instskip(NEXT) | instid1(VALU_DEP_1)
	v_lshrrev_b32_e32 v12, 31, v7
	v_add_co_u32 v6, vcc_lo, v6, v12
	s_wait_alu 0xfffd
	v_add_co_ci_u32_e64 v7, null, 0, v7, vcc_lo
	s_delay_alu instid0(VALU_DEP_1) | instskip(NEXT) | instid1(VALU_DEP_1)
	v_ashrrev_i64 v[6:7], 1, v[6:7]
	v_lshlrev_b64_e32 v[12:13], 3, v[6:7]
	s_delay_alu instid0(VALU_DEP_1) | instskip(SKIP_1) | instid1(VALU_DEP_2)
	v_add_co_u32 v12, vcc_lo, s8, v12
	s_wait_alu 0xfffd
	v_add_co_ci_u32_e64 v13, null, s9, v13, vcc_lo
	global_load_b64 v[12:13], v[12:13], off
	s_wait_loadcnt 0x0
	v_sub_co_u32 v12, vcc_lo, v12, s24
	s_wait_alu 0xfffd
	v_subrev_co_ci_u32_e64 v13, null, 0, v13, vcc_lo
	s_delay_alu instid0(VALU_DEP_1) | instskip(SKIP_3) | instid1(VALU_DEP_2)
	v_cmp_lt_i64_e32 vcc_lo, v[4:5], v[12:13]
	s_wait_alu 0xfffd
	v_dual_cndmask_b32 v11, v11, v7 :: v_dual_cndmask_b32 v10, v10, v6
	v_dual_cndmask_b32 v9, v7, v9 :: v_dual_cndmask_b32 v8, v6, v8
	v_add_co_u32 v6, vcc_lo, v10, -1
	s_wait_alu 0xfffd
	s_delay_alu instid0(VALU_DEP_3) | instskip(NEXT) | instid1(VALU_DEP_3)
	v_add_co_ci_u32_e64 v7, null, -1, v11, vcc_lo
	v_cmp_ge_i64_e32 vcc_lo, v[8:9], v[10:11]
	s_delay_alu instid0(VALU_DEP_2)
	v_cmp_eq_u64_e64 s0, v[8:9], v[6:7]
	s_or_b32 s0, vcc_lo, s0
	s_wait_alu 0xfffe
	s_and_b32 s0, exec_lo, s0
	s_wait_alu 0xfffe
	s_or_b32 s29, s0, s29
	s_delay_alu instid0(SALU_CYCLE_1)
	s_and_not1_b32 exec_lo, exec_lo, s29
	s_cbranch_execnz .LBB89_73
; %bb.74:
	s_or_b32 exec_lo, exec_lo, s29
.LBB89_75:
	v_lshlrev_b64_e32 v[6:7], 3, v[10:11]
	s_mov_b32 s29, exec_lo
	s_delay_alu instid0(VALU_DEP_1) | instskip(SKIP_1) | instid1(VALU_DEP_2)
	v_add_co_u32 v6, vcc_lo, s8, v6
	s_wait_alu 0xfffd
	v_add_co_ci_u32_e64 v7, null, s9, v7, vcc_lo
	global_load_b64 v[12:13], v[6:7], off
	v_lshlrev_b64_e32 v[6:7], 3, v[4:5]
	s_delay_alu instid0(VALU_DEP_1) | instskip(SKIP_1) | instid1(VALU_DEP_2)
	v_add_co_u32 v6, vcc_lo, s10, v6
	s_wait_alu 0xfffd
	v_add_co_ci_u32_e64 v7, null, s11, v7, vcc_lo
	s_lshl_b64 s[10:11], s[18:19], 3
	s_wait_alu 0xfffe
	s_add_nc_u64 s[10:11], s[8:9], s[10:11]
	global_load_b64 v[16:17], v[6:7], off
	s_wait_loadcnt 0x1
	v_sub_co_u32 v12, vcc_lo, v12, s24
	s_wait_alu 0xfffd
	v_subrev_co_ci_u32_e64 v13, null, 0, v13, vcc_lo
	s_delay_alu instid0(VALU_DEP_1)
	v_cmp_lt_i64_e32 vcc_lo, v[4:5], v[12:13]
	s_wait_alu 0xfffd
	v_dual_cndmask_b32 v11, v11, v9 :: v_dual_cndmask_b32 v10, v10, v8
	s_wait_loadcnt 0x0
	v_sub_co_u32 v8, vcc_lo, v16, s24
	s_wait_alu 0xfffd
	v_subrev_co_ci_u32_e64 v9, null, 0, v17, vcc_lo
	s_delay_alu instid0(VALU_DEP_1)
	v_cmpx_ne_u64_e64 v[8:9], v[10:11]
	s_cbranch_execz .LBB89_81
; %bb.76:
	s_load_b64 s[34:35], s[10:11], 0x0
	s_wait_kmcnt 0x0
	s_sub_nc_u64 s[34:35], s[34:35], s[24:25]
	s_wait_alu 0xfffe
	v_cmp_gt_i64_e32 vcc_lo, s[34:35], v[4:5]
	s_and_b32 exec_lo, exec_lo, vcc_lo
	s_cbranch_execz .LBB89_81
; %bb.77:
	v_cmp_gt_i64_e32 vcc_lo, s[12:13], v[8:9]
	v_cmp_le_i64_e64 s0, s[18:19], v[8:9]
	v_lshlrev_b64_e32 v[10:11], 3, v[10:11]
	s_or_b32 s0, vcc_lo, s0
	s_wait_alu 0xfffe
	s_and_saveexec_b32 s33, s0
	s_wait_alu 0xfffe
	s_xor_b32 s0, exec_lo, s33
	s_cbranch_execz .LBB89_79
; %bb.78:
	v_add_co_u32 v10, vcc_lo, s14, v10
	s_wait_alu 0xfffd
	v_add_co_ci_u32_e64 v11, null, s15, v11, vcc_lo
	ds_load_b64 v[12:13], v14
	v_lshlrev_b64_e32 v[16:17], 3, v[8:9]
	global_load_b64 v[10:11], v[10:11], off
	v_add_co_u32 v16, vcc_lo, s20, v16
	s_wait_alu 0xfffd
	v_add_co_ci_u32_e64 v17, null, s21, v17, vcc_lo
	s_wait_loadcnt_dscnt 0x0
	v_mul_f32_e64 v18, v11, -v13
	s_delay_alu instid0(VALU_DEP_1) | instskip(NEXT) | instid1(VALU_DEP_1)
	v_dual_mul_f32 v11, v11, v12 :: v_dual_fmac_f32 v18, v12, v10
	v_fmac_f32_e32 v11, v13, v10
	s_clause 0x1
	global_atomic_add_f32 v[16:17], v18, off scope:SCOPE_DEV
	global_atomic_add_f32 v[16:17], v11, off offset:4 scope:SCOPE_DEV
                                        ; implicit-def: $vgpr10_vgpr11
.LBB89_79:
	s_wait_alu 0xfffe
	s_and_not1_saveexec_b32 s0, s0
	s_cbranch_execz .LBB89_81
; %bb.80:
	v_add_co_u32 v10, vcc_lo, s14, v10
	s_wait_alu 0xfffd
	v_add_co_ci_u32_e64 v11, null, s15, v11, vcc_lo
	ds_load_b64 v[12:13], v14
	v_subrev_nc_u32_e32 v16, s12, v8
	global_load_b64 v[10:11], v[10:11], off
	v_lshl_add_u32 v16, v16, 3, 0x2000
	s_wait_loadcnt_dscnt 0x0
	v_mul_f32_e64 v17, v11, -v13
	v_mul_f32_e32 v11, v11, v12
	s_delay_alu instid0(VALU_DEP_2) | instskip(NEXT) | instid1(VALU_DEP_2)
	v_fmac_f32_e32 v17, v12, v10
	v_fmac_f32_e32 v11, v13, v10
	ds_add_f32 v16, v17
	ds_add_f32 v16, v11 offset:4
.LBB89_81:
	s_or_b32 exec_lo, exec_lo, s29
	v_lshlrev_b64_e32 v[8:9], 3, v[8:9]
	ds_load_b64 v[12:13], v14
	v_cndmask_b32_e64 v16, 0, 1, s7
	v_add_co_u32 v8, vcc_lo, s14, v8
	s_wait_alu 0xfffd
	v_add_co_ci_u32_e64 v9, null, s15, v9, vcc_lo
	global_load_b64 v[10:11], v[8:9], off
	v_add_co_u32 v8, vcc_lo, 0x100, v4
	s_wait_alu 0xfffd
	v_add_co_ci_u32_e64 v9, null, 0, v5, vcc_lo
	s_and_not1_b32 vcc_lo, exec_lo, s7
	s_wait_loadcnt_dscnt 0x0
	v_mul_f32_e64 v17, v11, -v13
	s_delay_alu instid0(VALU_DEP_1) | instskip(NEXT) | instid1(VALU_DEP_1)
	v_dual_mul_f32 v18, v11, v12 :: v_dual_fmac_f32 v17, v12, v10
	v_fmac_f32_e32 v18, v13, v10
	v_mov_b32_e32 v10, s16
	v_dual_mov_b32 v12, s30 :: v_dual_mov_b32 v11, s17
	v_mov_b32_e32 v13, s31
	ds_store_b64 v14, v[17:18]
	s_wait_alu 0xfffe
	s_cbranch_vccnz .LBB89_85
; %bb.82:
	v_dual_mov_b32 v10, s16 :: v_dual_mov_b32 v11, s17
	v_dual_mov_b32 v12, s30 :: v_dual_mov_b32 v13, s31
	s_mov_b32 s7, 0
.LBB89_83:                              ; =>This Inner Loop Header: Depth=1
	s_delay_alu instid0(VALU_DEP_1) | instskip(SKIP_1) | instid1(VALU_DEP_2)
	v_add_co_u32 v17, vcc_lo, v12, v10
	s_wait_alu 0xfffd
	v_add_co_ci_u32_e64 v18, null, v13, v11, vcc_lo
	s_delay_alu instid0(VALU_DEP_1) | instskip(NEXT) | instid1(VALU_DEP_1)
	v_lshrrev_b32_e32 v19, 31, v18
	v_add_co_u32 v17, vcc_lo, v17, v19
	s_wait_alu 0xfffd
	v_add_co_ci_u32_e64 v18, null, 0, v18, vcc_lo
	s_delay_alu instid0(VALU_DEP_1) | instskip(NEXT) | instid1(VALU_DEP_1)
	v_ashrrev_i64 v[17:18], 1, v[17:18]
	v_lshlrev_b64_e32 v[19:20], 3, v[17:18]
	s_delay_alu instid0(VALU_DEP_1) | instskip(SKIP_1) | instid1(VALU_DEP_2)
	v_add_co_u32 v19, vcc_lo, s8, v19
	s_wait_alu 0xfffd
	v_add_co_ci_u32_e64 v20, null, s9, v20, vcc_lo
	global_load_b64 v[19:20], v[19:20], off
	s_wait_loadcnt 0x0
	v_sub_co_u32 v19, vcc_lo, v19, s24
	s_wait_alu 0xfffd
	v_subrev_co_ci_u32_e64 v20, null, 0, v20, vcc_lo
	s_delay_alu instid0(VALU_DEP_1) | instskip(SKIP_3) | instid1(VALU_DEP_2)
	v_cmp_lt_i64_e32 vcc_lo, v[8:9], v[19:20]
	s_wait_alu 0xfffd
	v_dual_cndmask_b32 v13, v13, v18 :: v_dual_cndmask_b32 v12, v12, v17
	v_dual_cndmask_b32 v11, v18, v11 :: v_dual_cndmask_b32 v10, v17, v10
	v_add_co_u32 v17, vcc_lo, v12, -1
	s_wait_alu 0xfffd
	s_delay_alu instid0(VALU_DEP_3) | instskip(NEXT) | instid1(VALU_DEP_3)
	v_add_co_ci_u32_e64 v18, null, -1, v13, vcc_lo
	v_cmp_ge_i64_e32 vcc_lo, v[10:11], v[12:13]
	s_delay_alu instid0(VALU_DEP_2)
	v_cmp_eq_u64_e64 s0, v[10:11], v[17:18]
	s_or_b32 s0, vcc_lo, s0
	s_wait_alu 0xfffe
	s_and_b32 s0, exec_lo, s0
	s_wait_alu 0xfffe
	s_or_b32 s7, s0, s7
	s_wait_alu 0xfffe
	s_and_not1_b32 exec_lo, exec_lo, s7
	s_cbranch_execnz .LBB89_83
; %bb.84:
	s_or_b32 exec_lo, exec_lo, s7
.LBB89_85:
	v_lshlrev_b64_e32 v[17:18], 3, v[12:13]
	s_mov_b32 s7, exec_lo
	s_delay_alu instid0(VALU_DEP_1) | instskip(SKIP_1) | instid1(VALU_DEP_2)
	v_add_co_u32 v17, vcc_lo, s8, v17
	s_wait_alu 0xfffd
	v_add_co_ci_u32_e64 v18, null, s9, v18, vcc_lo
	global_load_b64 v[17:18], v[17:18], off
	global_load_b64 v[19:20], v[6:7], off offset:2048
	s_wait_loadcnt 0x1
	v_sub_co_u32 v17, vcc_lo, v17, s24
	s_wait_alu 0xfffd
	v_subrev_co_ci_u32_e64 v18, null, 0, v18, vcc_lo
	s_delay_alu instid0(VALU_DEP_1)
	v_cmp_lt_i64_e32 vcc_lo, v[8:9], v[17:18]
	s_wait_alu 0xfffd
	v_dual_cndmask_b32 v13, v13, v11 :: v_dual_cndmask_b32 v12, v12, v10
	s_wait_loadcnt 0x0
	v_sub_co_u32 v10, vcc_lo, v19, s24
	s_wait_alu 0xfffd
	v_subrev_co_ci_u32_e64 v11, null, 0, v20, vcc_lo
	s_delay_alu instid0(VALU_DEP_1)
	v_cmpx_ne_u64_e64 v[10:11], v[12:13]
	s_cbranch_execz .LBB89_91
; %bb.86:
	s_load_b64 s[34:35], s[10:11], 0x0
	s_wait_kmcnt 0x0
	s_sub_nc_u64 s[34:35], s[34:35], s[24:25]
	s_wait_alu 0xfffe
	v_cmp_gt_i64_e32 vcc_lo, s[34:35], v[8:9]
	s_and_b32 exec_lo, exec_lo, vcc_lo
	s_cbranch_execz .LBB89_91
; %bb.87:
	v_cmp_gt_i64_e32 vcc_lo, s[12:13], v[10:11]
	v_cmp_le_i64_e64 s0, s[18:19], v[10:11]
	v_lshlrev_b64_e32 v[8:9], 3, v[12:13]
	s_or_b32 s0, vcc_lo, s0
	s_wait_alu 0xfffe
	s_and_saveexec_b32 s29, s0
	s_delay_alu instid0(SALU_CYCLE_1)
	s_xor_b32 s0, exec_lo, s29
	s_cbranch_execz .LBB89_89
; %bb.88:
	v_add_co_u32 v8, vcc_lo, s14, v8
	s_wait_alu 0xfffd
	v_add_co_ci_u32_e64 v9, null, s15, v9, vcc_lo
	ds_load_b64 v[12:13], v14 offset:2048
	v_lshlrev_b64_e32 v[17:18], 3, v[10:11]
	global_load_b64 v[8:9], v[8:9], off
	v_add_co_u32 v17, vcc_lo, s20, v17
	s_wait_alu 0xfffd
	v_add_co_ci_u32_e64 v18, null, s21, v18, vcc_lo
	s_wait_loadcnt_dscnt 0x0
	v_mul_f32_e64 v19, v9, -v13
	v_mul_f32_e32 v9, v9, v12
	s_delay_alu instid0(VALU_DEP_2) | instskip(NEXT) | instid1(VALU_DEP_2)
	v_fmac_f32_e32 v19, v12, v8
	v_fmac_f32_e32 v9, v13, v8
	s_clause 0x1
	global_atomic_add_f32 v[17:18], v19, off scope:SCOPE_DEV
	global_atomic_add_f32 v[17:18], v9, off offset:4 scope:SCOPE_DEV
                                        ; implicit-def: $vgpr8_vgpr9
.LBB89_89:
	s_wait_alu 0xfffe
	s_and_not1_saveexec_b32 s0, s0
	s_cbranch_execz .LBB89_91
; %bb.90:
	v_add_co_u32 v8, vcc_lo, s14, v8
	s_wait_alu 0xfffd
	v_add_co_ci_u32_e64 v9, null, s15, v9, vcc_lo
	ds_load_b64 v[12:13], v14 offset:2048
	v_subrev_nc_u32_e32 v17, s12, v10
	global_load_b64 v[8:9], v[8:9], off
	v_lshl_add_u32 v17, v17, 3, 0x2000
	s_wait_loadcnt_dscnt 0x0
	v_mul_f32_e64 v18, v9, -v13
	v_mul_f32_e32 v9, v9, v12
	s_delay_alu instid0(VALU_DEP_2) | instskip(NEXT) | instid1(VALU_DEP_2)
	v_fmac_f32_e32 v18, v12, v8
	v_fmac_f32_e32 v9, v13, v8
	ds_add_f32 v17, v18
	ds_add_f32 v17, v9 offset:4
.LBB89_91:
	s_wait_alu 0xfffe
	s_or_b32 exec_lo, exec_lo, s7
	v_lshlrev_b64_e32 v[8:9], 3, v[10:11]
	ds_load_b64 v[10:11], v14 offset:2048
	v_add_co_u32 v8, vcc_lo, s14, v8
	s_wait_alu 0xfffd
	v_add_co_ci_u32_e64 v9, null, s15, v9, vcc_lo
	v_add_co_u32 v4, vcc_lo, 0x200, v4
	s_wait_alu 0xfffd
	v_add_co_ci_u32_e64 v5, null, 0, v5, vcc_lo
	global_load_b64 v[8:9], v[8:9], off
	v_cmp_ne_u32_e32 vcc_lo, 1, v16
	s_and_b32 vcc_lo, exec_lo, vcc_lo
	s_wait_loadcnt_dscnt 0x0
	v_mul_f32_e64 v12, v9, -v11
	s_delay_alu instid0(VALU_DEP_1) | instskip(NEXT) | instid1(VALU_DEP_1)
	v_dual_mul_f32 v13, v9, v10 :: v_dual_fmac_f32 v12, v10, v8
	v_dual_fmac_f32 v13, v11, v8 :: v_dual_mov_b32 v8, s16
	v_dual_mov_b32 v9, s17 :: v_dual_mov_b32 v10, s30
	v_mov_b32_e32 v11, s31
	ds_store_b64 v14, v[12:13] offset:2048
	s_wait_alu 0xfffe
	s_cbranch_vccnz .LBB89_95
; %bb.92:
	v_dual_mov_b32 v8, s16 :: v_dual_mov_b32 v9, s17
	v_dual_mov_b32 v10, s30 :: v_dual_mov_b32 v11, s31
	s_mov_b32 s7, 0
.LBB89_93:                              ; =>This Inner Loop Header: Depth=1
	s_delay_alu instid0(VALU_DEP_1) | instskip(SKIP_1) | instid1(VALU_DEP_2)
	v_add_co_u32 v12, vcc_lo, v10, v8
	s_wait_alu 0xfffd
	v_add_co_ci_u32_e64 v13, null, v11, v9, vcc_lo
	s_delay_alu instid0(VALU_DEP_1) | instskip(NEXT) | instid1(VALU_DEP_1)
	v_lshrrev_b32_e32 v17, 31, v13
	v_add_co_u32 v12, vcc_lo, v12, v17
	s_wait_alu 0xfffd
	v_add_co_ci_u32_e64 v13, null, 0, v13, vcc_lo
	s_delay_alu instid0(VALU_DEP_1) | instskip(NEXT) | instid1(VALU_DEP_1)
	v_ashrrev_i64 v[12:13], 1, v[12:13]
	v_lshlrev_b64_e32 v[17:18], 3, v[12:13]
	s_delay_alu instid0(VALU_DEP_1) | instskip(SKIP_1) | instid1(VALU_DEP_2)
	v_add_co_u32 v17, vcc_lo, s8, v17
	s_wait_alu 0xfffd
	v_add_co_ci_u32_e64 v18, null, s9, v18, vcc_lo
	global_load_b64 v[17:18], v[17:18], off
	s_wait_loadcnt 0x0
	v_sub_co_u32 v17, vcc_lo, v17, s24
	s_wait_alu 0xfffd
	v_subrev_co_ci_u32_e64 v18, null, 0, v18, vcc_lo
	s_delay_alu instid0(VALU_DEP_1) | instskip(SKIP_3) | instid1(VALU_DEP_2)
	v_cmp_lt_i64_e32 vcc_lo, v[4:5], v[17:18]
	s_wait_alu 0xfffd
	v_dual_cndmask_b32 v11, v11, v13 :: v_dual_cndmask_b32 v10, v10, v12
	v_dual_cndmask_b32 v9, v13, v9 :: v_dual_cndmask_b32 v8, v12, v8
	v_add_co_u32 v12, vcc_lo, v10, -1
	s_wait_alu 0xfffd
	s_delay_alu instid0(VALU_DEP_3) | instskip(NEXT) | instid1(VALU_DEP_3)
	v_add_co_ci_u32_e64 v13, null, -1, v11, vcc_lo
	v_cmp_ge_i64_e32 vcc_lo, v[8:9], v[10:11]
	s_delay_alu instid0(VALU_DEP_2)
	v_cmp_eq_u64_e64 s0, v[8:9], v[12:13]
	s_or_b32 s0, vcc_lo, s0
	s_wait_alu 0xfffe
	s_and_b32 s0, exec_lo, s0
	s_wait_alu 0xfffe
	s_or_b32 s7, s0, s7
	s_wait_alu 0xfffe
	s_and_not1_b32 exec_lo, exec_lo, s7
	s_cbranch_execnz .LBB89_93
; %bb.94:
	s_or_b32 exec_lo, exec_lo, s7
.LBB89_95:
	v_lshlrev_b64_e32 v[12:13], 3, v[10:11]
	s_mov_b32 s7, exec_lo
	s_delay_alu instid0(VALU_DEP_1) | instskip(SKIP_1) | instid1(VALU_DEP_2)
	v_add_co_u32 v12, vcc_lo, s8, v12
	s_wait_alu 0xfffd
	v_add_co_ci_u32_e64 v13, null, s9, v13, vcc_lo
	global_load_b64 v[12:13], v[12:13], off
	global_load_b64 v[17:18], v[6:7], off offset:4096
	s_wait_loadcnt 0x1
	v_sub_co_u32 v12, vcc_lo, v12, s24
	s_wait_alu 0xfffd
	v_subrev_co_ci_u32_e64 v13, null, 0, v13, vcc_lo
	s_delay_alu instid0(VALU_DEP_1)
	v_cmp_lt_i64_e32 vcc_lo, v[4:5], v[12:13]
	s_wait_alu 0xfffd
	v_dual_cndmask_b32 v11, v11, v9 :: v_dual_cndmask_b32 v10, v10, v8
	s_wait_loadcnt 0x0
	v_sub_co_u32 v8, vcc_lo, v17, s24
	s_wait_alu 0xfffd
	v_subrev_co_ci_u32_e64 v9, null, 0, v18, vcc_lo
	s_delay_alu instid0(VALU_DEP_1)
	v_cmpx_ne_u64_e64 v[8:9], v[10:11]
	s_cbranch_execz .LBB89_101
; %bb.96:
	s_load_b64 s[34:35], s[10:11], 0x0
	s_wait_kmcnt 0x0
	s_sub_nc_u64 s[34:35], s[34:35], s[24:25]
	s_wait_alu 0xfffe
	v_cmp_gt_i64_e32 vcc_lo, s[34:35], v[4:5]
	s_and_b32 exec_lo, exec_lo, vcc_lo
	s_cbranch_execz .LBB89_101
; %bb.97:
	v_cmp_gt_i64_e32 vcc_lo, s[12:13], v[8:9]
	v_cmp_le_i64_e64 s0, s[18:19], v[8:9]
	v_lshlrev_b64_e32 v[4:5], 3, v[10:11]
	s_or_b32 s0, vcc_lo, s0
	s_wait_alu 0xfffe
	s_and_saveexec_b32 s29, s0
	s_delay_alu instid0(SALU_CYCLE_1)
	s_xor_b32 s0, exec_lo, s29
	s_cbranch_execz .LBB89_99
; %bb.98:
	v_add_co_u32 v4, vcc_lo, s14, v4
	s_wait_alu 0xfffd
	v_add_co_ci_u32_e64 v5, null, s15, v5, vcc_lo
	ds_load_b64 v[10:11], v14 offset:4096
	v_lshlrev_b64_e32 v[12:13], 3, v[8:9]
	global_load_b64 v[4:5], v[4:5], off
	v_add_co_u32 v12, vcc_lo, s20, v12
	s_wait_alu 0xfffd
	v_add_co_ci_u32_e64 v13, null, s21, v13, vcc_lo
	s_wait_loadcnt_dscnt 0x0
	v_mul_f32_e64 v17, v5, -v11
	v_mul_f32_e32 v5, v5, v10
	s_delay_alu instid0(VALU_DEP_2) | instskip(NEXT) | instid1(VALU_DEP_2)
	v_fmac_f32_e32 v17, v10, v4
	v_fmac_f32_e32 v5, v11, v4
	s_clause 0x1
	global_atomic_add_f32 v[12:13], v17, off scope:SCOPE_DEV
	global_atomic_add_f32 v[12:13], v5, off offset:4 scope:SCOPE_DEV
                                        ; implicit-def: $vgpr4_vgpr5
.LBB89_99:
	s_wait_alu 0xfffe
	s_and_not1_saveexec_b32 s0, s0
	s_cbranch_execz .LBB89_101
; %bb.100:
	v_add_co_u32 v4, vcc_lo, s14, v4
	s_wait_alu 0xfffd
	v_add_co_ci_u32_e64 v5, null, s15, v5, vcc_lo
	ds_load_b64 v[10:11], v14 offset:4096
	v_subrev_nc_u32_e32 v12, s12, v8
	global_load_b64 v[4:5], v[4:5], off
	v_lshl_add_u32 v12, v12, 3, 0x2000
	s_wait_loadcnt_dscnt 0x0
	v_mul_f32_e64 v13, v5, -v11
	v_mul_f32_e32 v5, v5, v10
	s_delay_alu instid0(VALU_DEP_2) | instskip(NEXT) | instid1(VALU_DEP_2)
	v_fmac_f32_e32 v13, v10, v4
	v_fmac_f32_e32 v5, v11, v4
	ds_add_f32 v12, v13
	ds_add_f32 v12, v5 offset:4
.LBB89_101:
	s_wait_alu 0xfffe
	s_or_b32 exec_lo, exec_lo, s7
	v_lshlrev_b64_e32 v[4:5], 3, v[8:9]
	ds_load_b64 v[8:9], v14 offset:4096
	v_add_co_u32 v4, vcc_lo, s14, v4
	s_wait_alu 0xfffd
	v_add_co_ci_u32_e64 v5, null, s15, v5, vcc_lo
	v_cmp_ne_u32_e32 vcc_lo, 1, v16
	global_load_b64 v[4:5], v[4:5], off
	s_and_b32 vcc_lo, exec_lo, vcc_lo
	s_wait_loadcnt_dscnt 0x0
	v_mul_f32_e64 v10, v5, -v9
	v_mul_f32_e32 v11, v5, v8
	s_delay_alu instid0(VALU_DEP_2) | instskip(NEXT) | instid1(VALU_DEP_2)
	v_fmac_f32_e32 v10, v8, v4
	v_dual_fmac_f32 v11, v9, v4 :: v_dual_mov_b32 v8, s30
	v_dual_mov_b32 v4, s16 :: v_dual_mov_b32 v5, s17
	v_mov_b32_e32 v9, s31
	ds_store_b64 v14, v[10:11] offset:4096
	s_wait_alu 0xfffe
	s_cbranch_vccnz .LBB89_105
; %bb.102:
	v_dual_mov_b32 v4, s16 :: v_dual_mov_b32 v5, s17
	v_dual_mov_b32 v8, s30 :: v_dual_mov_b32 v9, s31
	s_mov_b32 s7, 0
.LBB89_103:                             ; =>This Inner Loop Header: Depth=1
	s_delay_alu instid0(VALU_DEP_1) | instskip(SKIP_1) | instid1(VALU_DEP_2)
	v_add_co_u32 v10, vcc_lo, v8, v4
	s_wait_alu 0xfffd
	v_add_co_ci_u32_e64 v11, null, v9, v5, vcc_lo
	s_delay_alu instid0(VALU_DEP_1) | instskip(NEXT) | instid1(VALU_DEP_1)
	v_lshrrev_b32_e32 v12, 31, v11
	v_add_co_u32 v10, vcc_lo, v10, v12
	s_wait_alu 0xfffd
	v_add_co_ci_u32_e64 v11, null, 0, v11, vcc_lo
	s_delay_alu instid0(VALU_DEP_1) | instskip(NEXT) | instid1(VALU_DEP_1)
	v_ashrrev_i64 v[10:11], 1, v[10:11]
	v_lshlrev_b64_e32 v[12:13], 3, v[10:11]
	s_delay_alu instid0(VALU_DEP_1) | instskip(SKIP_1) | instid1(VALU_DEP_2)
	v_add_co_u32 v12, vcc_lo, s8, v12
	s_wait_alu 0xfffd
	v_add_co_ci_u32_e64 v13, null, s9, v13, vcc_lo
	global_load_b64 v[12:13], v[12:13], off
	s_wait_loadcnt 0x0
	v_sub_co_u32 v12, vcc_lo, v12, s24
	s_wait_alu 0xfffd
	v_subrev_co_ci_u32_e64 v13, null, 0, v13, vcc_lo
	s_delay_alu instid0(VALU_DEP_1) | instskip(SKIP_3) | instid1(VALU_DEP_2)
	v_cmp_lt_i64_e32 vcc_lo, v[2:3], v[12:13]
	s_wait_alu 0xfffd
	v_dual_cndmask_b32 v9, v9, v11 :: v_dual_cndmask_b32 v8, v8, v10
	v_dual_cndmask_b32 v5, v11, v5 :: v_dual_cndmask_b32 v4, v10, v4
	v_add_co_u32 v10, vcc_lo, v8, -1
	s_wait_alu 0xfffd
	s_delay_alu instid0(VALU_DEP_3) | instskip(NEXT) | instid1(VALU_DEP_3)
	v_add_co_ci_u32_e64 v11, null, -1, v9, vcc_lo
	v_cmp_ge_i64_e32 vcc_lo, v[4:5], v[8:9]
	s_delay_alu instid0(VALU_DEP_2)
	v_cmp_eq_u64_e64 s0, v[4:5], v[10:11]
	s_or_b32 s0, vcc_lo, s0
	s_wait_alu 0xfffe
	s_and_b32 s0, exec_lo, s0
	s_wait_alu 0xfffe
	s_or_b32 s7, s0, s7
	s_wait_alu 0xfffe
	s_and_not1_b32 exec_lo, exec_lo, s7
	s_cbranch_execnz .LBB89_103
; %bb.104:
	s_or_b32 exec_lo, exec_lo, s7
.LBB89_105:
	v_lshlrev_b64_e32 v[10:11], 3, v[8:9]
	s_mov_b32 s7, exec_lo
	s_delay_alu instid0(VALU_DEP_1) | instskip(SKIP_1) | instid1(VALU_DEP_2)
	v_add_co_u32 v10, vcc_lo, s8, v10
	s_wait_alu 0xfffd
	v_add_co_ci_u32_e64 v11, null, s9, v11, vcc_lo
	global_load_b64 v[10:11], v[10:11], off
	global_load_b64 v[12:13], v[6:7], off offset:6144
	s_wait_loadcnt 0x1
	v_sub_co_u32 v6, vcc_lo, v10, s24
	s_wait_alu 0xfffd
	v_subrev_co_ci_u32_e64 v7, null, 0, v11, vcc_lo
	s_delay_alu instid0(VALU_DEP_1)
	v_cmp_lt_i64_e32 vcc_lo, v[2:3], v[6:7]
	s_wait_alu 0xfffd
	v_dual_cndmask_b32 v7, v9, v5 :: v_dual_cndmask_b32 v6, v8, v4
	s_wait_loadcnt 0x0
	v_sub_co_u32 v4, vcc_lo, v12, s24
	s_wait_alu 0xfffd
	v_subrev_co_ci_u32_e64 v5, null, 0, v13, vcc_lo
	s_delay_alu instid0(VALU_DEP_1)
	v_cmpx_ne_u64_e64 v[4:5], v[6:7]
	s_cbranch_execz .LBB89_111
; %bb.106:
	s_load_b64 s[10:11], s[10:11], 0x0
	s_wait_kmcnt 0x0
	s_sub_nc_u64 s[10:11], s[10:11], s[24:25]
	s_wait_alu 0xfffe
	v_cmp_gt_i64_e32 vcc_lo, s[10:11], v[2:3]
	s_and_b32 exec_lo, exec_lo, vcc_lo
	s_cbranch_execz .LBB89_111
; %bb.107:
	v_cmp_gt_i64_e32 vcc_lo, s[12:13], v[4:5]
	v_cmp_le_i64_e64 s0, s[18:19], v[4:5]
	v_lshlrev_b64_e32 v[2:3], 3, v[6:7]
	s_or_b32 s0, vcc_lo, s0
	s_wait_alu 0xfffe
	s_and_saveexec_b32 s10, s0
	s_wait_alu 0xfffe
	s_xor_b32 s0, exec_lo, s10
	s_cbranch_execz .LBB89_109
; %bb.108:
	v_add_co_u32 v2, vcc_lo, s14, v2
	s_wait_alu 0xfffd
	v_add_co_ci_u32_e64 v3, null, s15, v3, vcc_lo
	ds_load_b64 v[6:7], v14 offset:6144
	v_lshlrev_b64_e32 v[8:9], 3, v[4:5]
	global_load_b64 v[2:3], v[2:3], off
	v_add_co_u32 v8, vcc_lo, s20, v8
	s_wait_alu 0xfffd
	v_add_co_ci_u32_e64 v9, null, s21, v9, vcc_lo
	s_wait_loadcnt_dscnt 0x0
	v_mul_f32_e64 v10, v3, -v7
	v_mul_f32_e32 v3, v3, v6
	s_delay_alu instid0(VALU_DEP_2) | instskip(NEXT) | instid1(VALU_DEP_2)
	v_fmac_f32_e32 v10, v6, v2
	v_fmac_f32_e32 v3, v7, v2
	s_clause 0x1
	global_atomic_add_f32 v[8:9], v10, off scope:SCOPE_DEV
	global_atomic_add_f32 v[8:9], v3, off offset:4 scope:SCOPE_DEV
                                        ; implicit-def: $vgpr2_vgpr3
.LBB89_109:
	s_wait_alu 0xfffe
	s_and_not1_saveexec_b32 s0, s0
	s_cbranch_execz .LBB89_111
; %bb.110:
	v_add_co_u32 v2, vcc_lo, s14, v2
	s_wait_alu 0xfffd
	v_add_co_ci_u32_e64 v3, null, s15, v3, vcc_lo
	ds_load_b64 v[6:7], v14 offset:6144
	v_subrev_nc_u32_e32 v8, s12, v4
	global_load_b64 v[2:3], v[2:3], off
	v_lshl_add_u32 v8, v8, 3, 0x2000
	s_wait_loadcnt_dscnt 0x0
	v_mul_f32_e64 v9, v3, -v7
	v_mul_f32_e32 v3, v3, v6
	s_delay_alu instid0(VALU_DEP_2) | instskip(NEXT) | instid1(VALU_DEP_2)
	v_fmac_f32_e32 v9, v6, v2
	v_fmac_f32_e32 v3, v7, v2
	ds_add_f32 v8, v9
	ds_add_f32 v8, v3 offset:4
.LBB89_111:
	s_wait_alu 0xfffe
	s_or_b32 exec_lo, exec_lo, s7
	v_lshlrev_b64_e32 v[2:3], 3, v[4:5]
	ds_load_b64 v[4:5], v14 offset:6144
	v_add_co_u32 v2, vcc_lo, s14, v2
	s_wait_alu 0xfffd
	v_add_co_ci_u32_e64 v3, null, s15, v3, vcc_lo
	global_load_b64 v[2:3], v[2:3], off
	s_wait_loadcnt_dscnt 0x0
	v_mul_f32_e64 v6, v3, -v5
	s_delay_alu instid0(VALU_DEP_1) | instskip(NEXT) | instid1(VALU_DEP_1)
	v_dual_mul_f32 v7, v3, v4 :: v_dual_fmac_f32 v6, v4, v2
	v_fmac_f32_e32 v7, v5, v2
	ds_store_b64 v14, v[6:7] offset:6144
.LBB89_112:
	s_wait_alu 0xfffe
	s_or_b32 exec_lo, exec_lo, s1
	v_cmp_lt_i64_e64 s0, s[18:19], s[2:3]
	s_mov_b32 s1, exec_lo
	s_wait_storecnt 0x0
	s_wait_loadcnt_dscnt 0x0
	s_barrier_signal -1
	s_barrier_wait -1
	global_inv scope:SCOPE_SE
	s_and_b32 s0, s0, exec_lo
	s_cselect_b32 s13, s19, s3
	s_cselect_b32 s12, s18, s2
	s_wait_alu 0xfffe
	s_sub_nc_u64 s[10:11], s[12:13], s[22:23]
	s_wait_alu 0xfffe
	v_cmpx_gt_i64_e64 s[10:11], v[0:1]
	s_cbranch_execz .LBB89_115
; %bb.113:
	v_cmp_gt_i64_e64 s0, s[18:19], s[2:3]
	v_dual_mov_b32 v5, v1 :: v_dual_lshlrev_b32 v2, 3, v0
	v_mov_b32_e32 v4, v0
	s_and_b32 s0, s0, exec_lo
	s_cselect_b32 s15, s19, s3
	s_cselect_b32 s14, s18, s2
	s_lshl_b64 s[2:3], s[2:3], 3
	s_wait_alu 0xfffe
	s_lshl_b64 s[14:15], s[14:15], 3
	s_wait_alu 0xfffe
	v_add_co_u32 v2, s0, s14, v2
	s_wait_alu 0xf1ff
	v_add_co_ci_u32_e64 v3, null, s15, 0, s0
	s_delay_alu instid0(VALU_DEP_2) | instskip(SKIP_1) | instid1(VALU_DEP_2)
	v_sub_co_u32 v2, vcc_lo, v2, s2
	s_wait_alu 0xfffd
	v_subrev_co_ci_u32_e64 v3, null, s3, v3, vcc_lo
	s_mov_b32 s2, 0
	v_or_b32_e32 v2, 4, v2
	s_delay_alu instid0(VALU_DEP_1)
	v_add_co_u32 v2, vcc_lo, s20, v2
	s_wait_alu 0xfffd
	v_add_co_ci_u32_e64 v3, null, s21, v3, vcc_lo
.LBB89_114:                             ; =>This Inner Loop Header: Depth=1
	ds_load_2addr_b32 v[6:7], v15 offset1:1
	v_add_co_u32 v4, vcc_lo, 0x100, v4
	s_wait_alu 0xfffd
	v_add_co_ci_u32_e64 v5, null, 0, v5, vcc_lo
	v_add_nc_u32_e32 v15, 0x800, v15
	s_wait_dscnt 0x0
	s_clause 0x1
	global_atomic_add_f32 v[2:3], v6, off offset:-4 scope:SCOPE_DEV
	global_atomic_add_f32 v[2:3], v7, off scope:SCOPE_DEV
	v_cmp_le_i64_e32 vcc_lo, s[10:11], v[4:5]
	v_add_co_u32 v2, s0, 0x800, v2
	s_wait_alu 0xf1ff
	v_add_co_ci_u32_e64 v3, null, 0, v3, s0
	s_wait_alu 0xfffe
	s_or_b32 s2, vcc_lo, s2
	s_wait_alu 0xfffe
	s_and_not1_b32 exec_lo, exec_lo, s2
	s_cbranch_execnz .LBB89_114
.LBB89_115:
	s_or_b32 exec_lo, exec_lo, s1
	s_add_co_i32 s0, s28, -1
	v_add_co_u32 v6, s2, s16, v0
	s_wait_alu 0xfffe
	s_ashr_i32 s1, s0, 1
	v_add_co_ci_u32_e64 v7, null, s17, 0, s2
	s_wait_alu 0xfffe
	s_or_b32 s0, s1, s0
	s_wait_loadcnt 0x0
	s_wait_storecnt 0x0
	s_wait_alu 0xfffe
	s_ashr_i32 s1, s0, 2
	s_barrier_signal -1
	s_wait_alu 0xfffe
	s_or_b32 s0, s1, s0
	s_barrier_wait -1
	s_wait_alu 0xfffe
	s_ashr_i32 s1, s0, 4
	global_inv scope:SCOPE_SE
	s_wait_alu 0xfffe
	s_or_b32 s0, s1, s0
	s_wait_alu 0xfffe
	s_ashr_i32 s1, s0, 8
	s_wait_alu 0xfffe
	s_or_b32 s0, s1, s0
	s_wait_alu 0xfffe
	s_ashr_i32 s1, s0, 16
	s_wait_alu 0xfffe
	s_or_b32 s1, s1, s0
	s_mov_b32 s0, -1
	s_wait_alu 0xfffe
	s_add_co_i32 s1, s1, 1
	s_wait_alu 0xfffe
	s_ashr_i32 s2, s1, 1
	s_wait_alu 0xfffe
	s_cmp_gt_i32 s2, 1
	s_cbranch_scc1 .LBB89_124
; %bb.116:
	s_mov_b32 s0, exec_lo
	v_cmpx_gt_i64_e64 s[18:19], v[6:7]
	s_cbranch_execz .LBB89_123
; %bb.117:
	s_sub_co_i32 s1, s12, s18
	v_dual_mov_b32 v9, v7 :: v_dual_mov_b32 v8, v6
	s_lshl_b32 s7, s4, 3
	s_wait_alu 0xfffe
	s_lshl_b32 s1, s1, 3
	s_mov_b32 s3, 0
	s_wait_alu 0xfffe
	s_addk_co_i32 s1, 0x2000
	s_sub_co_i32 s7, 0, s7
	s_branch .LBB89_119
.LBB89_118:                             ;   in Loop: Header=BB89_119 Depth=1
	s_wait_alu 0xfffe
	s_or_b32 exec_lo, exec_lo, s11
	v_lshl_add_u32 v2, v8, 3, s1
	v_add_co_u32 v4, vcc_lo, s20, v10
	s_wait_alu 0xfffd
	v_add_co_ci_u32_e64 v5, null, s21, v11, vcc_lo
	ds_load_2addr_b32 v[2:3], v2 offset1:1
	v_add_co_u32 v8, vcc_lo, v8, s6
	s_wait_alu 0xfffd
	v_add_co_ci_u32_e64 v9, null, 0, v9, vcc_lo
	s_delay_alu instid0(VALU_DEP_1)
	v_cmp_le_i64_e32 vcc_lo, s[18:19], v[8:9]
	s_or_b32 s3, vcc_lo, s3
	s_wait_dscnt 0x0
	v_dual_add_f32 v2, v16, v2 :: v_dual_add_f32 v3, v15, v3
	s_clause 0x1
	global_atomic_add_f32 v[4:5], v2, off scope:SCOPE_DEV
	global_atomic_add_f32 v[4:5], v3, off offset:4 scope:SCOPE_DEV
	s_wait_alu 0xfffe
	s_and_not1_b32 exec_lo, exec_lo, s3
	s_cbranch_execz .LBB89_123
.LBB89_119:                             ; =>This Loop Header: Depth=1
                                        ;     Child Loop BB89_121 Depth 2
	v_lshlrev_b64_e32 v[10:11], 3, v[8:9]
	v_dual_mov_b32 v15, 0 :: v_dual_mov_b32 v16, 0
	s_mov_b32 s11, exec_lo
	s_delay_alu instid0(VALU_DEP_2) | instskip(SKIP_1) | instid1(VALU_DEP_3)
	v_add_co_u32 v2, vcc_lo, s8, v10
	s_wait_alu 0xfffd
	v_add_co_ci_u32_e64 v3, null, s9, v11, vcc_lo
	global_load_b128 v[2:5], v[2:3], off
	s_wait_loadcnt 0x0
	v_cmpx_lt_i64_e64 v[2:3], v[4:5]
	s_cbranch_execz .LBB89_118
; %bb.120:                              ;   in Loop: Header=BB89_119 Depth=1
	v_sub_co_u32 v4, vcc_lo, v4, s4
	s_wait_alu 0xfffd
	v_subrev_co_ci_u32_e64 v5, null, s5, v5, vcc_lo
	v_sub_co_u32 v12, vcc_lo, v2, s4
	s_wait_alu 0xfffd
	v_subrev_co_ci_u32_e64 v13, null, s5, v3, vcc_lo
	s_wait_alu 0xfffe
	v_lshl_add_u32 v2, v2, 3, s7
	v_dual_mov_b32 v15, 0 :: v_dual_mov_b32 v16, 0
	s_mov_b32 s12, 0
.LBB89_121:                             ;   Parent Loop BB89_119 Depth=1
                                        ; =>  This Inner Loop Header: Depth=2
	ds_load_b64 v[17:18], v2
	v_add_co_u32 v12, vcc_lo, v12, 1
	s_wait_alu 0xfffd
	v_add_co_ci_u32_e64 v13, null, 0, v13, vcc_lo
	v_add_nc_u32_e32 v2, 8, v2
	s_delay_alu instid0(VALU_DEP_2)
	v_cmp_ge_i64_e32 vcc_lo, v[12:13], v[4:5]
	s_wait_alu 0xfffe
	s_or_b32 s12, vcc_lo, s12
	s_wait_dscnt 0x0
	v_dual_add_f32 v16, v16, v17 :: v_dual_add_f32 v15, v15, v18
	s_wait_alu 0xfffe
	s_and_not1_b32 exec_lo, exec_lo, s12
	s_cbranch_execnz .LBB89_121
; %bb.122:                              ;   in Loop: Header=BB89_119 Depth=1
	s_or_b32 exec_lo, exec_lo, s12
	s_branch .LBB89_118
.LBB89_123:
	s_wait_alu 0xfffe
	s_or_b32 exec_lo, exec_lo, s0
	s_mov_b32 s0, 0
.LBB89_124:
	s_wait_alu 0xfffe
	s_and_not1_b32 vcc_lo, exec_lo, s0
	s_wait_alu 0xfffe
	s_cbranch_vccnz .LBB89_141
; %bb.125:
	s_cvt_f32_u32 s0, s2
	s_sub_co_i32 s1, 0, s2
	s_wait_alu 0xfffe
	s_delay_alu instid0(SALU_CYCLE_1) | instskip(NEXT) | instid1(TRANS32_DEP_1)
	v_rcp_iflag_f32_e32 v2, s0
	v_readfirstlane_b32 s0, v2
	s_mul_f32 s0, s0, 0x4f7ffffe
	s_wait_alu 0xfffe
	s_delay_alu instid0(SALU_CYCLE_2) | instskip(SKIP_1) | instid1(SALU_CYCLE_2)
	s_cvt_u32_f32 s0, s0
	s_wait_alu 0xfffe
	s_mul_i32 s3, s1, s0
	s_wait_alu 0xfffe
	s_mul_hi_u32 s3, s0, s3
	s_wait_alu 0xfffe
	s_add_co_i32 s0, s0, s3
	s_mov_b32 s3, 0
	s_wait_alu 0xfffe
	v_mul_hi_u32 v2, v0, s0
	s_mov_b32 s0, exec_lo
	s_delay_alu instid0(VALU_DEP_1) | instskip(NEXT) | instid1(VALU_DEP_1)
	v_mul_lo_u32 v3, v2, s2
	v_sub_nc_u32_e32 v3, v0, v3
	s_delay_alu instid0(VALU_DEP_1) | instskip(SKIP_2) | instid1(VALU_DEP_2)
	v_subrev_nc_u32_e32 v5, s2, v3
	v_cmp_le_u32_e32 vcc_lo, s2, v3
	s_wait_alu 0xfffd
	v_dual_cndmask_b32 v3, v3, v5 :: v_dual_add_nc_u32 v4, 1, v2
	s_delay_alu instid0(VALU_DEP_1) | instskip(NEXT) | instid1(VALU_DEP_2)
	v_dual_cndmask_b32 v2, v2, v4 :: v_dual_mov_b32 v5, 0
	v_cmp_le_u32_e32 vcc_lo, s2, v3
	s_delay_alu instid0(VALU_DEP_2) | instskip(SKIP_1) | instid1(VALU_DEP_1)
	v_add_nc_u32_e32 v4, 1, v2
	s_wait_alu 0xfffd
	v_cndmask_b32_e32 v4, v2, v4, vcc_lo
	s_delay_alu instid0(VALU_DEP_1) | instskip(NEXT) | instid1(VALU_DEP_1)
	v_lshlrev_b64_e32 v[2:3], 3, v[4:5]
	v_add_co_u32 v2, vcc_lo, s26, v2
	s_wait_alu 0xfffd
	s_delay_alu instid0(VALU_DEP_2)
	v_add_co_ci_u32_e64 v3, null, s27, v3, vcc_lo
	global_load_b128 v[8:11], v[2:3], off
	s_wait_loadcnt 0x0
	v_sub_co_u32 v2, vcc_lo, v8, s4
	s_wait_alu 0xfffd
	v_subrev_co_ci_u32_e64 v3, null, s5, v9, vcc_lo
	v_sub_co_u32 v15, vcc_lo, v10, s4
	s_wait_alu 0xfffd
	v_subrev_co_ci_u32_e64 v16, null, s5, v11, vcc_lo
	v_mov_b32_e32 v8, v5
	s_delay_alu instid0(VALU_DEP_3) | instskip(SKIP_1) | instid1(VALU_DEP_3)
	v_sub_co_u32 v12, vcc_lo, v15, v2
	s_wait_alu 0xfffd
	v_sub_co_ci_u32_e64 v9, null, v16, v3, vcc_lo
                                        ; implicit-def: $vgpr10_vgpr11
	s_delay_alu instid0(VALU_DEP_1)
	v_cmpx_ne_u64_e32 0, v[8:9]
	s_wait_alu 0xfffe
	s_xor_b32 s6, exec_lo, s0
	s_cbranch_execz .LBB89_127
; %bb.126:
	s_add_nc_u64 s[4:5], s[2:3], 0
	s_mov_b32 s15, s3
	s_wait_alu 0xfffe
	s_xor_b64 s[4:5], s[4:5], 0
	s_mov_b32 s19, s3
	s_wait_alu 0xfffe
	s_cvt_f32_u32 s0, s4
	s_cvt_f32_u32 s7, s5
	s_sub_nc_u64 s[12:13], 0, s[4:5]
	v_ashrrev_i32_e32 v17, 31, v9
	s_wait_alu 0xfffe
	s_fmamk_f32 s0, s7, 0x4f800000, s0
	s_delay_alu instid0(VALU_DEP_1) | instskip(SKIP_1) | instid1(SALU_CYCLE_1)
	v_add_co_u32 v8, vcc_lo, v12, v17
	s_wait_alu 0xfffe
	v_s_rcp_f32 s0, s0
	s_wait_alu 0xfffd
	v_add_co_ci_u32_e64 v9, null, v9, v17, vcc_lo
	v_xor_b32_e32 v18, v8, v17
	s_delay_alu instid0(VALU_DEP_2) | instskip(NEXT) | instid1(TRANS32_DEP_1)
	v_xor_b32_e32 v19, v9, v17
	s_mul_f32 s0, s0, 0x5f7ffffc
	s_wait_alu 0xfffe
	s_delay_alu instid0(SALU_CYCLE_2) | instskip(SKIP_1) | instid1(SALU_CYCLE_2)
	s_mul_f32 s7, s0, 0x2f800000
	s_wait_alu 0xfffe
	s_trunc_f32 s7, s7
	s_wait_alu 0xfffe
	s_delay_alu instid0(SALU_CYCLE_2) | instskip(SKIP_2) | instid1(SALU_CYCLE_1)
	s_fmamk_f32 s0, s7, 0xcf800000, s0
	s_cvt_u32_f32 s9, s7
	s_wait_alu 0xfffe
	s_cvt_u32_f32 s8, s0
	s_wait_alu 0xfffe
	s_delay_alu instid0(SALU_CYCLE_2)
	s_mul_u64 s[16:17], s[12:13], s[8:9]
	s_wait_alu 0xfffe
	s_mul_hi_u32 s25, s8, s17
	s_mul_i32 s24, s8, s17
	s_mul_hi_u32 s14, s8, s16
	s_mul_i32 s7, s9, s16
	s_wait_alu 0xfffe
	s_add_nc_u64 s[14:15], s[14:15], s[24:25]
	s_mul_hi_u32 s0, s9, s16
	s_mul_hi_u32 s11, s9, s17
	s_wait_alu 0xfffe
	s_add_co_u32 s7, s14, s7
	s_add_co_ci_u32 s18, s15, s0
	s_mul_i32 s16, s9, s17
	s_add_co_ci_u32 s17, s11, 0
	s_wait_alu 0xfffe
	s_add_nc_u64 s[14:15], s[18:19], s[16:17]
	s_mov_b32 s17, s3
	s_wait_alu 0xfffe
	s_add_co_u32 s8, s8, s14
	s_cselect_b32 s0, -1, 0
	s_wait_alu 0xfffe
	s_cmp_lg_u32 s0, 0
	s_add_co_ci_u32 s9, s9, s15
	s_mov_b32 s15, s3
	s_wait_alu 0xfffe
	s_mul_u64 s[12:13], s[12:13], s[8:9]
	s_wait_alu 0xfffe
	s_mul_hi_u32 s19, s8, s13
	s_mul_i32 s18, s8, s13
	s_mul_hi_u32 s16, s8, s12
	s_mul_i32 s3, s9, s12
	s_wait_alu 0xfffe
	s_add_nc_u64 s[16:17], s[16:17], s[18:19]
	s_mul_hi_u32 s0, s9, s12
	s_mul_hi_u32 s7, s9, s13
	s_wait_alu 0xfffe
	s_add_co_u32 s3, s16, s3
	s_add_co_ci_u32 s14, s17, s0
	s_mul_i32 s12, s9, s13
	s_add_co_ci_u32 s13, s7, 0
	s_wait_alu 0xfffe
	s_add_nc_u64 s[12:13], s[14:15], s[12:13]
	s_wait_alu 0xfffe
	s_add_co_u32 s0, s8, s12
	s_cselect_b32 s3, -1, 0
	s_wait_alu 0xfffe
	v_mul_hi_u32 v20, v18, s0
	s_cmp_lg_u32 s3, 0
	v_mad_co_u64_u32 v[10:11], null, v19, s0, 0
	s_add_co_ci_u32 s3, s9, s13
	s_wait_alu 0xfffe
	v_mad_co_u64_u32 v[8:9], null, v18, s3, 0
	v_mad_co_u64_u32 v[12:13], null, v19, s3, 0
	s_delay_alu instid0(VALU_DEP_2) | instskip(SKIP_1) | instid1(VALU_DEP_3)
	v_add_co_u32 v8, vcc_lo, v20, v8
	s_wait_alu 0xfffd
	v_add_co_ci_u32_e64 v9, null, 0, v9, vcc_lo
	s_delay_alu instid0(VALU_DEP_2) | instskip(SKIP_1) | instid1(VALU_DEP_2)
	v_add_co_u32 v8, vcc_lo, v8, v10
	s_wait_alu 0xfffd
	v_add_co_ci_u32_e32 v8, vcc_lo, v9, v11, vcc_lo
	s_wait_alu 0xfffd
	v_add_co_ci_u32_e32 v9, vcc_lo, 0, v13, vcc_lo
	s_delay_alu instid0(VALU_DEP_2) | instskip(SKIP_1) | instid1(VALU_DEP_2)
	v_add_co_u32 v10, vcc_lo, v8, v12
	s_wait_alu 0xfffd
	v_add_co_ci_u32_e64 v11, null, 0, v9, vcc_lo
	s_delay_alu instid0(VALU_DEP_2) | instskip(SKIP_1) | instid1(VALU_DEP_3)
	v_mul_lo_u32 v12, s5, v10
	v_mad_co_u64_u32 v[8:9], null, s4, v10, 0
	v_mul_lo_u32 v13, s4, v11
	s_delay_alu instid0(VALU_DEP_2) | instskip(NEXT) | instid1(VALU_DEP_2)
	v_sub_co_u32 v8, vcc_lo, v18, v8
	v_add3_u32 v9, v9, v13, v12
	v_add_co_u32 v13, s0, v10, 2
	s_wait_alu 0xf1ff
	v_add_co_ci_u32_e64 v18, null, 0, v11, s0
	s_delay_alu instid0(VALU_DEP_3) | instskip(SKIP_3) | instid1(VALU_DEP_3)
	v_sub_nc_u32_e32 v12, v19, v9
	v_sub_co_u32 v20, s0, v8, s4
	s_wait_alu 0xfffd
	v_sub_co_ci_u32_e64 v9, null, v19, v9, vcc_lo
	v_subrev_co_ci_u32_e64 v12, null, s5, v12, vcc_lo
	s_delay_alu instid0(VALU_DEP_3) | instskip(SKIP_1) | instid1(VALU_DEP_2)
	v_cmp_le_u32_e32 vcc_lo, s4, v20
	s_wait_alu 0xf1ff
	v_subrev_co_ci_u32_e64 v12, null, 0, v12, s0
	s_wait_alu 0xfffd
	v_cndmask_b32_e64 v19, 0, -1, vcc_lo
	v_cmp_eq_u32_e64 s0, s5, v9
	s_delay_alu instid0(VALU_DEP_3)
	v_cmp_le_u32_e32 vcc_lo, s5, v12
	s_wait_alu 0xfffd
	v_cndmask_b32_e64 v20, 0, -1, vcc_lo
	v_cmp_le_u32_e32 vcc_lo, s4, v8
	s_wait_alu 0xfffd
	v_cndmask_b32_e64 v8, 0, -1, vcc_lo
	;; [unrolled: 3-line block ×3, first 2 shown]
	v_cmp_eq_u32_e32 vcc_lo, s5, v12
	s_wait_alu 0xf1ff
	s_delay_alu instid0(VALU_DEP_2)
	v_cndmask_b32_e64 v8, v21, v8, s0
	s_wait_alu 0xfffd
	v_cndmask_b32_e32 v12, v20, v19, vcc_lo
	v_add_co_u32 v19, vcc_lo, v10, 1
	s_wait_alu 0xfffd
	v_add_co_ci_u32_e64 v20, null, 0, v11, vcc_lo
	s_delay_alu instid0(VALU_DEP_3) | instskip(SKIP_1) | instid1(VALU_DEP_2)
	v_cmp_ne_u32_e32 vcc_lo, 0, v12
	s_wait_alu 0xfffd
	v_dual_cndmask_b32 v9, v20, v18 :: v_dual_cndmask_b32 v12, v19, v13
	v_cmp_ne_u32_e32 vcc_lo, 0, v8
	s_wait_alu 0xfffd
	s_delay_alu instid0(VALU_DEP_2) | instskip(NEXT) | instid1(VALU_DEP_1)
	v_dual_cndmask_b32 v8, v11, v9 :: v_dual_cndmask_b32 v9, v10, v12
                                        ; implicit-def: $vgpr12
	v_xor_b32_e32 v8, v8, v17
	s_delay_alu instid0(VALU_DEP_2) | instskip(NEXT) | instid1(VALU_DEP_1)
	v_xor_b32_e32 v9, v9, v17
	v_sub_co_u32 v10, vcc_lo, v9, v17
	s_wait_alu 0xfffd
	s_delay_alu instid0(VALU_DEP_3)
	v_sub_co_ci_u32_e64 v11, null, v8, v17, vcc_lo
.LBB89_127:
	s_wait_alu 0xfffe
	s_and_not1_saveexec_b32 s0, s6
	s_cbranch_execz .LBB89_129
; %bb.128:
	v_cvt_f32_u32_e32 v8, s2
	s_delay_alu instid0(VALU_DEP_1) | instskip(NEXT) | instid1(TRANS32_DEP_1)
	v_rcp_iflag_f32_e32 v8, v8
	v_mul_f32_e32 v8, 0x4f7ffffe, v8
	s_delay_alu instid0(VALU_DEP_1) | instskip(NEXT) | instid1(VALU_DEP_1)
	v_cvt_u32_f32_e32 v8, v8
	v_mul_lo_u32 v9, s1, v8
	s_delay_alu instid0(VALU_DEP_1) | instskip(NEXT) | instid1(VALU_DEP_1)
	v_mul_hi_u32 v9, v8, v9
	v_add_nc_u32_e32 v8, v8, v9
	s_delay_alu instid0(VALU_DEP_1) | instskip(NEXT) | instid1(VALU_DEP_1)
	v_mul_hi_u32 v8, v12, v8
	v_mul_lo_u32 v9, v8, s2
	v_add_nc_u32_e32 v10, 1, v8
	s_delay_alu instid0(VALU_DEP_2) | instskip(NEXT) | instid1(VALU_DEP_1)
	v_sub_nc_u32_e32 v9, v12, v9
	v_subrev_nc_u32_e32 v11, s2, v9
	v_cmp_le_u32_e32 vcc_lo, s2, v9
	s_wait_alu 0xfffd
	s_delay_alu instid0(VALU_DEP_2) | instskip(SKIP_1) | instid1(VALU_DEP_2)
	v_dual_cndmask_b32 v9, v9, v11 :: v_dual_cndmask_b32 v8, v8, v10
	v_mov_b32_e32 v11, 0
	v_cmp_le_u32_e32 vcc_lo, s2, v9
	s_delay_alu instid0(VALU_DEP_3) | instskip(SKIP_1) | instid1(VALU_DEP_1)
	v_add_nc_u32_e32 v10, 1, v8
	s_wait_alu 0xfffd
	v_cndmask_b32_e32 v10, v8, v10, vcc_lo
.LBB89_129:
	s_wait_alu 0xfffe
	s_or_b32 exec_lo, exec_lo, s0
	v_cmp_gt_i64_e32 vcc_lo, s[22:23], v[4:5]
	v_dual_mov_b32 v5, 0 :: v_dual_mov_b32 v4, 0
	s_and_saveexec_b32 s0, vcc_lo
	s_cbranch_execz .LBB89_137
; %bb.130:
	s_add_co_i32 s1, s2, -1
	s_wait_alu 0xfffe
	v_dual_mov_b32 v5, 0 :: v_dual_and_b32 v8, s1, v0
	s_mov_b32 s1, exec_lo
	s_delay_alu instid0(VALU_DEP_1)
	v_dual_mov_b32 v4, 0 :: v_dual_lshlrev_b32 v17, 3, v8
	v_cmpx_lt_i64_e32 0, v[10:11]
	s_cbranch_execz .LBB89_134
; %bb.131:
	v_mov_b32_e32 v5, 0
	v_mov_b32_e32 v13, v11
	v_lshl_add_u32 v9, v2, 3, v17
	v_mov_b32_e32 v12, v10
	s_lshl_b32 s4, s2, 3
	v_mov_b32_e32 v4, v5
	s_mov_b32 s3, 0
.LBB89_132:                             ; =>This Inner Loop Header: Depth=1
	ds_load_b64 v[18:19], v9
	v_add_co_u32 v12, vcc_lo, v12, -1
	s_wait_alu 0xfffd
	v_add_co_ci_u32_e64 v13, null, -1, v13, vcc_lo
	s_wait_alu 0xfffe
	v_add_nc_u32_e32 v9, s4, v9
	s_delay_alu instid0(VALU_DEP_2)
	v_cmp_eq_u64_e32 vcc_lo, 0, v[12:13]
	s_or_b32 s3, vcc_lo, s3
	s_wait_dscnt 0x0
	v_dual_add_f32 v4, v4, v18 :: v_dual_add_f32 v5, v5, v19
	s_wait_alu 0xfffe
	s_and_not1_b32 exec_lo, exec_lo, s3
	s_cbranch_execnz .LBB89_132
; %bb.133:
	s_or_b32 exec_lo, exec_lo, s3
.LBB89_134:
	s_wait_alu 0xfffe
	s_or_b32 exec_lo, exec_lo, s1
	v_mad_co_u64_u32 v[2:3], null, v10, s2, v[2:3]
	v_mov_b32_e32 v9, 0
	s_mov_b32 s1, exec_lo
	s_delay_alu instid0(VALU_DEP_2) | instskip(NEXT) | instid1(VALU_DEP_3)
	v_mad_co_u64_u32 v[10:11], null, v11, s2, v[3:4]
	v_sub_co_u32 v11, vcc_lo, v15, v2
	s_wait_alu 0xfffd
	s_delay_alu instid0(VALU_DEP_2) | instskip(NEXT) | instid1(VALU_DEP_1)
	v_sub_co_ci_u32_e64 v12, null, v16, v10, vcc_lo
	v_cmpx_gt_i64_e64 v[11:12], v[8:9]
	s_cbranch_execz .LBB89_136
; %bb.135:
	v_lshl_add_u32 v2, v2, 3, v17
	ds_load_b64 v[2:3], v2
	s_wait_dscnt 0x0
	v_dual_add_f32 v4, v4, v2 :: v_dual_add_f32 v5, v5, v3
.LBB89_136:
	s_wait_alu 0xfffe
	s_or_b32 exec_lo, exec_lo, s1
.LBB89_137:
	s_wait_alu 0xfffe
	s_or_b32 exec_lo, exec_lo, s0
	v_cmp_gt_i64_e32 vcc_lo, s[22:23], v[0:1]
	s_wait_storecnt 0x0
	s_barrier_signal -1
	s_barrier_wait -1
	global_inv scope:SCOPE_SE
	ds_store_b64 v14, v[4:5]
	s_wait_loadcnt_dscnt 0x0
	s_barrier_signal -1
	s_barrier_wait -1
	global_inv scope:SCOPE_SE
	s_and_b32 exec_lo, exec_lo, vcc_lo
	s_cbranch_execz .LBB89_141
; %bb.138:
	v_mul_lo_u32 v2, s2, v0
	v_mov_b32_e32 v1, 0
	s_delay_alu instid0(VALU_DEP_2)
	v_dual_mov_b32 v2, 0 :: v_dual_lshlrev_b32 v3, 3, v2
.LBB89_139:                             ; =>This Inner Loop Header: Depth=1
	ds_load_b64 v[4:5], v3
	v_add_nc_u32_e32 v3, 8, v3
	s_add_co_i32 s2, s2, -1
	s_wait_alu 0xfffe
	s_cmp_eq_u32 s2, 0
	s_wait_dscnt 0x0
	v_dual_add_f32 v2, v2, v4 :: v_dual_add_f32 v1, v1, v5
	s_cbranch_scc0 .LBB89_139
; %bb.140:
	v_lshlrev_b32_e32 v0, 3, v0
	s_lshl_b32 s0, s10, 3
	v_lshlrev_b64_e32 v[5:6], 3, v[6:7]
	s_wait_alu 0xfffe
	s_delay_alu instid0(VALU_DEP_2)
	v_add3_u32 v0, 0x2000, s0, v0
	ds_load_2addr_b32 v[3:4], v0 offset1:1
	s_wait_dscnt 0x0
	v_dual_add_f32 v0, v2, v3 :: v_dual_add_f32 v1, v1, v4
	v_add_co_u32 v2, vcc_lo, s20, v5
	s_wait_alu 0xfffd
	v_add_co_ci_u32_e64 v3, null, s21, v6, vcc_lo
	s_clause 0x1
	global_atomic_add_f32 v[2:3], v0, off scope:SCOPE_DEV
	global_atomic_add_f32 v[2:3], v1, off offset:4 scope:SCOPE_DEV
.LBB89_141:
	s_endpgm
	.section	.rodata,"a",@progbits
	.p2align	6, 0x0
	.amdhsa_kernel _ZN9rocsparseL27csrmvn_symm_adaptive_kernelIllf21rocsparse_complex_numIfES2_S2_EEvbT_S3_PKS3_NS_24const_host_device_scalarIT4_EES5_PKT0_PKT1_PKT2_S8_PT3_21rocsparse_index_base_b
		.amdhsa_group_segment_fixed_size 8192
		.amdhsa_private_segment_fixed_size 0
		.amdhsa_kernarg_size 352
		.amdhsa_user_sgpr_count 2
		.amdhsa_user_sgpr_dispatch_ptr 0
		.amdhsa_user_sgpr_queue_ptr 0
		.amdhsa_user_sgpr_kernarg_segment_ptr 1
		.amdhsa_user_sgpr_dispatch_id 0
		.amdhsa_user_sgpr_private_segment_size 0
		.amdhsa_wavefront_size32 1
		.amdhsa_uses_dynamic_stack 0
		.amdhsa_enable_private_segment 0
		.amdhsa_system_sgpr_workgroup_id_x 1
		.amdhsa_system_sgpr_workgroup_id_y 0
		.amdhsa_system_sgpr_workgroup_id_z 0
		.amdhsa_system_sgpr_workgroup_info 0
		.amdhsa_system_vgpr_workitem_id 0
		.amdhsa_next_free_vgpr 22
		.amdhsa_next_free_sgpr 42
		.amdhsa_reserve_vcc 1
		.amdhsa_float_round_mode_32 0
		.amdhsa_float_round_mode_16_64 0
		.amdhsa_float_denorm_mode_32 3
		.amdhsa_float_denorm_mode_16_64 3
		.amdhsa_fp16_overflow 0
		.amdhsa_workgroup_processor_mode 1
		.amdhsa_memory_ordered 1
		.amdhsa_forward_progress 1
		.amdhsa_inst_pref_size 83
		.amdhsa_round_robin_scheduling 0
		.amdhsa_exception_fp_ieee_invalid_op 0
		.amdhsa_exception_fp_denorm_src 0
		.amdhsa_exception_fp_ieee_div_zero 0
		.amdhsa_exception_fp_ieee_overflow 0
		.amdhsa_exception_fp_ieee_underflow 0
		.amdhsa_exception_fp_ieee_inexact 0
		.amdhsa_exception_int_div_zero 0
	.end_amdhsa_kernel
	.section	.text._ZN9rocsparseL27csrmvn_symm_adaptive_kernelIllf21rocsparse_complex_numIfES2_S2_EEvbT_S3_PKS3_NS_24const_host_device_scalarIT4_EES5_PKT0_PKT1_PKT2_S8_PT3_21rocsparse_index_base_b,"axG",@progbits,_ZN9rocsparseL27csrmvn_symm_adaptive_kernelIllf21rocsparse_complex_numIfES2_S2_EEvbT_S3_PKS3_NS_24const_host_device_scalarIT4_EES5_PKT0_PKT1_PKT2_S8_PT3_21rocsparse_index_base_b,comdat
.Lfunc_end89:
	.size	_ZN9rocsparseL27csrmvn_symm_adaptive_kernelIllf21rocsparse_complex_numIfES2_S2_EEvbT_S3_PKS3_NS_24const_host_device_scalarIT4_EES5_PKT0_PKT1_PKT2_S8_PT3_21rocsparse_index_base_b, .Lfunc_end89-_ZN9rocsparseL27csrmvn_symm_adaptive_kernelIllf21rocsparse_complex_numIfES2_S2_EEvbT_S3_PKS3_NS_24const_host_device_scalarIT4_EES5_PKT0_PKT1_PKT2_S8_PT3_21rocsparse_index_base_b
                                        ; -- End function
	.set _ZN9rocsparseL27csrmvn_symm_adaptive_kernelIllf21rocsparse_complex_numIfES2_S2_EEvbT_S3_PKS3_NS_24const_host_device_scalarIT4_EES5_PKT0_PKT1_PKT2_S8_PT3_21rocsparse_index_base_b.num_vgpr, 22
	.set _ZN9rocsparseL27csrmvn_symm_adaptive_kernelIllf21rocsparse_complex_numIfES2_S2_EEvbT_S3_PKS3_NS_24const_host_device_scalarIT4_EES5_PKT0_PKT1_PKT2_S8_PT3_21rocsparse_index_base_b.num_agpr, 0
	.set _ZN9rocsparseL27csrmvn_symm_adaptive_kernelIllf21rocsparse_complex_numIfES2_S2_EEvbT_S3_PKS3_NS_24const_host_device_scalarIT4_EES5_PKT0_PKT1_PKT2_S8_PT3_21rocsparse_index_base_b.numbered_sgpr, 42
	.set _ZN9rocsparseL27csrmvn_symm_adaptive_kernelIllf21rocsparse_complex_numIfES2_S2_EEvbT_S3_PKS3_NS_24const_host_device_scalarIT4_EES5_PKT0_PKT1_PKT2_S8_PT3_21rocsparse_index_base_b.num_named_barrier, 0
	.set _ZN9rocsparseL27csrmvn_symm_adaptive_kernelIllf21rocsparse_complex_numIfES2_S2_EEvbT_S3_PKS3_NS_24const_host_device_scalarIT4_EES5_PKT0_PKT1_PKT2_S8_PT3_21rocsparse_index_base_b.private_seg_size, 0
	.set _ZN9rocsparseL27csrmvn_symm_adaptive_kernelIllf21rocsparse_complex_numIfES2_S2_EEvbT_S3_PKS3_NS_24const_host_device_scalarIT4_EES5_PKT0_PKT1_PKT2_S8_PT3_21rocsparse_index_base_b.uses_vcc, 1
	.set _ZN9rocsparseL27csrmvn_symm_adaptive_kernelIllf21rocsparse_complex_numIfES2_S2_EEvbT_S3_PKS3_NS_24const_host_device_scalarIT4_EES5_PKT0_PKT1_PKT2_S8_PT3_21rocsparse_index_base_b.uses_flat_scratch, 0
	.set _ZN9rocsparseL27csrmvn_symm_adaptive_kernelIllf21rocsparse_complex_numIfES2_S2_EEvbT_S3_PKS3_NS_24const_host_device_scalarIT4_EES5_PKT0_PKT1_PKT2_S8_PT3_21rocsparse_index_base_b.has_dyn_sized_stack, 0
	.set _ZN9rocsparseL27csrmvn_symm_adaptive_kernelIllf21rocsparse_complex_numIfES2_S2_EEvbT_S3_PKS3_NS_24const_host_device_scalarIT4_EES5_PKT0_PKT1_PKT2_S8_PT3_21rocsparse_index_base_b.has_recursion, 0
	.set _ZN9rocsparseL27csrmvn_symm_adaptive_kernelIllf21rocsparse_complex_numIfES2_S2_EEvbT_S3_PKS3_NS_24const_host_device_scalarIT4_EES5_PKT0_PKT1_PKT2_S8_PT3_21rocsparse_index_base_b.has_indirect_call, 0
	.section	.AMDGPU.csdata,"",@progbits
; Kernel info:
; codeLenInByte = 10604
; TotalNumSgprs: 44
; NumVgprs: 22
; ScratchSize: 0
; MemoryBound: 0
; FloatMode: 240
; IeeeMode: 1
; LDSByteSize: 8192 bytes/workgroup (compile time only)
; SGPRBlocks: 0
; VGPRBlocks: 2
; NumSGPRsForWavesPerEU: 44
; NumVGPRsForWavesPerEU: 22
; Occupancy: 16
; WaveLimiterHint : 1
; COMPUTE_PGM_RSRC2:SCRATCH_EN: 0
; COMPUTE_PGM_RSRC2:USER_SGPR: 2
; COMPUTE_PGM_RSRC2:TRAP_HANDLER: 0
; COMPUTE_PGM_RSRC2:TGID_X_EN: 1
; COMPUTE_PGM_RSRC2:TGID_Y_EN: 0
; COMPUTE_PGM_RSRC2:TGID_Z_EN: 0
; COMPUTE_PGM_RSRC2:TIDIG_COMP_CNT: 0
	.section	.text._ZL33csrmvn_symm_large_adaptive_kernelIllf21rocsparse_complex_numIfES1_S1_EvbT_PKS2_N9rocsparse24const_host_device_scalarIT4_EES4_PKT0_PKT1_PKT2_S8_PT3_21rocsparse_index_base_b,"axG",@progbits,_ZL33csrmvn_symm_large_adaptive_kernelIllf21rocsparse_complex_numIfES1_S1_EvbT_PKS2_N9rocsparse24const_host_device_scalarIT4_EES4_PKT0_PKT1_PKT2_S8_PT3_21rocsparse_index_base_b,comdat
	.globl	_ZL33csrmvn_symm_large_adaptive_kernelIllf21rocsparse_complex_numIfES1_S1_EvbT_PKS2_N9rocsparse24const_host_device_scalarIT4_EES4_PKT0_PKT1_PKT2_S8_PT3_21rocsparse_index_base_b ; -- Begin function _ZL33csrmvn_symm_large_adaptive_kernelIllf21rocsparse_complex_numIfES1_S1_EvbT_PKS2_N9rocsparse24const_host_device_scalarIT4_EES4_PKT0_PKT1_PKT2_S8_PT3_21rocsparse_index_base_b
	.p2align	8
	.type	_ZL33csrmvn_symm_large_adaptive_kernelIllf21rocsparse_complex_numIfES1_S1_EvbT_PKS2_N9rocsparse24const_host_device_scalarIT4_EES4_PKT0_PKT1_PKT2_S8_PT3_21rocsparse_index_base_b,@function
_ZL33csrmvn_symm_large_adaptive_kernelIllf21rocsparse_complex_numIfES1_S1_EvbT_PKS2_N9rocsparse24const_host_device_scalarIT4_EES4_PKT0_PKT1_PKT2_S8_PT3_21rocsparse_index_base_b: ; @_ZL33csrmvn_symm_large_adaptive_kernelIllf21rocsparse_complex_numIfES1_S1_EvbT_PKS2_N9rocsparse24const_host_device_scalarIT4_EES4_PKT0_PKT1_PKT2_S8_PT3_21rocsparse_index_base_b
; %bb.0:
	s_clause 0x1
	s_load_b64 s[6:7], s[0:1], 0x50
	s_load_b64 s[4:5], s[0:1], 0x18
	s_add_nc_u64 s[8:9], s[0:1], 24
	s_wait_kmcnt 0x0
	s_bitcmp1_b32 s7, 0
	s_cselect_b32 s3, -1, 0
	s_delay_alu instid0(SALU_CYCLE_1) | instskip(SKIP_2) | instid1(SALU_CYCLE_1)
	s_and_b32 s2, s3, exec_lo
	s_cselect_b32 s2, s8, s4
	s_cselect_b32 s4, s9, s5
	v_dual_mov_b32 v1, s2 :: v_dual_mov_b32 v2, s4
	flat_load_b64 v[1:2], v[1:2]
	s_wait_loadcnt_dscnt 0x0
	v_cmp_eq_f32_e32 vcc_lo, 0, v1
	v_cmp_eq_f32_e64 s2, 0, v2
	s_and_b32 s5, vcc_lo, s2
	s_mov_b32 s2, -1
	s_wait_alu 0xfffe
	s_and_saveexec_b32 s4, s5
	s_cbranch_execz .LBB90_2
; %bb.1:
	s_load_b64 s[8:9], s[0:1], 0x40
	s_add_nc_u64 s[10:11], s[0:1], 64
	s_and_b32 s2, s3, exec_lo
	s_wait_kmcnt 0x0
	s_cselect_b32 s2, s10, s8
	s_cselect_b32 s3, s11, s9
	s_wait_alu 0xfffe
	v_dual_mov_b32 v3, s2 :: v_dual_mov_b32 v4, s3
	flat_load_b64 v[3:4], v[3:4]
	s_wait_loadcnt_dscnt 0x0
	v_cmp_neq_f32_e32 vcc_lo, 1.0, v3
	v_cmp_neq_f32_e64 s2, 0, v4
	s_or_b32 s2, vcc_lo, s2
	s_wait_alu 0xfffe
	s_or_not1_b32 s2, s2, exec_lo
.LBB90_2:
	s_wait_alu 0xfffe
	s_or_b32 exec_lo, exec_lo, s4
	s_and_saveexec_b32 s3, s2
	s_cbranch_execz .LBB90_38
; %bb.3:
	s_load_b64 s[4:5], s[0:1], 0x10
	s_mov_b32 s22, 0
	s_mov_b32 s2, ttmp9
	s_mov_b32 s23, s22
	v_dual_mov_b32 v3, s22 :: v_dual_mov_b32 v14, 0
	s_ashr_i32 s3, ttmp9, 31
	v_dual_mov_b32 v4, s23 :: v_dual_lshlrev_b32 v11, 3, v0
	s_wait_alu 0xfffe
	s_lshl_b64 s[2:3], s[2:3], 3
	ds_store_2addr_stride64_b64 v11, v[3:4], v[3:4] offset1:4
	ds_store_2addr_stride64_b64 v11, v[3:4], v[3:4] offset0:8 offset1:12
	s_wait_dscnt 0x0
	s_barrier_signal -1
	s_barrier_wait -1
	global_inv scope:SCOPE_SE
	s_mov_b32 s7, s22
	s_wait_kmcnt 0x0
	s_wait_alu 0xfffe
	s_add_nc_u64 s[2:3], s[4:5], s[2:3]
	s_load_b128 s[16:19], s[2:3], 0x0
	s_clause 0x1
	s_load_b256 s[8:15], s[0:1], 0x20
	s_load_b64 s[20:21], s[0:1], 0x48
	v_sub_co_u32 v12, s1, v0, s6
	s_delay_alu instid0(VALU_DEP_1)
	v_sub_co_ci_u32_e64 v13, null, 0, 0, s1
	s_wait_kmcnt 0x0
	v_cmp_ge_i64_e64 s0, s[16:17], s[18:19]
	s_and_b32 vcc_lo, exec_lo, s0
	s_cbranch_vccnz .LBB90_29
; %bb.4:
	v_cmp_gt_u32_e64 s0, 0x100, v0
	v_cmp_gt_u32_e64 s1, 64, v0
	;; [unrolled: 1-line block ×4, first 2 shown]
	v_cmp_eq_u32_e64 s4, 0, v0
	s_mov_b64 s[22:23], s[16:17]
	s_branch .LBB90_6
.LBB90_5:                               ;   in Loop: Header=BB90_6 Depth=1
	s_wait_alu 0xfffe
	s_or_b32 exec_lo, exec_lo, s5
	s_add_nc_u64 s[22:23], s[22:23], 1
	s_wait_alu 0xfffe
	v_cmp_ge_i64_e64 s5, s[22:23], s[18:19]
	s_and_b32 vcc_lo, exec_lo, s5
	s_wait_alu 0xfffe
	s_cbranch_vccnz .LBB90_29
.LBB90_6:                               ; =>This Loop Header: Depth=1
                                        ;     Child Loop BB90_8 Depth 2
                                        ;     Child Loop BB90_22 Depth 2
	;; [unrolled: 1-line block ×3, first 2 shown]
	s_wait_alu 0xfffe
	s_lshl_b64 s[24:25], s[22:23], 3
	v_dual_mov_b32 v6, 0 :: v_dual_mov_b32 v5, 0
	s_add_nc_u64 s[26:27], s[8:9], s[24:25]
	s_load_b128 s[28:31], s[26:27], 0x0
	s_wait_kmcnt 0x0
	v_add_co_u32 v3, vcc_lo, s28, v12
	s_wait_alu 0xfffd
	v_add_co_ci_u32_e64 v4, null, s29, v13, vcc_lo
	s_sub_nc_u64 s[26:27], s[30:31], s[6:7]
	s_mov_b32 s28, exec_lo
	s_wait_alu 0xfffe
	v_cmpx_gt_i64_e64 s[26:27], v[3:4]
	s_cbranch_execz .LBB90_10
; %bb.7:                                ;   in Loop: Header=BB90_6 Depth=1
	v_lshlrev_b64_e32 v[7:8], 3, v[3:4]
	v_lshlrev_b64_e32 v[9:10], 2, v[3:4]
	v_mov_b32_e32 v6, 0
	s_mov_b32 s29, 0
	s_delay_alu instid0(VALU_DEP_3)
	v_add_co_u32 v7, vcc_lo, s10, v7
	s_wait_alu 0xfffd
	v_add_co_ci_u32_e64 v8, null, s11, v8, vcc_lo
	v_add_co_u32 v9, vcc_lo, s12, v9
	s_wait_alu 0xfffd
	v_add_co_ci_u32_e64 v10, null, s13, v10, vcc_lo
	v_mov_b32_e32 v5, v6
.LBB90_8:                               ;   Parent Loop BB90_6 Depth=1
                                        ; =>  This Inner Loop Header: Depth=2
	global_load_b64 v[15:16], v[7:8], off
	s_wait_loadcnt 0x0
	v_sub_co_u32 v15, vcc_lo, v15, s6
	s_wait_alu 0xfffd
	v_subrev_co_ci_u32_e64 v16, null, 0, v16, vcc_lo
	s_delay_alu instid0(VALU_DEP_1) | instskip(NEXT) | instid1(VALU_DEP_1)
	v_lshlrev_b64_e32 v[15:16], 3, v[15:16]
	v_add_co_u32 v15, vcc_lo, s14, v15
	s_wait_alu 0xfffd
	s_delay_alu instid0(VALU_DEP_2)
	v_add_co_ci_u32_e64 v16, null, s15, v16, vcc_lo
	v_add_co_u32 v3, vcc_lo, 0x100, v3
	global_load_b32 v0, v[9:10], off
	global_load_b64 v[15:16], v[15:16], off
	s_wait_alu 0xfffd
	v_add_co_ci_u32_e64 v4, null, 0, v4, vcc_lo
	v_add_co_u32 v7, vcc_lo, 0x800, v7
	s_wait_alu 0xfffd
	v_add_co_ci_u32_e64 v8, null, 0, v8, vcc_lo
	s_delay_alu instid0(VALU_DEP_3) | instskip(SKIP_4) | instid1(VALU_DEP_3)
	v_cmp_le_i64_e64 s5, s[26:27], v[3:4]
	v_add_co_u32 v9, vcc_lo, 0x400, v9
	s_wait_alu 0xfffd
	v_add_co_ci_u32_e64 v10, null, 0, v10, vcc_lo
	s_wait_alu 0xfffe
	s_or_b32 s29, s5, s29
	s_wait_loadcnt 0x0
	v_fmac_f32_e32 v5, v0, v15
	s_delay_alu instid0(VALU_DEP_1) | instskip(NEXT) | instid1(VALU_DEP_1)
	v_dual_fmac_f32 v6, 0, v15 :: v_dual_fmac_f32 v5, 0x80000000, v16
	v_fmac_f32_e32 v6, v0, v16
	s_wait_alu 0xfffe
	s_and_not1_b32 exec_lo, exec_lo, s29
	s_cbranch_execnz .LBB90_8
; %bb.9:                                ;   in Loop: Header=BB90_6 Depth=1
	s_or_b32 exec_lo, exec_lo, s29
.LBB90_10:                              ;   in Loop: Header=BB90_6 Depth=1
	s_wait_alu 0xfffe
	s_or_b32 exec_lo, exec_lo, s28
	ds_store_b64 v11, v[5:6]
	s_wait_loadcnt_dscnt 0x0
	s_barrier_signal -1
	s_barrier_wait -1
	global_inv scope:SCOPE_SE
	s_and_saveexec_b32 s5, s0
	s_cbranch_execz .LBB90_12
; %bb.11:                               ;   in Loop: Header=BB90_6 Depth=1
	ds_load_2addr_stride64_b64 v[3:6], v11 offset1:4
	ds_load_2addr_stride64_b64 v[7:10], v11 offset0:8 offset1:12
	s_wait_dscnt 0x0
	v_dual_add_f32 v0, v7, v5 :: v_dual_add_f32 v5, v8, v6
	s_delay_alu instid0(VALU_DEP_1) | instskip(NEXT) | instid1(VALU_DEP_1)
	v_dual_add_f32 v0, v9, v0 :: v_dual_add_f32 v5, v10, v5
	v_dual_add_f32 v3, v0, v3 :: v_dual_add_f32 v4, v5, v4
	ds_store_b64 v11, v[3:4]
.LBB90_12:                              ;   in Loop: Header=BB90_6 Depth=1
	s_wait_alu 0xfffe
	s_or_b32 exec_lo, exec_lo, s5
	s_wait_loadcnt_dscnt 0x0
	s_barrier_signal -1
	s_barrier_wait -1
	global_inv scope:SCOPE_SE
	s_and_saveexec_b32 s5, s1
	s_cbranch_execz .LBB90_14
; %bb.13:                               ;   in Loop: Header=BB90_6 Depth=1
	ds_load_2addr_stride64_b64 v[3:6], v11 offset1:1
	ds_load_2addr_stride64_b64 v[7:10], v11 offset0:2 offset1:3
	s_wait_dscnt 0x0
	v_dual_add_f32 v0, v7, v5 :: v_dual_add_f32 v5, v8, v6
	s_delay_alu instid0(VALU_DEP_1) | instskip(NEXT) | instid1(VALU_DEP_1)
	v_dual_add_f32 v0, v9, v0 :: v_dual_add_f32 v5, v10, v5
	v_dual_add_f32 v3, v0, v3 :: v_dual_add_f32 v4, v5, v4
	ds_store_b64 v11, v[3:4]
.LBB90_14:                              ;   in Loop: Header=BB90_6 Depth=1
	s_wait_alu 0xfffe
	s_or_b32 exec_lo, exec_lo, s5
	s_wait_loadcnt_dscnt 0x0
	s_barrier_signal -1
	s_barrier_wait -1
	global_inv scope:SCOPE_SE
	s_and_saveexec_b32 s5, s2
	s_cbranch_execz .LBB90_16
; %bb.15:                               ;   in Loop: Header=BB90_6 Depth=1
	ds_load_2addr_b64 v[3:6], v11 offset1:16
	ds_load_2addr_b64 v[7:10], v11 offset0:32 offset1:48
	s_wait_dscnt 0x0
	v_dual_add_f32 v0, v7, v5 :: v_dual_add_f32 v5, v8, v6
	s_delay_alu instid0(VALU_DEP_1) | instskip(NEXT) | instid1(VALU_DEP_1)
	v_dual_add_f32 v0, v9, v0 :: v_dual_add_f32 v5, v10, v5
	v_dual_add_f32 v3, v0, v3 :: v_dual_add_f32 v4, v5, v4
	ds_store_b64 v11, v[3:4]
.LBB90_16:                              ;   in Loop: Header=BB90_6 Depth=1
	s_wait_alu 0xfffe
	s_or_b32 exec_lo, exec_lo, s5
	s_wait_loadcnt_dscnt 0x0
	s_barrier_signal -1
	s_barrier_wait -1
	global_inv scope:SCOPE_SE
	s_and_saveexec_b32 s5, s3
	s_cbranch_execz .LBB90_18
; %bb.17:                               ;   in Loop: Header=BB90_6 Depth=1
	ds_load_2addr_b64 v[3:6], v11 offset1:4
	ds_load_2addr_b64 v[7:10], v11 offset0:8 offset1:12
	s_wait_dscnt 0x0
	v_dual_add_f32 v0, v7, v5 :: v_dual_add_f32 v5, v8, v6
	s_delay_alu instid0(VALU_DEP_1) | instskip(NEXT) | instid1(VALU_DEP_1)
	v_dual_add_f32 v0, v9, v0 :: v_dual_add_f32 v5, v10, v5
	v_dual_add_f32 v3, v0, v3 :: v_dual_add_f32 v4, v5, v4
	ds_store_b64 v11, v[3:4]
.LBB90_18:                              ;   in Loop: Header=BB90_6 Depth=1
	s_wait_alu 0xfffe
	s_or_b32 exec_lo, exec_lo, s5
	s_wait_loadcnt_dscnt 0x0
	s_barrier_signal -1
	s_barrier_wait -1
	global_inv scope:SCOPE_SE
	s_and_saveexec_b32 s5, s4
	s_cbranch_execz .LBB90_20
; %bb.19:                               ;   in Loop: Header=BB90_6 Depth=1
	ds_load_b128 v[3:6], v14 offset:16
	ds_load_b64 v[7:8], v14 offset:8
	ds_load_b64 v[9:10], v11
	s_wait_dscnt 0x1
	v_dual_add_f32 v0, v3, v7 :: v_dual_add_f32 v3, v4, v8
	s_delay_alu instid0(VALU_DEP_1) | instskip(SKIP_1) | instid1(VALU_DEP_1)
	v_add_f32_e32 v0, v5, v0
	s_wait_dscnt 0x0
	v_dual_add_f32 v4, v6, v3 :: v_dual_add_f32 v3, v0, v9
	s_delay_alu instid0(VALU_DEP_1)
	v_add_f32_e32 v4, v4, v10
	ds_store_b64 v11, v[3:4]
.LBB90_20:                              ;   in Loop: Header=BB90_6 Depth=1
	s_wait_alu 0xfffe
	s_or_b32 exec_lo, exec_lo, s5
	s_wait_loadcnt_dscnt 0x0
	s_barrier_signal -1
	s_barrier_wait -1
	global_inv scope:SCOPE_SE
	s_and_saveexec_b32 s5, s4
	s_cbranch_execz .LBB90_5
; %bb.21:                               ;   in Loop: Header=BB90_6 Depth=1
	ds_load_b64 v[3:4], v14
	s_mov_b32 s27, exec_lo
	s_brev_b32 s26, 1
	s_wait_dscnt 0x0
	v_mul_f32_e64 v0, v4, -v2
	s_delay_alu instid0(VALU_DEP_1)
	v_fmac_f32_e32 v0, v1, v3
.LBB90_22:                              ;   Parent Loop BB90_6 Depth=1
                                        ; =>  This Inner Loop Header: Depth=2
	s_wait_alu 0xfffe
	s_ctz_i32_b32 s28, s27
	s_wait_alu 0xfffe
	s_delay_alu instid0(VALU_DEP_1)
	v_readlane_b32 s29, v0, s28
	s_lshl_b32 s28, 1, s28
	s_wait_alu 0xfffe
	s_and_not1_b32 s27, s27, s28
	s_wait_alu 0xfffe
	s_cmp_lg_u32 s27, 0
	s_add_f32 s26, s26, s29
	s_cbranch_scc1 .LBB90_22
; %bb.23:                               ;   in Loop: Header=BB90_6 Depth=1
	v_mbcnt_lo_u32_b32 v0, exec_lo, 0
	s_add_nc_u64 s[24:25], s[20:21], s[24:25]
	s_mov_b32 s27, exec_lo
	s_delay_alu instid0(VALU_DEP_1)
	v_cmpx_eq_u32_e32 0, v0
	s_wait_alu 0xfffe
	s_xor_b32 s27, exec_lo, s27
	s_cbranch_execz .LBB90_25
; %bb.24:                               ;   in Loop: Header=BB90_6 Depth=1
	v_mov_b32_e32 v0, s26
	global_atomic_add_f32 v14, v0, s[24:25] scope:SCOPE_DEV
.LBB90_25:                              ;   in Loop: Header=BB90_6 Depth=1
	s_wait_alu 0xfffe
	s_or_b32 exec_lo, exec_lo, s27
	v_mul_f32_e32 v0, v1, v4
	s_mov_b32 s27, exec_lo
	s_brev_b32 s26, 1
	s_delay_alu instid0(VALU_DEP_1)
	v_fmac_f32_e32 v0, v2, v3
.LBB90_26:                              ;   Parent Loop BB90_6 Depth=1
                                        ; =>  This Inner Loop Header: Depth=2
	s_wait_alu 0xfffe
	s_ctz_i32_b32 s28, s27
	s_wait_alu 0xfffe
	s_delay_alu instid0(VALU_DEP_1)
	v_readlane_b32 s29, v0, s28
	s_lshl_b32 s28, 1, s28
	s_wait_alu 0xfffe
	s_and_not1_b32 s27, s27, s28
	s_wait_alu 0xfffe
	s_cmp_lg_u32 s27, 0
	s_add_f32 s26, s26, s29
	s_cbranch_scc1 .LBB90_26
; %bb.27:                               ;   in Loop: Header=BB90_6 Depth=1
	v_mbcnt_lo_u32_b32 v0, exec_lo, 0
	s_mov_b32 s27, exec_lo
	s_delay_alu instid0(VALU_DEP_1)
	v_cmpx_eq_u32_e32 0, v0
	s_wait_alu 0xfffe
	s_xor_b32 s27, exec_lo, s27
	s_cbranch_execz .LBB90_5
; %bb.28:                               ;   in Loop: Header=BB90_6 Depth=1
	v_mov_b32_e32 v0, s26
	global_atomic_add_f32 v14, v0, s[24:25] offset:4 scope:SCOPE_DEV
	s_branch .LBB90_5
.LBB90_29:
	s_lshl_b64 s[0:1], s[16:17], 3
	s_lshl_b64 s[2:3], s[18:19], 3
	s_wait_alu 0xfffe
	s_add_nc_u64 s[0:1], s[8:9], s[0:1]
	s_add_nc_u64 s[2:3], s[8:9], s[2:3]
	s_clause 0x1
	s_load_b64 s[0:1], s[0:1], 0x0
	s_load_b64 s[2:3], s[2:3], 0x0
	s_wait_kmcnt 0x0
	v_add_co_u32 v3, vcc_lo, s0, v12
	s_wait_alu 0xfffd
	v_add_co_ci_u32_e64 v4, null, s1, v13, vcc_lo
	s_sub_nc_u64 s[2:3], s[2:3], s[6:7]
	s_wait_alu 0xfffe
	v_cmp_gt_i64_e32 vcc_lo, s[2:3], v[3:4]
	s_and_b32 exec_lo, exec_lo, vcc_lo
	s_cbranch_execz .LBB90_38
; %bb.30:
	s_add_nc_u64 s[4:5], s[18:19], -1
	s_add_nc_u64 s[0:1], s[18:19], -2
	s_wait_alu 0xfffe
	v_cmp_lt_i64_e64 s7, s[16:17], s[4:5]
	s_cmp_lg_u64 s[16:17], s[0:1]
	v_dual_mul_f32 v0, 0x80000000, v2 :: v_dual_mul_f32 v9, 0, v1
	s_cselect_b32 s0, -1, 0
	s_wait_alu 0xfffe
	s_and_b32 s1, s7, s0
	s_mov_b32 s7, 0
	s_branch .LBB90_32
.LBB90_31:                              ;   in Loop: Header=BB90_32 Depth=1
	s_wait_alu 0xfffe
	s_or_b32 exec_lo, exec_lo, s0
	v_add_co_u32 v3, vcc_lo, 0x100, v3
	s_wait_alu 0xfffd
	v_add_co_ci_u32_e64 v4, null, 0, v4, vcc_lo
	s_delay_alu instid0(VALU_DEP_1)
	v_cmp_le_i64_e32 vcc_lo, s[2:3], v[3:4]
	s_or_b32 s7, vcc_lo, s7
	s_wait_alu 0xfffe
	s_and_not1_b32 exec_lo, exec_lo, s7
	s_cbranch_execz .LBB90_38
.LBB90_32:                              ; =>This Loop Header: Depth=1
                                        ;     Child Loop BB90_34 Depth 2
	v_dual_mov_b32 v5, s16 :: v_dual_mov_b32 v6, s17
	v_dual_mov_b32 v8, s5 :: v_dual_mov_b32 v7, s4
	s_wait_alu 0xfffe
	s_and_not1_b32 vcc_lo, exec_lo, s1
	s_wait_alu 0xfffe
	s_cbranch_vccnz .LBB90_36
; %bb.33:                               ;   in Loop: Header=BB90_32 Depth=1
	v_dual_mov_b32 v5, s16 :: v_dual_mov_b32 v6, s17
	v_dual_mov_b32 v8, s5 :: v_dual_mov_b32 v7, s4
	s_mov_b32 s18, 0
.LBB90_34:                              ;   Parent Loop BB90_32 Depth=1
                                        ; =>  This Inner Loop Header: Depth=2
	s_delay_alu instid0(VALU_DEP_1) | instskip(SKIP_1) | instid1(VALU_DEP_2)
	v_add_co_u32 v10, vcc_lo, v7, v5
	s_wait_alu 0xfffd
	v_add_co_ci_u32_e64 v11, null, v8, v6, vcc_lo
	s_delay_alu instid0(VALU_DEP_1) | instskip(NEXT) | instid1(VALU_DEP_1)
	v_lshrrev_b32_e32 v12, 31, v11
	v_add_co_u32 v10, vcc_lo, v10, v12
	s_wait_alu 0xfffd
	v_add_co_ci_u32_e64 v11, null, 0, v11, vcc_lo
	s_delay_alu instid0(VALU_DEP_1) | instskip(NEXT) | instid1(VALU_DEP_1)
	v_ashrrev_i64 v[10:11], 1, v[10:11]
	v_lshlrev_b64_e32 v[12:13], 3, v[10:11]
	s_delay_alu instid0(VALU_DEP_1) | instskip(SKIP_1) | instid1(VALU_DEP_2)
	v_add_co_u32 v12, vcc_lo, s8, v12
	s_wait_alu 0xfffd
	v_add_co_ci_u32_e64 v13, null, s9, v13, vcc_lo
	global_load_b64 v[12:13], v[12:13], off
	s_wait_loadcnt 0x0
	v_sub_co_u32 v12, vcc_lo, v12, s6
	s_wait_alu 0xfffd
	v_subrev_co_ci_u32_e64 v13, null, 0, v13, vcc_lo
	s_delay_alu instid0(VALU_DEP_1) | instskip(SKIP_3) | instid1(VALU_DEP_2)
	v_cmp_lt_i64_e32 vcc_lo, v[3:4], v[12:13]
	s_wait_alu 0xfffd
	v_dual_cndmask_b32 v8, v8, v11 :: v_dual_cndmask_b32 v7, v7, v10
	v_dual_cndmask_b32 v6, v11, v6 :: v_dual_cndmask_b32 v5, v10, v5
	v_add_co_u32 v10, vcc_lo, v7, -1
	s_wait_alu 0xfffd
	s_delay_alu instid0(VALU_DEP_3) | instskip(NEXT) | instid1(VALU_DEP_3)
	v_add_co_ci_u32_e64 v11, null, -1, v8, vcc_lo
	v_cmp_ge_i64_e32 vcc_lo, v[5:6], v[7:8]
	s_delay_alu instid0(VALU_DEP_2)
	v_cmp_eq_u64_e64 s0, v[5:6], v[10:11]
	s_or_b32 s0, vcc_lo, s0
	s_wait_alu 0xfffe
	s_and_b32 s0, exec_lo, s0
	s_wait_alu 0xfffe
	s_or_b32 s18, s0, s18
	s_wait_alu 0xfffe
	s_and_not1_b32 exec_lo, exec_lo, s18
	s_cbranch_execnz .LBB90_34
; %bb.35:                               ;   in Loop: Header=BB90_32 Depth=1
	s_or_b32 exec_lo, exec_lo, s18
.LBB90_36:                              ;   in Loop: Header=BB90_32 Depth=1
	v_lshlrev_b64_e32 v[10:11], 3, v[7:8]
	v_lshlrev_b64_e32 v[12:13], 3, v[3:4]
	s_mov_b32 s0, exec_lo
	s_delay_alu instid0(VALU_DEP_2) | instskip(SKIP_1) | instid1(VALU_DEP_3)
	v_add_co_u32 v10, vcc_lo, s8, v10
	s_wait_alu 0xfffd
	v_add_co_ci_u32_e64 v11, null, s9, v11, vcc_lo
	s_delay_alu instid0(VALU_DEP_3)
	v_add_co_u32 v12, vcc_lo, s10, v12
	s_wait_alu 0xfffd
	v_add_co_ci_u32_e64 v13, null, s11, v13, vcc_lo
	global_load_b64 v[10:11], v[10:11], off
	global_load_b64 v[12:13], v[12:13], off
	s_wait_loadcnt 0x1
	v_sub_co_u32 v10, vcc_lo, v10, s6
	s_wait_alu 0xfffd
	v_subrev_co_ci_u32_e64 v11, null, 0, v11, vcc_lo
	s_delay_alu instid0(VALU_DEP_1)
	v_cmp_lt_i64_e32 vcc_lo, v[3:4], v[10:11]
	s_wait_alu 0xfffd
	v_dual_cndmask_b32 v8, v8, v6 :: v_dual_cndmask_b32 v7, v7, v5
	s_wait_loadcnt 0x0
	v_sub_co_u32 v5, vcc_lo, v12, s6
	s_wait_alu 0xfffd
	v_subrev_co_ci_u32_e64 v6, null, 0, v13, vcc_lo
	s_delay_alu instid0(VALU_DEP_1)
	v_cmpx_ne_u64_e64 v[5:6], v[7:8]
	s_cbranch_execz .LBB90_31
; %bb.37:                               ;   in Loop: Header=BB90_32 Depth=1
	v_lshlrev_b64_e32 v[10:11], 2, v[3:4]
	v_lshlrev_b64_e32 v[7:8], 3, v[7:8]
	;; [unrolled: 1-line block ×3, first 2 shown]
	s_delay_alu instid0(VALU_DEP_3) | instskip(SKIP_1) | instid1(VALU_DEP_4)
	v_add_co_u32 v10, vcc_lo, s12, v10
	s_wait_alu 0xfffd
	v_add_co_ci_u32_e64 v11, null, s13, v11, vcc_lo
	s_delay_alu instid0(VALU_DEP_4)
	v_add_co_u32 v7, vcc_lo, s14, v7
	s_wait_alu 0xfffd
	v_add_co_ci_u32_e64 v8, null, s15, v8, vcc_lo
	global_load_b32 v10, v[10:11], off
	global_load_b64 v[7:8], v[7:8], off
	v_add_co_u32 v5, vcc_lo, s20, v5
	s_wait_alu 0xfffd
	v_add_co_ci_u32_e64 v6, null, s21, v6, vcc_lo
	s_wait_loadcnt 0x1
	v_fma_f32 v11, v2, v10, v9
	v_fma_f32 v10, v1, v10, v0
	s_wait_loadcnt 0x0
	s_delay_alu instid0(VALU_DEP_2) | instskip(NEXT) | instid1(VALU_DEP_2)
	v_mul_f32_e64 v12, v8, -v11
	v_mul_f32_e32 v8, v10, v8
	s_delay_alu instid0(VALU_DEP_2) | instskip(NEXT) | instid1(VALU_DEP_2)
	v_fmac_f32_e32 v12, v10, v7
	v_fmac_f32_e32 v8, v11, v7
	s_clause 0x1
	global_atomic_add_f32 v[5:6], v12, off scope:SCOPE_DEV
	global_atomic_add_f32 v[5:6], v8, off offset:4 scope:SCOPE_DEV
	s_branch .LBB90_31
.LBB90_38:
	s_endpgm
	.section	.rodata,"a",@progbits
	.p2align	6, 0x0
	.amdhsa_kernel _ZL33csrmvn_symm_large_adaptive_kernelIllf21rocsparse_complex_numIfES1_S1_EvbT_PKS2_N9rocsparse24const_host_device_scalarIT4_EES4_PKT0_PKT1_PKT2_S8_PT3_21rocsparse_index_base_b
		.amdhsa_group_segment_fixed_size 8192
		.amdhsa_private_segment_fixed_size 0
		.amdhsa_kernarg_size 88
		.amdhsa_user_sgpr_count 2
		.amdhsa_user_sgpr_dispatch_ptr 0
		.amdhsa_user_sgpr_queue_ptr 0
		.amdhsa_user_sgpr_kernarg_segment_ptr 1
		.amdhsa_user_sgpr_dispatch_id 0
		.amdhsa_user_sgpr_private_segment_size 0
		.amdhsa_wavefront_size32 1
		.amdhsa_uses_dynamic_stack 0
		.amdhsa_enable_private_segment 0
		.amdhsa_system_sgpr_workgroup_id_x 1
		.amdhsa_system_sgpr_workgroup_id_y 0
		.amdhsa_system_sgpr_workgroup_id_z 0
		.amdhsa_system_sgpr_workgroup_info 0
		.amdhsa_system_vgpr_workitem_id 0
		.amdhsa_next_free_vgpr 17
		.amdhsa_next_free_sgpr 32
		.amdhsa_reserve_vcc 1
		.amdhsa_float_round_mode_32 0
		.amdhsa_float_round_mode_16_64 0
		.amdhsa_float_denorm_mode_32 3
		.amdhsa_float_denorm_mode_16_64 3
		.amdhsa_fp16_overflow 0
		.amdhsa_workgroup_processor_mode 1
		.amdhsa_memory_ordered 1
		.amdhsa_forward_progress 1
		.amdhsa_inst_pref_size 20
		.amdhsa_round_robin_scheduling 0
		.amdhsa_exception_fp_ieee_invalid_op 0
		.amdhsa_exception_fp_denorm_src 0
		.amdhsa_exception_fp_ieee_div_zero 0
		.amdhsa_exception_fp_ieee_overflow 0
		.amdhsa_exception_fp_ieee_underflow 0
		.amdhsa_exception_fp_ieee_inexact 0
		.amdhsa_exception_int_div_zero 0
	.end_amdhsa_kernel
	.section	.text._ZL33csrmvn_symm_large_adaptive_kernelIllf21rocsparse_complex_numIfES1_S1_EvbT_PKS2_N9rocsparse24const_host_device_scalarIT4_EES4_PKT0_PKT1_PKT2_S8_PT3_21rocsparse_index_base_b,"axG",@progbits,_ZL33csrmvn_symm_large_adaptive_kernelIllf21rocsparse_complex_numIfES1_S1_EvbT_PKS2_N9rocsparse24const_host_device_scalarIT4_EES4_PKT0_PKT1_PKT2_S8_PT3_21rocsparse_index_base_b,comdat
.Lfunc_end90:
	.size	_ZL33csrmvn_symm_large_adaptive_kernelIllf21rocsparse_complex_numIfES1_S1_EvbT_PKS2_N9rocsparse24const_host_device_scalarIT4_EES4_PKT0_PKT1_PKT2_S8_PT3_21rocsparse_index_base_b, .Lfunc_end90-_ZL33csrmvn_symm_large_adaptive_kernelIllf21rocsparse_complex_numIfES1_S1_EvbT_PKS2_N9rocsparse24const_host_device_scalarIT4_EES4_PKT0_PKT1_PKT2_S8_PT3_21rocsparse_index_base_b
                                        ; -- End function
	.set _ZL33csrmvn_symm_large_adaptive_kernelIllf21rocsparse_complex_numIfES1_S1_EvbT_PKS2_N9rocsparse24const_host_device_scalarIT4_EES4_PKT0_PKT1_PKT2_S8_PT3_21rocsparse_index_base_b.num_vgpr, 17
	.set _ZL33csrmvn_symm_large_adaptive_kernelIllf21rocsparse_complex_numIfES1_S1_EvbT_PKS2_N9rocsparse24const_host_device_scalarIT4_EES4_PKT0_PKT1_PKT2_S8_PT3_21rocsparse_index_base_b.num_agpr, 0
	.set _ZL33csrmvn_symm_large_adaptive_kernelIllf21rocsparse_complex_numIfES1_S1_EvbT_PKS2_N9rocsparse24const_host_device_scalarIT4_EES4_PKT0_PKT1_PKT2_S8_PT3_21rocsparse_index_base_b.numbered_sgpr, 32
	.set _ZL33csrmvn_symm_large_adaptive_kernelIllf21rocsparse_complex_numIfES1_S1_EvbT_PKS2_N9rocsparse24const_host_device_scalarIT4_EES4_PKT0_PKT1_PKT2_S8_PT3_21rocsparse_index_base_b.num_named_barrier, 0
	.set _ZL33csrmvn_symm_large_adaptive_kernelIllf21rocsparse_complex_numIfES1_S1_EvbT_PKS2_N9rocsparse24const_host_device_scalarIT4_EES4_PKT0_PKT1_PKT2_S8_PT3_21rocsparse_index_base_b.private_seg_size, 0
	.set _ZL33csrmvn_symm_large_adaptive_kernelIllf21rocsparse_complex_numIfES1_S1_EvbT_PKS2_N9rocsparse24const_host_device_scalarIT4_EES4_PKT0_PKT1_PKT2_S8_PT3_21rocsparse_index_base_b.uses_vcc, 1
	.set _ZL33csrmvn_symm_large_adaptive_kernelIllf21rocsparse_complex_numIfES1_S1_EvbT_PKS2_N9rocsparse24const_host_device_scalarIT4_EES4_PKT0_PKT1_PKT2_S8_PT3_21rocsparse_index_base_b.uses_flat_scratch, 0
	.set _ZL33csrmvn_symm_large_adaptive_kernelIllf21rocsparse_complex_numIfES1_S1_EvbT_PKS2_N9rocsparse24const_host_device_scalarIT4_EES4_PKT0_PKT1_PKT2_S8_PT3_21rocsparse_index_base_b.has_dyn_sized_stack, 0
	.set _ZL33csrmvn_symm_large_adaptive_kernelIllf21rocsparse_complex_numIfES1_S1_EvbT_PKS2_N9rocsparse24const_host_device_scalarIT4_EES4_PKT0_PKT1_PKT2_S8_PT3_21rocsparse_index_base_b.has_recursion, 0
	.set _ZL33csrmvn_symm_large_adaptive_kernelIllf21rocsparse_complex_numIfES1_S1_EvbT_PKS2_N9rocsparse24const_host_device_scalarIT4_EES4_PKT0_PKT1_PKT2_S8_PT3_21rocsparse_index_base_b.has_indirect_call, 0
	.section	.AMDGPU.csdata,"",@progbits
; Kernel info:
; codeLenInByte = 2488
; TotalNumSgprs: 34
; NumVgprs: 17
; ScratchSize: 0
; MemoryBound: 0
; FloatMode: 240
; IeeeMode: 1
; LDSByteSize: 8192 bytes/workgroup (compile time only)
; SGPRBlocks: 0
; VGPRBlocks: 2
; NumSGPRsForWavesPerEU: 34
; NumVGPRsForWavesPerEU: 17
; Occupancy: 16
; WaveLimiterHint : 1
; COMPUTE_PGM_RSRC2:SCRATCH_EN: 0
; COMPUTE_PGM_RSRC2:USER_SGPR: 2
; COMPUTE_PGM_RSRC2:TRAP_HANDLER: 0
; COMPUTE_PGM_RSRC2:TGID_X_EN: 1
; COMPUTE_PGM_RSRC2:TGID_Y_EN: 0
; COMPUTE_PGM_RSRC2:TGID_Z_EN: 0
; COMPUTE_PGM_RSRC2:TIDIG_COMP_CNT: 0
	.section	.text._ZN9rocsparseL22csrmvn_adaptive_kernelIiifdddEEvbT_PKS1_PjPKT0_NS_24const_host_device_scalarIT4_EES3_S7_PKT1_PKT2_SA_PT3_21rocsparse_index_base_b,"axG",@progbits,_ZN9rocsparseL22csrmvn_adaptive_kernelIiifdddEEvbT_PKS1_PjPKT0_NS_24const_host_device_scalarIT4_EES3_S7_PKT1_PKT2_SA_PT3_21rocsparse_index_base_b,comdat
	.globl	_ZN9rocsparseL22csrmvn_adaptive_kernelIiifdddEEvbT_PKS1_PjPKT0_NS_24const_host_device_scalarIT4_EES3_S7_PKT1_PKT2_SA_PT3_21rocsparse_index_base_b ; -- Begin function _ZN9rocsparseL22csrmvn_adaptive_kernelIiifdddEEvbT_PKS1_PjPKT0_NS_24const_host_device_scalarIT4_EES3_S7_PKT1_PKT2_SA_PT3_21rocsparse_index_base_b
	.p2align	8
	.type	_ZN9rocsparseL22csrmvn_adaptive_kernelIiifdddEEvbT_PKS1_PjPKT0_NS_24const_host_device_scalarIT4_EES3_S7_PKT1_PKT2_SA_PT3_21rocsparse_index_base_b,@function
_ZN9rocsparseL22csrmvn_adaptive_kernelIiifdddEEvbT_PKS1_PjPKT0_NS_24const_host_device_scalarIT4_EES3_S7_PKT1_PKT2_SA_PT3_21rocsparse_index_base_b: ; @_ZN9rocsparseL22csrmvn_adaptive_kernelIiifdddEEvbT_PKS1_PjPKT0_NS_24const_host_device_scalarIT4_EES3_S7_PKT1_PKT2_SA_PT3_21rocsparse_index_base_b
; %bb.0:
	s_clause 0x2
	s_load_b64 s[26:27], s[0:1], 0x58
	s_load_b64 s[4:5], s[0:1], 0x20
	;; [unrolled: 1-line block ×3, first 2 shown]
	s_wait_kmcnt 0x0
	s_bitcmp1_b32 s27, 0
	v_dual_mov_b32 v8, s5 :: v_dual_mov_b32 v7, s4
	s_cselect_b32 s6, -1, 0
	s_delay_alu instid0(SALU_CYCLE_1)
	s_and_b32 vcc_lo, exec_lo, s6
	s_xor_b32 s6, s6, -1
	s_cbranch_vccnz .LBB91_2
; %bb.1:
	v_dual_mov_b32 v1, s4 :: v_dual_mov_b32 v2, s5
	flat_load_b64 v[7:8], v[1:2]
.LBB91_2:
	v_dual_mov_b32 v6, s3 :: v_dual_mov_b32 v5, s2
	s_and_not1_b32 vcc_lo, exec_lo, s6
	s_cbranch_vccnz .LBB91_4
; %bb.3:
	v_dual_mov_b32 v1, s2 :: v_dual_mov_b32 v2, s3
	flat_load_b64 v[5:6], v[1:2]
.LBB91_4:
	s_wait_loadcnt_dscnt 0x0
	v_cmp_neq_f64_e32 vcc_lo, 0, v[7:8]
	v_cmp_neq_f64_e64 s2, 1.0, v[5:6]
	s_or_b32 s2, vcc_lo, s2
	s_wait_alu 0xfffe
	s_and_saveexec_b32 s3, s2
	s_cbranch_execz .LBB91_115
; %bb.5:
	s_clause 0x2
	s_load_b64 s[2:3], s[0:1], 0x8
	s_load_b64 s[4:5], s[0:1], 0x18
	s_load_b64 s[20:21], s[0:1], 0x50
	s_mov_b32 s30, ttmp9
	s_ashr_i32 s31, ttmp9, 31
	s_delay_alu instid0(SALU_CYCLE_1)
	s_lshl_b64 s[34:35], s[30:31], 2
	s_wait_kmcnt 0x0
	s_add_nc_u64 s[2:3], s[2:3], s[34:35]
	s_add_nc_u64 s[4:5], s[4:5], s[34:35]
	s_load_b64 s[22:23], s[2:3], 0x0
	s_load_b256 s[12:19], s[0:1], 0x28
	s_wait_kmcnt 0x0
	s_ashr_i32 s29, s22, 31
	s_mov_b32 s28, s22
	s_delay_alu instid0(SALU_CYCLE_1)
	s_lshl_b64 s[2:3], s[28:29], 2
	s_wait_alu 0xfffe
	s_add_nc_u64 s[24:25], s[12:13], s[2:3]
	s_load_b32 s27, s[4:5], 0x0
	s_load_b32 s31, s[24:25], 0x0
	s_sub_co_i32 s3, s23, s22
	s_mov_b32 s2, -1
	s_wait_alu 0xfffe
	s_cmp_lt_i32 s3, 2
	s_cbranch_scc0 .LBB91_71
; %bb.6:
	s_cmp_lg_u32 s3, 1
	v_cmp_gt_u32_e64 s2, 0x80, v0
	s_cselect_b32 s4, -1, 0
	s_wait_kmcnt 0x0
	s_cmp_lg_u32 s27, 0
	v_cmp_gt_u32_e64 s3, 64, v0
	s_cselect_b32 s5, -1, 0
	v_cmp_gt_u32_e64 s6, 8, v0
	s_wait_alu 0xfffe
	s_or_b32 s5, s4, s5
	v_cmp_gt_u32_e64 s4, 32, v0
	s_wait_alu 0xfffe
	s_and_b32 vcc_lo, exec_lo, s5
	v_cmp_gt_u32_e64 s5, 16, v0
	v_cmp_gt_u32_e64 s7, 4, v0
	;; [unrolled: 1-line block ×3, first 2 shown]
	v_cmp_eq_u32_e64 s9, 0, v0
	s_mov_b32 s10, -1
	s_cbranch_vccnz .LBB91_34
; %bb.7:
	v_subrev_nc_u32_e32 v4, s26, v0
	v_dual_mov_b32 v14, 0 :: v_dual_lshlrev_b32 v13, 3, v0
	s_mov_b32 s36, s22
	v_cmp_neq_f64_e32 vcc_lo, 0, v[5:6]
	s_branch .LBB91_10
.LBB91_8:                               ;   in Loop: Header=BB91_10 Depth=1
	s_wait_alu 0xfffe
	s_or_b32 exec_lo, exec_lo, s11
	s_lshl_b64 s[38:39], s[36:37], 3
	s_wait_alu 0xfffe
	s_add_nc_u64 s[38:39], s[20:21], s[38:39]
	s_wait_dscnt 0x0
	global_store_b64 v14, v[1:2], s[38:39]
.LBB91_9:                               ;   in Loop: Header=BB91_10 Depth=1
	s_wait_alu 0xfffe
	s_or_b32 exec_lo, exec_lo, s10
	s_add_co_i32 s36, s36, 1
	s_delay_alu instid0(SALU_CYCLE_1)
	s_cmp_ge_i32 s36, s23
	s_cbranch_scc1 .LBB91_33
.LBB91_10:                              ; =>This Loop Header: Depth=1
                                        ;     Child Loop BB91_12 Depth 2
	s_ashr_i32 s37, s36, 31
	s_mov_b32 s33, exec_lo
	s_lshl_b64 s[10:11], s[36:37], 2
	v_mov_b32_e32 v2, 0
	s_wait_alu 0xfffe
	s_add_nc_u64 s[10:11], s[12:13], s[10:11]
	v_mov_b32_e32 v3, 0
	s_load_b64 s[10:11], s[10:11], 0x0
	s_wait_kmcnt 0x0
	v_add_nc_u32_e32 v1, s10, v4
	s_sub_co_i32 s38, s11, s26
	s_wait_alu 0xfffe
	s_delay_alu instid0(VALU_DEP_1)
	v_cmpx_gt_i32_e64 s38, v1
	s_cbranch_execz .LBB91_14
; %bb.11:                               ;   in Loop: Header=BB91_10 Depth=1
	v_ashrrev_i32_e32 v2, 31, v1
	s_mov_b32 s39, 0
	s_delay_alu instid0(VALU_DEP_1) | instskip(SKIP_2) | instid1(VALU_DEP_3)
	v_lshlrev_b64_e32 v[11:12], 2, v[1:2]
	v_mov_b32_e32 v2, 0
	v_mov_b32_e32 v3, 0
	v_add_co_u32 v9, s10, s16, v11
	s_wait_alu 0xf1ff
	s_delay_alu instid0(VALU_DEP_4)
	v_add_co_ci_u32_e64 v10, null, s17, v12, s10
	v_add_co_u32 v11, s10, s14, v11
	s_wait_alu 0xf1ff
	v_add_co_ci_u32_e64 v12, null, s15, v12, s10
.LBB91_12:                              ;   Parent Loop BB91_10 Depth=1
                                        ; =>  This Inner Loop Header: Depth=2
	global_load_b32 v15, v[11:12], off
	global_load_b32 v17, v[9:10], off
	v_add_nc_u32_e32 v1, 0x100, v1
	v_add_co_u32 v11, s11, 0x400, v11
	s_wait_alu 0xf1ff
	v_add_co_ci_u32_e64 v12, null, 0, v12, s11
	s_wait_loadcnt 0x1
	v_subrev_nc_u32_e32 v15, s26, v15
	s_wait_loadcnt 0x0
	v_cvt_f64_f32_e32 v[17:18], v17
	s_delay_alu instid0(VALU_DEP_2) | instskip(NEXT) | instid1(VALU_DEP_1)
	v_ashrrev_i32_e32 v16, 31, v15
	v_lshlrev_b64_e32 v[15:16], 3, v[15:16]
	s_delay_alu instid0(VALU_DEP_1) | instskip(SKIP_1) | instid1(VALU_DEP_2)
	v_add_co_u32 v15, s10, s18, v15
	s_wait_alu 0xf1ff
	v_add_co_ci_u32_e64 v16, null, s19, v16, s10
	v_add_co_u32 v9, s10, 0x400, v9
	s_wait_alu 0xf1ff
	v_add_co_ci_u32_e64 v10, null, 0, v10, s10
	global_load_b64 v[15:16], v[15:16], off
	v_cmp_le_i32_e64 s10, s38, v1
	s_wait_alu 0xfffe
	s_or_b32 s39, s10, s39
	v_mul_f64_e32 v[17:18], v[7:8], v[17:18]
	s_wait_loadcnt 0x0
	s_delay_alu instid0(VALU_DEP_1)
	v_fma_f64 v[2:3], v[17:18], v[15:16], v[2:3]
	s_wait_alu 0xfffe
	s_and_not1_b32 exec_lo, exec_lo, s39
	s_cbranch_execnz .LBB91_12
; %bb.13:                               ;   in Loop: Header=BB91_10 Depth=1
	s_or_b32 exec_lo, exec_lo, s39
.LBB91_14:                              ;   in Loop: Header=BB91_10 Depth=1
	s_delay_alu instid0(SALU_CYCLE_1)
	s_or_b32 exec_lo, exec_lo, s33
	ds_store_b64 v13, v[2:3]
	s_wait_dscnt 0x0
	s_barrier_signal -1
	s_barrier_wait -1
	global_inv scope:SCOPE_SE
	s_and_saveexec_b32 s10, s2
	s_cbranch_execz .LBB91_16
; %bb.15:                               ;   in Loop: Header=BB91_10 Depth=1
	ds_load_2addr_stride64_b64 v[9:12], v13 offset1:2
	s_wait_dscnt 0x0
	v_add_f64_e32 v[1:2], v[9:10], v[11:12]
	ds_store_b64 v13, v[1:2]
.LBB91_16:                              ;   in Loop: Header=BB91_10 Depth=1
	s_wait_alu 0xfffe
	s_or_b32 exec_lo, exec_lo, s10
	s_wait_loadcnt_dscnt 0x0
	s_barrier_signal -1
	s_barrier_wait -1
	global_inv scope:SCOPE_SE
	s_and_saveexec_b32 s10, s3
	s_cbranch_execz .LBB91_18
; %bb.17:                               ;   in Loop: Header=BB91_10 Depth=1
	ds_load_2addr_stride64_b64 v[9:12], v13 offset1:1
	s_wait_dscnt 0x0
	v_add_f64_e32 v[1:2], v[9:10], v[11:12]
	ds_store_b64 v13, v[1:2]
.LBB91_18:                              ;   in Loop: Header=BB91_10 Depth=1
	s_wait_alu 0xfffe
	s_or_b32 exec_lo, exec_lo, s10
	s_wait_loadcnt_dscnt 0x0
	s_barrier_signal -1
	s_barrier_wait -1
	global_inv scope:SCOPE_SE
	s_and_saveexec_b32 s10, s4
	s_cbranch_execz .LBB91_20
; %bb.19:                               ;   in Loop: Header=BB91_10 Depth=1
	ds_load_2addr_b64 v[9:12], v13 offset1:32
	s_wait_dscnt 0x0
	v_add_f64_e32 v[1:2], v[9:10], v[11:12]
	ds_store_b64 v13, v[1:2]
.LBB91_20:                              ;   in Loop: Header=BB91_10 Depth=1
	s_wait_alu 0xfffe
	s_or_b32 exec_lo, exec_lo, s10
	s_wait_loadcnt_dscnt 0x0
	s_barrier_signal -1
	s_barrier_wait -1
	global_inv scope:SCOPE_SE
	s_and_saveexec_b32 s10, s5
	s_cbranch_execz .LBB91_22
; %bb.21:                               ;   in Loop: Header=BB91_10 Depth=1
	ds_load_2addr_b64 v[9:12], v13 offset1:16
	s_wait_dscnt 0x0
	v_add_f64_e32 v[1:2], v[9:10], v[11:12]
	ds_store_b64 v13, v[1:2]
.LBB91_22:                              ;   in Loop: Header=BB91_10 Depth=1
	;; [unrolled: 14-line block ×5, first 2 shown]
	s_wait_alu 0xfffe
	s_or_b32 exec_lo, exec_lo, s10
	s_wait_loadcnt_dscnt 0x0
	s_barrier_signal -1
	s_barrier_wait -1
	global_inv scope:SCOPE_SE
	s_and_saveexec_b32 s10, s9
	s_cbranch_execz .LBB91_30
; %bb.29:                               ;   in Loop: Header=BB91_10 Depth=1
	ds_load_b128 v[9:12], v14
	s_wait_dscnt 0x0
	v_add_f64_e32 v[1:2], v[9:10], v[11:12]
	ds_store_b64 v14, v[1:2]
.LBB91_30:                              ;   in Loop: Header=BB91_10 Depth=1
	s_wait_alu 0xfffe
	s_or_b32 exec_lo, exec_lo, s10
	s_wait_loadcnt_dscnt 0x0
	s_barrier_signal -1
	s_barrier_wait -1
	global_inv scope:SCOPE_SE
	s_and_saveexec_b32 s10, s9
	s_cbranch_execz .LBB91_9
; %bb.31:                               ;   in Loop: Header=BB91_10 Depth=1
	ds_load_b64 v[1:2], v14
	s_and_saveexec_b32 s11, vcc_lo
	s_cbranch_execz .LBB91_8
; %bb.32:                               ;   in Loop: Header=BB91_10 Depth=1
	s_lshl_b64 s[38:39], s[36:37], 3
	s_wait_alu 0xfffe
	s_add_nc_u64 s[38:39], s[20:21], s[38:39]
	global_load_b64 v[9:10], v14, s[38:39]
	s_wait_loadcnt_dscnt 0x0
	v_fma_f64 v[1:2], v[5:6], v[9:10], v[1:2]
	s_branch .LBB91_8
.LBB91_33:
	s_mov_b32 s10, 0
.LBB91_34:
	s_wait_alu 0xfffe
	s_and_b32 vcc_lo, exec_lo, s10
	s_cbranch_vccz .LBB91_70
; %bb.35:
	s_load_b64 s[6:7], s[0:1], 0x10
	v_mov_b32_e32 v3, 0
	v_mov_b32_e32 v1, 0
	;; [unrolled: 1-line block ×3, first 2 shown]
	v_or_b32_e32 v4, s27, v0
	s_sub_co_i32 s8, s30, s27
	s_mov_b32 s2, exec_lo
	s_wait_kmcnt 0x0
	s_add_nc_u64 s[4:5], s[6:7], s[34:35]
	global_load_b32 v13, v3, s[4:5]
	v_cmpx_eq_u32_e32 0, v4
	s_cbranch_execz .LBB91_39
; %bb.36:
	s_lshl_b64 s[10:11], s[28:29], 3
	s_mov_b32 s3, exec_lo
	s_wait_alu 0xfffe
	s_add_nc_u64 s[10:11], s[20:21], s[10:11]
	v_mbcnt_lo_u32_b32 v9, s3, 0
	global_load_b64 v[1:2], v3, s[10:11]
	v_add_f64_e32 v[3:4], -1.0, v[5:6]
	s_mov_b32 s10, exec_lo
	s_wait_loadcnt 0x0
	s_wait_storecnt 0x0
	global_inv scope:SCOPE_DEV
	v_cmpx_eq_u32_e32 0, v9
	s_cbranch_execz .LBB91_38
; %bb.37:
	s_bcnt1_i32_b32 s3, s3
	s_ashr_i32 s9, s8, 31
	s_wait_alu 0xfffe
	s_and_b32 s3, s3, 1
	s_wait_alu 0xfffe
	v_dual_mov_b32 v9, 0 :: v_dual_mov_b32 v10, s3
	s_lshl_b64 s[34:35], s[8:9], 2
	s_delay_alu instid0(SALU_CYCLE_1)
	s_add_nc_u64 s[34:35], s[6:7], s[34:35]
	global_atomic_xor_b32 v9, v10, s[34:35] scope:SCOPE_DEV
.LBB91_38:
	s_wait_alu 0xfffe
	s_or_b32 exec_lo, exec_lo, s10
	v_mul_f64_e32 v[1:2], v[3:4], v[1:2]
.LBB91_39:
	s_wait_alu 0xfffe
	s_or_b32 exec_lo, exec_lo, s2
	s_load_b32 s2, s[24:25], 0x4
	s_mul_i32 s3, s27, 0xc00
	s_sub_co_i32 s9, s31, s26
	s_wait_alu 0xfffe
	s_add_co_i32 s9, s9, s3
	s_mov_b32 s3, exec_lo
	v_add_nc_u32_e32 v3, s9, v0
	s_wait_kmcnt 0x0
	s_sub_co_i32 s2, s2, s26
	s_wait_alu 0xfffe
	s_delay_alu instid0(VALU_DEP_1)
	v_cmpx_gt_i32_e64 s2, v3
	s_cbranch_execz .LBB91_43
; %bb.40:
	v_ashrrev_i32_e32 v4, 31, v3
	s_addk_co_i32 s9, 0xc00
	s_mov_b32 s10, 0
	s_wait_alu 0xfffe
	s_min_i32 s9, s9, s2
	v_lshlrev_b64_e32 v[11:12], 2, v[3:4]
	s_delay_alu instid0(VALU_DEP_1) | instskip(NEXT) | instid1(VALU_DEP_1)
	v_add_co_u32 v9, vcc_lo, s16, v11
	v_add_co_ci_u32_e64 v10, null, s17, v12, vcc_lo
	v_add_co_u32 v11, vcc_lo, s14, v11
	s_wait_alu 0xfffd
	v_add_co_ci_u32_e64 v12, null, s15, v12, vcc_lo
.LBB91_41:                              ; =>This Inner Loop Header: Depth=1
	global_load_b32 v4, v[11:12], off
	global_load_b32 v16, v[9:10], off
	v_add_nc_u32_e32 v3, 0x100, v3
	v_add_co_u32 v11, s2, 0x400, v11
	s_wait_alu 0xf1ff
	v_add_co_ci_u32_e64 v12, null, 0, v12, s2
	s_wait_loadcnt 0x1
	v_subrev_nc_u32_e32 v14, s26, v4
	s_wait_loadcnt 0x0
	v_cvt_f64_f32_e32 v[16:17], v16
	s_delay_alu instid0(VALU_DEP_2) | instskip(NEXT) | instid1(VALU_DEP_1)
	v_ashrrev_i32_e32 v15, 31, v14
	v_lshlrev_b64_e32 v[14:15], 3, v[14:15]
	s_delay_alu instid0(VALU_DEP_1) | instskip(SKIP_1) | instid1(VALU_DEP_2)
	v_add_co_u32 v14, vcc_lo, s18, v14
	s_wait_alu 0xfffd
	v_add_co_ci_u32_e64 v15, null, s19, v15, vcc_lo
	v_add_co_u32 v9, vcc_lo, 0x400, v9
	s_wait_alu 0xfffd
	v_add_co_ci_u32_e64 v10, null, 0, v10, vcc_lo
	global_load_b64 v[14:15], v[14:15], off
	s_wait_alu 0xfffe
	v_cmp_le_i32_e32 vcc_lo, s9, v3
	s_or_b32 s10, vcc_lo, s10
	v_mul_f64_e32 v[16:17], v[7:8], v[16:17]
	s_wait_loadcnt 0x0
	s_delay_alu instid0(VALU_DEP_1)
	v_fma_f64 v[1:2], v[16:17], v[14:15], v[1:2]
	s_wait_alu 0xfffe
	s_and_not1_b32 exec_lo, exec_lo, s10
	s_cbranch_execnz .LBB91_41
; %bb.42:
	s_or_b32 exec_lo, exec_lo, s10
.LBB91_43:
	s_delay_alu instid0(SALU_CYCLE_1)
	s_or_b32 exec_lo, exec_lo, s3
	v_lshlrev_b32_e32 v3, 3, v0
	s_mov_b32 s2, exec_lo
	ds_store_b64 v3, v[1:2]
	s_wait_storecnt 0x0
	s_wait_loadcnt_dscnt 0x0
	s_barrier_signal -1
	s_barrier_wait -1
	global_inv scope:SCOPE_SE
	v_cmpx_gt_u32_e32 0x80, v0
	s_cbranch_execz .LBB91_45
; %bb.44:
	ds_load_2addr_stride64_b64 v[9:12], v3 offset1:2
	s_wait_dscnt 0x0
	v_add_f64_e32 v[1:2], v[9:10], v[11:12]
	ds_store_b64 v3, v[1:2]
.LBB91_45:
	s_wait_alu 0xfffe
	s_or_b32 exec_lo, exec_lo, s2
	s_delay_alu instid0(SALU_CYCLE_1)
	s_mov_b32 s2, exec_lo
	s_wait_loadcnt_dscnt 0x0
	s_barrier_signal -1
	s_barrier_wait -1
	global_inv scope:SCOPE_SE
	v_cmpx_gt_u32_e32 64, v0
	s_cbranch_execz .LBB91_47
; %bb.46:
	ds_load_2addr_stride64_b64 v[9:12], v3 offset1:1
	s_wait_dscnt 0x0
	v_add_f64_e32 v[1:2], v[9:10], v[11:12]
	ds_store_b64 v3, v[1:2]
.LBB91_47:
	s_wait_alu 0xfffe
	s_or_b32 exec_lo, exec_lo, s2
	s_delay_alu instid0(SALU_CYCLE_1)
	s_mov_b32 s2, exec_lo
	s_wait_loadcnt_dscnt 0x0
	s_barrier_signal -1
	s_barrier_wait -1
	global_inv scope:SCOPE_SE
	v_cmpx_gt_u32_e32 32, v0
	s_cbranch_execz .LBB91_49
; %bb.48:
	ds_load_2addr_b64 v[9:12], v3 offset1:32
	s_wait_dscnt 0x0
	v_add_f64_e32 v[1:2], v[9:10], v[11:12]
	ds_store_b64 v3, v[1:2]
.LBB91_49:
	s_wait_alu 0xfffe
	s_or_b32 exec_lo, exec_lo, s2
	s_delay_alu instid0(SALU_CYCLE_1)
	s_mov_b32 s2, exec_lo
	s_wait_loadcnt_dscnt 0x0
	s_barrier_signal -1
	s_barrier_wait -1
	global_inv scope:SCOPE_SE
	v_cmpx_gt_u32_e32 16, v0
	s_cbranch_execz .LBB91_51
; %bb.50:
	ds_load_2addr_b64 v[9:12], v3 offset1:16
	s_wait_dscnt 0x0
	v_add_f64_e32 v[1:2], v[9:10], v[11:12]
	ds_store_b64 v3, v[1:2]
.LBB91_51:
	;; [unrolled: 16-line block ×5, first 2 shown]
	s_wait_alu 0xfffe
	s_or_b32 exec_lo, exec_lo, s2
	v_cmp_eq_u32_e32 vcc_lo, 0, v0
	s_wait_loadcnt_dscnt 0x0
	s_barrier_signal -1
	s_barrier_wait -1
	global_inv scope:SCOPE_SE
	s_and_saveexec_b32 s2, vcc_lo
	s_cbranch_execz .LBB91_59
; %bb.58:
	v_mov_b32_e32 v9, 0
	ds_load_b128 v[1:4], v9
	s_wait_dscnt 0x0
	v_add_f64_e32 v[1:2], v[1:2], v[3:4]
	ds_store_b64 v9, v[1:2]
.LBB91_59:
	s_wait_alu 0xfffe
	s_or_b32 exec_lo, exec_lo, s2
	s_wait_loadcnt_dscnt 0x0
	s_barrier_signal -1
	s_barrier_wait -1
	global_inv scope:SCOPE_SE
	s_and_saveexec_b32 s10, vcc_lo
	s_cbranch_execz .LBB91_69
; %bb.60:
	s_cmp_eq_u32 s27, 0
	s_cbranch_scc1 .LBB91_66
; %bb.61:
	s_ashr_i32 s9, s8, 31
	v_mov_b32_e32 v1, 0
	s_wait_alu 0xfffe
	s_lshl_b64 s[2:3], s[8:9], 2
	s_wait_alu 0xfffe
	s_add_nc_u64 s[2:3], s[6:7], s[2:3]
	s_branch .LBB91_63
.LBB91_62:                              ;   in Loop: Header=BB91_63 Depth=1
	s_wait_alu 0xfffe
	s_or_b32 exec_lo, exec_lo, s6
	s_wait_loadcnt 0x0
	v_readfirstlane_b32 s6, v2
	s_wait_alu 0xf1ff
	s_delay_alu instid0(VALU_DEP_1)
	v_cmp_eq_u32_e32 vcc_lo, s6, v13
	s_cbranch_vccz .LBB91_65
.LBB91_63:                              ; =>This Inner Loop Header: Depth=1
	v_mbcnt_lo_u32_b32 v2, exec_lo, 0
	s_delay_alu instid0(VALU_DEP_1)
	v_cmp_eq_u32_e32 vcc_lo, 0, v2
                                        ; implicit-def: $vgpr2
	s_and_saveexec_b32 s6, vcc_lo
	s_cbranch_execz .LBB91_62
; %bb.64:                               ;   in Loop: Header=BB91_63 Depth=1
	global_load_b32 v2, v1, s[2:3] scope:SCOPE_DEV
	s_branch .LBB91_62
.LBB91_65:
	v_mov_b32_e32 v1, 0
	global_load_u16 v2, v1, s[4:5]
	s_wait_loadcnt 0x0
	v_xor_b32_e32 v2, 1, v2
	global_store_b16 v1, v2, s[4:5]
.LBB91_66:
	s_mov_b32 s4, exec_lo
	s_wait_alu 0xfffe
	v_mbcnt_lo_u32_b32 v1, s4, 0
	s_delay_alu instid0(VALU_DEP_1)
	v_cmp_eq_u32_e32 vcc_lo, 0, v1
	s_and_b32 s2, exec_lo, vcc_lo
	s_wait_alu 0xfffe
	s_mov_b32 exec_lo, s2
	s_cbranch_execz .LBB91_69
; %bb.67:
	v_mov_b32_e32 v11, 0
	s_lshl_b64 s[2:3], s[28:29], 3
	s_bcnt1_i32_b32 s4, s4
	s_wait_alu 0xfffe
	s_add_nc_u64 s[2:3], s[20:21], s[2:3]
	v_cvt_f64_u32_e32 v[1:2], s4
	global_load_b64 v[3:4], v11, s[2:3]
	ds_load_b64 v[9:10], v11
	s_mov_b32 s4, 0
	s_wait_dscnt 0x0
	v_mul_f64_e32 v[9:10], v[9:10], v[1:2]
.LBB91_68:                              ; =>This Inner Loop Header: Depth=1
	s_wait_loadcnt 0x0
	s_delay_alu instid0(VALU_DEP_1)
	v_add_f64_e32 v[1:2], v[3:4], v[9:10]
	global_atomic_cmpswap_b64 v[1:2], v11, v[1:4], s[2:3] th:TH_ATOMIC_RETURN scope:SCOPE_DEV
	s_wait_loadcnt 0x0
	v_cmp_eq_u64_e32 vcc_lo, v[1:2], v[3:4]
	v_dual_mov_b32 v4, v2 :: v_dual_mov_b32 v3, v1
	s_wait_alu 0xfffe
	s_or_b32 s4, vcc_lo, s4
	s_wait_alu 0xfffe
	s_and_not1_b32 exec_lo, exec_lo, s4
	s_cbranch_execnz .LBB91_68
.LBB91_69:
	s_wait_alu 0xfffe
	s_or_b32 exec_lo, exec_lo, s10
.LBB91_70:
	s_mov_b32 s2, 0
.LBB91_71:
	s_wait_alu 0xfffe
	s_and_not1_b32 vcc_lo, exec_lo, s2
	s_wait_alu 0xfffe
	s_cbranch_vccnz .LBB91_115
; %bb.72:
	s_load_b32 s0, s[0:1], 0x4
	v_subrev_nc_u32_e32 v1, s26, v0
	s_wait_kmcnt 0x0
	s_delay_alu instid0(VALU_DEP_1) | instskip(NEXT) | instid1(VALU_DEP_1)
	v_add_nc_u32_e32 v1, s31, v1
	v_add_nc_u32_e32 v2, 0x300, v1
	s_delay_alu instid0(VALU_DEP_1)
	v_cmp_le_i32_e32 vcc_lo, s0, v2
	s_and_saveexec_b32 s0, vcc_lo
	s_wait_alu 0xfffe
	s_xor_b32 s0, exec_lo, s0
	s_cbranch_execz .LBB91_77
; %bb.73:
	s_ashr_i32 s3, s23, 31
	s_mov_b32 s2, s23
	s_wait_alu 0xfffe
	s_lshl_b64 s[2:3], s[2:3], 2
	s_wait_alu 0xfffe
	s_add_nc_u64 s[2:3], s[12:13], s[2:3]
	s_load_b32 s1, s[2:3], 0x0
	s_mov_b32 s2, exec_lo
	s_wait_kmcnt 0x0
	s_sub_co_i32 s1, s1, s26
	s_wait_alu 0xfffe
	v_cmpx_gt_i32_e64 s1, v1
	s_cbranch_execz .LBB91_76
; %bb.74:
	v_lshlrev_b32_e32 v3, 3, v0
	s_mov_b32 s3, 0
.LBB91_75:                              ; =>This Inner Loop Header: Depth=1
	v_ashrrev_i32_e32 v2, 31, v1
	s_delay_alu instid0(VALU_DEP_1) | instskip(SKIP_1) | instid1(VALU_DEP_2)
	v_lshlrev_b64_e32 v[9:10], 2, v[1:2]
	v_add_nc_u32_e32 v1, 0x100, v1
	v_add_co_u32 v11, vcc_lo, s14, v9
	s_wait_alu 0xfffd
	s_delay_alu instid0(VALU_DEP_3)
	v_add_co_ci_u32_e64 v12, null, s15, v10, vcc_lo
	v_add_co_u32 v9, vcc_lo, s16, v9
	s_wait_alu 0xfffd
	v_add_co_ci_u32_e64 v10, null, s17, v10, vcc_lo
	global_load_b32 v2, v[11:12], off
	global_load_b32 v4, v[9:10], off
	s_wait_loadcnt 0x1
	v_subrev_nc_u32_e32 v9, s26, v2
	s_wait_loadcnt 0x0
	v_cvt_f64_f32_e32 v[11:12], v4
	s_delay_alu instid0(VALU_DEP_2) | instskip(NEXT) | instid1(VALU_DEP_1)
	v_ashrrev_i32_e32 v10, 31, v9
	v_lshlrev_b64_e32 v[9:10], 3, v[9:10]
	s_delay_alu instid0(VALU_DEP_1) | instskip(SKIP_1) | instid1(VALU_DEP_2)
	v_add_co_u32 v9, vcc_lo, s18, v9
	s_wait_alu 0xfffd
	v_add_co_ci_u32_e64 v10, null, s19, v10, vcc_lo
	v_cmp_le_i32_e32 vcc_lo, s1, v1
	global_load_b64 v[9:10], v[9:10], off
	s_wait_alu 0xfffe
	s_or_b32 s3, vcc_lo, s3
	v_mul_f64_e32 v[11:12], v[7:8], v[11:12]
	s_wait_loadcnt 0x0
	s_delay_alu instid0(VALU_DEP_1)
	v_mul_f64_e32 v[9:10], v[11:12], v[9:10]
	ds_store_b64 v3, v[9:10]
	v_add_nc_u32_e32 v3, 0x800, v3
	s_wait_alu 0xfffe
	s_and_not1_b32 exec_lo, exec_lo, s3
	s_cbranch_execnz .LBB91_75
.LBB91_76:
	s_or_b32 exec_lo, exec_lo, s2
                                        ; implicit-def: $vgpr1
                                        ; implicit-def: $vgpr7_vgpr8
.LBB91_77:
	s_wait_alu 0xfffe
	s_or_saveexec_b32 s0, s0
	v_lshlrev_b32_e32 v9, 3, v0
	s_wait_alu 0xfffe
	s_xor_b32 exec_lo, exec_lo, s0
	s_cbranch_execz .LBB91_79
; %bb.78:
	v_ashrrev_i32_e32 v2, 31, v1
	s_delay_alu instid0(VALU_DEP_1) | instskip(NEXT) | instid1(VALU_DEP_1)
	v_lshlrev_b64_e32 v[1:2], 2, v[1:2]
	v_add_co_u32 v3, vcc_lo, s14, v1
	s_wait_alu 0xfffd
	s_delay_alu instid0(VALU_DEP_2)
	v_add_co_ci_u32_e64 v4, null, s15, v2, vcc_lo
	v_add_co_u32 v1, vcc_lo, s16, v1
	s_wait_alu 0xfffd
	v_add_co_ci_u32_e64 v2, null, s17, v2, vcc_lo
	s_clause 0x3
	global_load_b32 v10, v[3:4], off
	global_load_b32 v11, v[3:4], off offset:1024
	global_load_b32 v12, v[3:4], off offset:2048
	;; [unrolled: 1-line block ×3, first 2 shown]
	s_clause 0x3
	global_load_b32 v14, v[1:2], off
	global_load_b32 v16, v[1:2], off offset:1024
	global_load_b32 v18, v[1:2], off offset:2048
	;; [unrolled: 1-line block ×3, first 2 shown]
	s_wait_loadcnt 0x7
	v_subrev_nc_u32_e32 v1, s26, v10
	s_wait_loadcnt 0x6
	v_subrev_nc_u32_e32 v3, s26, v11
	;; [unrolled: 2-line block ×4, first 2 shown]
	s_wait_loadcnt 0x3
	v_cvt_f64_f32_e32 v[14:15], v14
	v_ashrrev_i32_e32 v2, 31, v1
	v_ashrrev_i32_e32 v4, 31, v3
	v_ashrrev_i32_e32 v11, 31, v10
	v_ashrrev_i32_e32 v13, 31, v12
	s_wait_loadcnt 0x2
	v_cvt_f64_f32_e32 v[16:17], v16
	v_lshlrev_b64_e32 v[1:2], 3, v[1:2]
	v_lshlrev_b64_e32 v[3:4], 3, v[3:4]
	v_lshlrev_b64_e32 v[10:11], 3, v[10:11]
	v_lshlrev_b64_e32 v[12:13], 3, v[12:13]
	s_wait_loadcnt 0x1
	v_cvt_f64_f32_e32 v[18:19], v18
	s_wait_loadcnt 0x0
	v_cvt_f64_f32_e32 v[20:21], v20
	v_add_co_u32 v1, vcc_lo, s18, v1
	s_wait_alu 0xfffd
	v_add_co_ci_u32_e64 v2, null, s19, v2, vcc_lo
	v_add_co_u32 v3, vcc_lo, s18, v3
	s_wait_alu 0xfffd
	v_add_co_ci_u32_e64 v4, null, s19, v4, vcc_lo
	;; [unrolled: 3-line block ×4, first 2 shown]
	s_clause 0x3
	global_load_b64 v[1:2], v[1:2], off
	global_load_b64 v[3:4], v[3:4], off
	global_load_b64 v[10:11], v[10:11], off
	global_load_b64 v[12:13], v[12:13], off
	v_mul_f64_e32 v[14:15], v[7:8], v[14:15]
	v_mul_f64_e32 v[16:17], v[7:8], v[16:17]
	;; [unrolled: 1-line block ×4, first 2 shown]
	s_wait_loadcnt 0x3
	s_delay_alu instid0(VALU_DEP_4) | instskip(SKIP_1) | instid1(VALU_DEP_4)
	v_mul_f64_e32 v[1:2], v[14:15], v[1:2]
	s_wait_loadcnt 0x2
	v_mul_f64_e32 v[3:4], v[16:17], v[3:4]
	s_wait_loadcnt 0x1
	s_delay_alu instid0(VALU_DEP_4) | instskip(SKIP_1) | instid1(VALU_DEP_4)
	v_mul_f64_e32 v[10:11], v[18:19], v[10:11]
	s_wait_loadcnt 0x0
	v_mul_f64_e32 v[7:8], v[7:8], v[12:13]
	ds_store_2addr_stride64_b64 v9, v[1:2], v[3:4] offset1:4
	ds_store_2addr_stride64_b64 v9, v[10:11], v[7:8] offset0:8 offset1:12
.LBB91_79:
	s_or_b32 exec_lo, exec_lo, s0
	s_cmp_lt_i32 s27, 2
	s_mov_b32 s0, -1
	s_wait_storecnt 0x0
	s_wait_loadcnt_dscnt 0x0
	s_barrier_signal -1
	s_barrier_wait -1
	global_inv scope:SCOPE_SE
	s_cbranch_scc0 .LBB91_90
; %bb.80:
	v_add_nc_u32_e32 v1, s22, v0
	s_mov_b32 s2, exec_lo
	s_delay_alu instid0(VALU_DEP_1)
	v_cmpx_gt_i32_e64 s23, v1
	s_cbranch_execz .LBB91_89
; %bb.81:
	s_lshl_b32 s0, s31, 3
	s_mov_b32 s3, 0
	s_wait_alu 0xfffe
	s_sub_co_i32 s4, 0, s0
	v_cmp_neq_f64_e32 vcc_lo, 0, v[5:6]
	s_branch .LBB91_83
.LBB91_82:                              ;   in Loop: Header=BB91_83 Depth=1
	s_wait_alu 0xfffe
	s_or_b32 exec_lo, exec_lo, s1
	v_add_nc_u32_e32 v1, 0x100, v1
	v_add_co_u32 v7, s1, s20, v7
	s_wait_alu 0xf1ff
	v_add_co_ci_u32_e64 v8, null, s21, v8, s1
	s_delay_alu instid0(VALU_DEP_3)
	v_cmp_le_i32_e64 s0, s23, v1
	global_store_b64 v[7:8], v[3:4], off
	s_or_b32 s3, s0, s3
	s_wait_alu 0xfffe
	s_and_not1_b32 exec_lo, exec_lo, s3
	s_cbranch_execz .LBB91_89
.LBB91_83:                              ; =>This Loop Header: Depth=1
                                        ;     Child Loop BB91_85 Depth 2
	v_ashrrev_i32_e32 v2, 31, v1
	s_mov_b32 s1, exec_lo
	s_delay_alu instid0(VALU_DEP_1) | instskip(NEXT) | instid1(VALU_DEP_1)
	v_lshlrev_b64_e32 v[3:4], 2, v[1:2]
	v_add_co_u32 v3, s0, s12, v3
	s_wait_alu 0xf1ff
	s_delay_alu instid0(VALU_DEP_2)
	v_add_co_ci_u32_e64 v4, null, s13, v4, s0
	global_load_b64 v[7:8], v[3:4], off
	v_mov_b32_e32 v3, 0
	v_mov_b32_e32 v4, 0
	s_wait_loadcnt 0x0
	v_cmpx_lt_i32_e64 v7, v8
	s_cbranch_execz .LBB91_87
; %bb.84:                               ;   in Loop: Header=BB91_83 Depth=1
	v_mov_b32_e32 v3, 0
	v_subrev_nc_u32_e32 v8, s31, v8
	v_subrev_nc_u32_e32 v10, s31, v7
	v_mov_b32_e32 v4, 0
	s_wait_alu 0xfffe
	v_lshl_add_u32 v7, v7, 3, s4
	s_mov_b32 s5, 0
.LBB91_85:                              ;   Parent Loop BB91_83 Depth=1
                                        ; =>  This Inner Loop Header: Depth=2
	ds_load_b64 v[11:12], v7
	v_add_nc_u32_e32 v10, 1, v10
	v_add_nc_u32_e32 v7, 8, v7
	s_delay_alu instid0(VALU_DEP_2)
	v_cmp_ge_i32_e64 s0, v10, v8
	s_wait_alu 0xfffe
	s_or_b32 s5, s0, s5
	s_wait_dscnt 0x0
	v_add_f64_e32 v[3:4], v[3:4], v[11:12]
	s_wait_alu 0xfffe
	s_and_not1_b32 exec_lo, exec_lo, s5
	s_cbranch_execnz .LBB91_85
; %bb.86:                               ;   in Loop: Header=BB91_83 Depth=1
	s_or_b32 exec_lo, exec_lo, s5
.LBB91_87:                              ;   in Loop: Header=BB91_83 Depth=1
	s_wait_alu 0xfffe
	s_or_b32 exec_lo, exec_lo, s1
	v_lshlrev_b64_e32 v[7:8], 3, v[1:2]
	s_and_saveexec_b32 s1, vcc_lo
	s_cbranch_execz .LBB91_82
; %bb.88:                               ;   in Loop: Header=BB91_83 Depth=1
	s_delay_alu instid0(VALU_DEP_1) | instskip(SKIP_1) | instid1(VALU_DEP_2)
	v_add_co_u32 v10, s0, s20, v7
	s_wait_alu 0xf1ff
	v_add_co_ci_u32_e64 v11, null, s21, v8, s0
	global_load_b64 v[10:11], v[10:11], off
	s_wait_loadcnt 0x0
	v_fma_f64 v[3:4], v[5:6], v[10:11], v[3:4]
	s_branch .LBB91_82
.LBB91_89:
	s_wait_alu 0xfffe
	s_or_b32 exec_lo, exec_lo, s2
	s_mov_b32 s0, 0
.LBB91_90:
	s_wait_alu 0xfffe
	s_and_not1_b32 vcc_lo, exec_lo, s0
	s_wait_alu 0xfffe
	s_cbranch_vccnz .LBB91_115
; %bb.91:
	s_clz_i32_u32 s0, s27
	s_mov_b32 s1, exec_lo
	s_wait_alu 0xfffe
	s_xor_b32 s0, s0, 31
	v_mov_b32_e32 v2, 0
	s_wait_alu 0xfffe
	v_lshrrev_b32_e32 v4, s0, v0
	s_add_co_i32 s0, s27, -1
	s_wait_alu 0xfffe
	v_dual_mov_b32 v3, 0 :: v_dual_and_b32 v0, s0, v0
	s_delay_alu instid0(VALU_DEP_2) | instskip(NEXT) | instid1(VALU_DEP_1)
	v_add_nc_u32_e32 v1, s22, v4
	v_cmp_le_i32_e32 vcc_lo, s23, v1
	v_cmpx_gt_i32_e64 s23, v1
	s_cbranch_execz .LBB91_97
; %bb.92:
	v_lshlrev_b32_e32 v2, 2, v4
	v_subrev_nc_u32_e32 v7, s31, v0
	s_mov_b32 s2, exec_lo
	global_load_b64 v[2:3], v2, s[24:25]
	s_wait_loadcnt 0x0
	v_subrev_nc_u32_e32 v4, s31, v3
	v_dual_mov_b32 v2, 0 :: v_dual_add_nc_u32 v7, v2, v7
	v_mov_b32_e32 v3, 0
	s_delay_alu instid0(VALU_DEP_2)
	v_cmpx_lt_i32_e64 v7, v4
	s_cbranch_execz .LBB91_96
; %bb.93:
	v_mov_b32_e32 v2, 0
	v_dual_mov_b32 v3, 0 :: v_dual_lshlrev_b32 v8, 3, v7
	s_lshl_b32 s4, s27, 3
	s_mov_b32 s3, 0
.LBB91_94:                              ; =>This Inner Loop Header: Depth=1
	ds_load_b64 v[10:11], v8
	v_add_nc_u32_e32 v7, s27, v7
	s_wait_alu 0xfffe
	v_add_nc_u32_e32 v8, s4, v8
	s_delay_alu instid0(VALU_DEP_2)
	v_cmp_ge_i32_e64 s0, v7, v4
	s_or_b32 s3, s0, s3
	s_wait_dscnt 0x0
	v_add_f64_e32 v[2:3], v[2:3], v[10:11]
	s_wait_alu 0xfffe
	s_and_not1_b32 exec_lo, exec_lo, s3
	s_cbranch_execnz .LBB91_94
; %bb.95:
	s_or_b32 exec_lo, exec_lo, s3
.LBB91_96:
	s_wait_alu 0xfffe
	s_or_b32 exec_lo, exec_lo, s2
.LBB91_97:
	s_delay_alu instid0(SALU_CYCLE_1)
	s_or_b32 exec_lo, exec_lo, s1
	s_cmp_lt_u32 s27, 0x81
	s_wait_loadcnt 0x0
	s_wait_storecnt 0x0
	s_barrier_signal -1
	s_barrier_wait -1
	global_inv scope:SCOPE_SE
	ds_store_b64 v9, v[2:3]
	s_wait_loadcnt_dscnt 0x0
	s_barrier_signal -1
	s_barrier_wait -1
	global_inv scope:SCOPE_SE
	s_cbranch_scc1 .LBB91_99
; %bb.98:
	ds_load_b64 v[7:8], v9 offset:1024
	s_wait_loadcnt_dscnt 0x0
	s_barrier_signal -1
	s_barrier_wait -1
	global_inv scope:SCOPE_SE
	v_add_f64_e32 v[2:3], v[2:3], v[7:8]
	ds_store_b64 v9, v[2:3]
.LBB91_99:
	s_cmp_lt_u32 s27, 0x41
	s_wait_loadcnt_dscnt 0x0
	s_barrier_signal -1
	s_barrier_wait -1
	global_inv scope:SCOPE_SE
	s_cbranch_scc1 .LBB91_101
; %bb.100:
	ds_load_b64 v[7:8], v9 offset:512
	s_wait_loadcnt_dscnt 0x0
	s_barrier_signal -1
	s_barrier_wait -1
	global_inv scope:SCOPE_SE
	v_add_f64_e32 v[2:3], v[2:3], v[7:8]
	ds_store_b64 v9, v[2:3]
.LBB91_101:
	s_cmp_lt_u32 s27, 33
	;; [unrolled: 15-line block ×5, first 2 shown]
	s_wait_loadcnt_dscnt 0x0
	s_barrier_signal -1
	s_barrier_wait -1
	global_inv scope:SCOPE_SE
	s_cbranch_scc1 .LBB91_109
; %bb.108:
	ds_load_b64 v[7:8], v9 offset:32
	s_wait_loadcnt_dscnt 0x0
	s_barrier_signal -1
	s_barrier_wait -1
	global_inv scope:SCOPE_SE
	v_add_f64_e32 v[2:3], v[2:3], v[7:8]
	ds_store_b64 v9, v[2:3]
.LBB91_109:
	s_cmp_eq_u32 s27, 2
	s_wait_loadcnt_dscnt 0x0
	s_barrier_signal -1
	s_barrier_wait -1
	global_inv scope:SCOPE_SE
	s_cbranch_scc1 .LBB91_111
; %bb.110:
	ds_load_b64 v[7:8], v9 offset:16
	s_wait_loadcnt_dscnt 0x0
	s_barrier_signal -1
	s_barrier_wait -1
	global_inv scope:SCOPE_SE
	v_add_f64_e32 v[2:3], v[2:3], v[7:8]
	ds_store_b64 v9, v[2:3]
.LBB91_111:
	s_wait_loadcnt_dscnt 0x0
	s_barrier_signal -1
	s_barrier_wait -1
	global_inv scope:SCOPE_SE
	ds_load_b64 v[7:8], v9 offset:8
	v_cmp_eq_u32_e64 s0, 0, v0
	s_xor_b32 s1, vcc_lo, -1
	s_wait_loadcnt_dscnt 0x0
	s_barrier_signal -1
	s_barrier_wait -1
	s_wait_alu 0xfffe
	s_and_b32 s0, s0, s1
	global_inv scope:SCOPE_SE
	v_add_f64_e32 v[3:4], v[2:3], v[7:8]
	ds_store_b64 v9, v[3:4]
	s_wait_alu 0xfffe
	s_and_b32 exec_lo, exec_lo, s0
	s_cbranch_execz .LBB91_115
; %bb.112:
	v_ashrrev_i32_e32 v2, 31, v1
	s_mov_b32 s0, exec_lo
	s_delay_alu instid0(VALU_DEP_1)
	v_lshlrev_b64_e32 v[0:1], 3, v[1:2]
	v_cmpx_neq_f64_e32 0, v[5:6]
	s_cbranch_execz .LBB91_114
; %bb.113:
	s_delay_alu instid0(VALU_DEP_2) | instskip(SKIP_1) | instid1(VALU_DEP_3)
	v_add_co_u32 v7, vcc_lo, s20, v0
	s_wait_alu 0xfffd
	v_add_co_ci_u32_e64 v8, null, s21, v1, vcc_lo
	global_load_b64 v[7:8], v[7:8], off
	s_wait_loadcnt 0x0
	v_fma_f64 v[3:4], v[5:6], v[7:8], v[3:4]
.LBB91_114:
	s_wait_alu 0xfffe
	s_or_b32 exec_lo, exec_lo, s0
	s_delay_alu instid0(VALU_DEP_2)
	v_add_co_u32 v0, vcc_lo, s20, v0
	s_wait_alu 0xfffd
	v_add_co_ci_u32_e64 v1, null, s21, v1, vcc_lo
	global_store_b64 v[0:1], v[3:4], off
.LBB91_115:
	s_endpgm
	.section	.rodata,"a",@progbits
	.p2align	6, 0x0
	.amdhsa_kernel _ZN9rocsparseL22csrmvn_adaptive_kernelIiifdddEEvbT_PKS1_PjPKT0_NS_24const_host_device_scalarIT4_EES3_S7_PKT1_PKT2_SA_PT3_21rocsparse_index_base_b
		.amdhsa_group_segment_fixed_size 8192
		.amdhsa_private_segment_fixed_size 0
		.amdhsa_kernarg_size 96
		.amdhsa_user_sgpr_count 2
		.amdhsa_user_sgpr_dispatch_ptr 0
		.amdhsa_user_sgpr_queue_ptr 0
		.amdhsa_user_sgpr_kernarg_segment_ptr 1
		.amdhsa_user_sgpr_dispatch_id 0
		.amdhsa_user_sgpr_private_segment_size 0
		.amdhsa_wavefront_size32 1
		.amdhsa_uses_dynamic_stack 0
		.amdhsa_enable_private_segment 0
		.amdhsa_system_sgpr_workgroup_id_x 1
		.amdhsa_system_sgpr_workgroup_id_y 0
		.amdhsa_system_sgpr_workgroup_id_z 0
		.amdhsa_system_sgpr_workgroup_info 0
		.amdhsa_system_vgpr_workitem_id 0
		.amdhsa_next_free_vgpr 22
		.amdhsa_next_free_sgpr 40
		.amdhsa_reserve_vcc 1
		.amdhsa_float_round_mode_32 0
		.amdhsa_float_round_mode_16_64 0
		.amdhsa_float_denorm_mode_32 3
		.amdhsa_float_denorm_mode_16_64 3
		.amdhsa_fp16_overflow 0
		.amdhsa_workgroup_processor_mode 1
		.amdhsa_memory_ordered 1
		.amdhsa_forward_progress 1
		.amdhsa_inst_pref_size 41
		.amdhsa_round_robin_scheduling 0
		.amdhsa_exception_fp_ieee_invalid_op 0
		.amdhsa_exception_fp_denorm_src 0
		.amdhsa_exception_fp_ieee_div_zero 0
		.amdhsa_exception_fp_ieee_overflow 0
		.amdhsa_exception_fp_ieee_underflow 0
		.amdhsa_exception_fp_ieee_inexact 0
		.amdhsa_exception_int_div_zero 0
	.end_amdhsa_kernel
	.section	.text._ZN9rocsparseL22csrmvn_adaptive_kernelIiifdddEEvbT_PKS1_PjPKT0_NS_24const_host_device_scalarIT4_EES3_S7_PKT1_PKT2_SA_PT3_21rocsparse_index_base_b,"axG",@progbits,_ZN9rocsparseL22csrmvn_adaptive_kernelIiifdddEEvbT_PKS1_PjPKT0_NS_24const_host_device_scalarIT4_EES3_S7_PKT1_PKT2_SA_PT3_21rocsparse_index_base_b,comdat
.Lfunc_end91:
	.size	_ZN9rocsparseL22csrmvn_adaptive_kernelIiifdddEEvbT_PKS1_PjPKT0_NS_24const_host_device_scalarIT4_EES3_S7_PKT1_PKT2_SA_PT3_21rocsparse_index_base_b, .Lfunc_end91-_ZN9rocsparseL22csrmvn_adaptive_kernelIiifdddEEvbT_PKS1_PjPKT0_NS_24const_host_device_scalarIT4_EES3_S7_PKT1_PKT2_SA_PT3_21rocsparse_index_base_b
                                        ; -- End function
	.set _ZN9rocsparseL22csrmvn_adaptive_kernelIiifdddEEvbT_PKS1_PjPKT0_NS_24const_host_device_scalarIT4_EES3_S7_PKT1_PKT2_SA_PT3_21rocsparse_index_base_b.num_vgpr, 22
	.set _ZN9rocsparseL22csrmvn_adaptive_kernelIiifdddEEvbT_PKS1_PjPKT0_NS_24const_host_device_scalarIT4_EES3_S7_PKT1_PKT2_SA_PT3_21rocsparse_index_base_b.num_agpr, 0
	.set _ZN9rocsparseL22csrmvn_adaptive_kernelIiifdddEEvbT_PKS1_PjPKT0_NS_24const_host_device_scalarIT4_EES3_S7_PKT1_PKT2_SA_PT3_21rocsparse_index_base_b.numbered_sgpr, 40
	.set _ZN9rocsparseL22csrmvn_adaptive_kernelIiifdddEEvbT_PKS1_PjPKT0_NS_24const_host_device_scalarIT4_EES3_S7_PKT1_PKT2_SA_PT3_21rocsparse_index_base_b.num_named_barrier, 0
	.set _ZN9rocsparseL22csrmvn_adaptive_kernelIiifdddEEvbT_PKS1_PjPKT0_NS_24const_host_device_scalarIT4_EES3_S7_PKT1_PKT2_SA_PT3_21rocsparse_index_base_b.private_seg_size, 0
	.set _ZN9rocsparseL22csrmvn_adaptive_kernelIiifdddEEvbT_PKS1_PjPKT0_NS_24const_host_device_scalarIT4_EES3_S7_PKT1_PKT2_SA_PT3_21rocsparse_index_base_b.uses_vcc, 1
	.set _ZN9rocsparseL22csrmvn_adaptive_kernelIiifdddEEvbT_PKS1_PjPKT0_NS_24const_host_device_scalarIT4_EES3_S7_PKT1_PKT2_SA_PT3_21rocsparse_index_base_b.uses_flat_scratch, 0
	.set _ZN9rocsparseL22csrmvn_adaptive_kernelIiifdddEEvbT_PKS1_PjPKT0_NS_24const_host_device_scalarIT4_EES3_S7_PKT1_PKT2_SA_PT3_21rocsparse_index_base_b.has_dyn_sized_stack, 0
	.set _ZN9rocsparseL22csrmvn_adaptive_kernelIiifdddEEvbT_PKS1_PjPKT0_NS_24const_host_device_scalarIT4_EES3_S7_PKT1_PKT2_SA_PT3_21rocsparse_index_base_b.has_recursion, 0
	.set _ZN9rocsparseL22csrmvn_adaptive_kernelIiifdddEEvbT_PKS1_PjPKT0_NS_24const_host_device_scalarIT4_EES3_S7_PKT1_PKT2_SA_PT3_21rocsparse_index_base_b.has_indirect_call, 0
	.section	.AMDGPU.csdata,"",@progbits
; Kernel info:
; codeLenInByte = 5208
; TotalNumSgprs: 42
; NumVgprs: 22
; ScratchSize: 0
; MemoryBound: 0
; FloatMode: 240
; IeeeMode: 1
; LDSByteSize: 8192 bytes/workgroup (compile time only)
; SGPRBlocks: 0
; VGPRBlocks: 2
; NumSGPRsForWavesPerEU: 42
; NumVGPRsForWavesPerEU: 22
; Occupancy: 16
; WaveLimiterHint : 1
; COMPUTE_PGM_RSRC2:SCRATCH_EN: 0
; COMPUTE_PGM_RSRC2:USER_SGPR: 2
; COMPUTE_PGM_RSRC2:TRAP_HANDLER: 0
; COMPUTE_PGM_RSRC2:TGID_X_EN: 1
; COMPUTE_PGM_RSRC2:TGID_Y_EN: 0
; COMPUTE_PGM_RSRC2:TGID_Z_EN: 0
; COMPUTE_PGM_RSRC2:TIDIG_COMP_CNT: 0
	.section	.text._ZN9rocsparseL27csrmvn_symm_adaptive_kernelIiifdddEEvbT_S1_PKS1_NS_24const_host_device_scalarIT4_EES3_PKT0_PKT1_PKT2_S6_PT3_21rocsparse_index_base_b,"axG",@progbits,_ZN9rocsparseL27csrmvn_symm_adaptive_kernelIiifdddEEvbT_S1_PKS1_NS_24const_host_device_scalarIT4_EES3_PKT0_PKT1_PKT2_S6_PT3_21rocsparse_index_base_b,comdat
	.globl	_ZN9rocsparseL27csrmvn_symm_adaptive_kernelIiifdddEEvbT_S1_PKS1_NS_24const_host_device_scalarIT4_EES3_PKT0_PKT1_PKT2_S6_PT3_21rocsparse_index_base_b ; -- Begin function _ZN9rocsparseL27csrmvn_symm_adaptive_kernelIiifdddEEvbT_S1_PKS1_NS_24const_host_device_scalarIT4_EES3_PKT0_PKT1_PKT2_S6_PT3_21rocsparse_index_base_b
	.p2align	8
	.type	_ZN9rocsparseL27csrmvn_symm_adaptive_kernelIiifdddEEvbT_S1_PKS1_NS_24const_host_device_scalarIT4_EES3_PKT0_PKT1_PKT2_S6_PT3_21rocsparse_index_base_b,@function
_ZN9rocsparseL27csrmvn_symm_adaptive_kernelIiifdddEEvbT_S1_PKS1_NS_24const_host_device_scalarIT4_EES3_PKT0_PKT1_PKT2_S6_PT3_21rocsparse_index_base_b: ; @_ZN9rocsparseL27csrmvn_symm_adaptive_kernelIiifdddEEvbT_S1_PKS1_NS_24const_host_device_scalarIT4_EES3_PKT0_PKT1_PKT2_S6_PT3_21rocsparse_index_base_b
; %bb.0:
	s_clause 0x2
	s_load_b64 s[20:21], s[0:1], 0x50
	s_load_b64 s[4:5], s[0:1], 0x18
	;; [unrolled: 1-line block ×3, first 2 shown]
	s_wait_kmcnt 0x0
	s_bitcmp1_b32 s21, 0
	v_dual_mov_b32 v8, s5 :: v_dual_mov_b32 v7, s4
	s_cselect_b32 s6, -1, 0
	s_delay_alu instid0(SALU_CYCLE_1)
	s_and_b32 vcc_lo, exec_lo, s6
	s_xor_b32 s6, s6, -1
	s_cbranch_vccnz .LBB92_2
; %bb.1:
	v_dual_mov_b32 v1, s4 :: v_dual_mov_b32 v2, s5
	flat_load_b64 v[7:8], v[1:2]
.LBB92_2:
	v_dual_mov_b32 v1, s2 :: v_dual_mov_b32 v2, s3
	s_and_not1_b32 vcc_lo, exec_lo, s6
	s_cbranch_vccnz .LBB92_4
; %bb.3:
	v_dual_mov_b32 v1, s2 :: v_dual_mov_b32 v2, s3
	flat_load_b64 v[1:2], v[1:2]
.LBB92_4:
	s_wait_loadcnt_dscnt 0x0
	v_cmp_neq_f64_e32 vcc_lo, 0, v[7:8]
	v_cmp_neq_f64_e64 s2, 1.0, v[1:2]
	s_or_b32 s2, vcc_lo, s2
	s_wait_alu 0xfffe
	s_and_saveexec_b32 s3, s2
	s_cbranch_execz .LBB92_171
; %bb.5:
	s_load_b64 s[4:5], s[0:1], 0x10
	s_mov_b32 s6, 0
	s_mov_b32 s2, ttmp9
	s_mov_b32 s7, s6
	v_dual_mov_b32 v1, s6 :: v_dual_lshlrev_b32 v16, 3, v0
	s_ashr_i32 s3, ttmp9, 31
	v_mov_b32_e32 v2, s7
	s_wait_alu 0xfffe
	s_lshl_b64 s[2:3], s[2:3], 2
	ds_store_2addr_stride64_b64 v16, v[1:2], v[1:2] offset1:4
	ds_store_2addr_stride64_b64 v16, v[1:2], v[1:2] offset0:8 offset1:12
	s_wait_dscnt 0x0
	s_barrier_signal -1
	s_barrier_wait -1
	global_inv scope:SCOPE_SE
	v_subrev_nc_u32_e32 v13, s20, v0
	s_wait_kmcnt 0x0
	s_wait_alu 0xfffe
	s_add_nc_u64 s[2:3], s[4:5], s[2:3]
	s_load_b64 s[18:19], s[2:3], 0x0
	s_clause 0x1
	s_load_b256 s[8:15], s[0:1], 0x20
	s_load_b64 s[16:17], s[0:1], 0x48
	s_mov_b32 s2, -1
	s_wait_kmcnt 0x0
	s_sub_co_i32 s21, s19, s18
	s_wait_alu 0xfffe
	s_cmp_gt_i32 s21, 2
	s_cbranch_scc1 .LBB92_39
; %bb.6:
	s_cmp_le_i32 s19, s18
	s_cbranch_scc1 .LBB92_28
; %bb.7:
	v_cmp_gt_u32_e64 s2, 16, v0
	v_cmp_gt_u32_e64 s3, 4, v0
	v_cmp_eq_u32_e64 s4, 0, v0
	v_mov_b32_e32 v11, 0
	s_mov_b32 s22, s18
	v_cmp_gt_u32_e32 vcc_lo, 64, v0
	s_branch .LBB92_9
.LBB92_8:                               ;   in Loop: Header=BB92_9 Depth=1
	s_wait_alu 0xfffe
	s_or_b32 exec_lo, exec_lo, s24
	s_add_co_i32 s22, s22, 1
	s_delay_alu instid0(SALU_CYCLE_1)
	s_cmp_ge_i32 s22, s19
	s_cbranch_scc1 .LBB92_28
.LBB92_9:                               ; =>This Loop Header: Depth=1
                                        ;     Child Loop BB92_11 Depth 2
                                        ;     Child Loop BB92_23 Depth 2
	;; [unrolled: 1-line block ×3, first 2 shown]
	s_ashr_i32 s23, s22, 31
	v_mov_b32_e32 v2, 0
	s_lshl_b64 s[6:7], s[22:23], 2
	v_mov_b32_e32 v3, 0
	s_wait_alu 0xfffe
	s_add_nc_u64 s[6:7], s[8:9], s[6:7]
	s_load_b64 s[6:7], s[6:7], 0x0
	s_wait_kmcnt 0x0
	v_add_nc_u32_e32 v1, s6, v13
	s_sub_co_i32 s24, s7, s20
	s_mov_b32 s7, exec_lo
	s_wait_alu 0xfffe
	s_delay_alu instid0(VALU_DEP_1)
	v_cmpx_gt_i32_e64 s24, v1
	s_cbranch_execz .LBB92_13
; %bb.10:                               ;   in Loop: Header=BB92_9 Depth=1
	v_ashrrev_i32_e32 v2, 31, v1
	s_mov_b32 s25, 0
	s_delay_alu instid0(VALU_DEP_1) | instskip(SKIP_2) | instid1(VALU_DEP_3)
	v_lshlrev_b64_e32 v[9:10], 2, v[1:2]
	v_mov_b32_e32 v2, 0
	v_mov_b32_e32 v3, 0
	v_add_co_u32 v4, s5, s10, v9
	s_wait_alu 0xf1ff
	s_delay_alu instid0(VALU_DEP_4)
	v_add_co_ci_u32_e64 v5, null, s11, v10, s5
	v_add_co_u32 v9, s5, s12, v9
	s_wait_alu 0xf1ff
	v_add_co_ci_u32_e64 v10, null, s13, v10, s5
.LBB92_11:                              ;   Parent Loop BB92_9 Depth=1
                                        ; =>  This Inner Loop Header: Depth=2
	global_load_b32 v6, v[4:5], off
	global_load_b32 v12, v[9:10], off
	v_add_nc_u32_e32 v1, 0x100, v1
	v_add_co_u32 v9, s6, 0x400, v9
	s_wait_alu 0xf1ff
	v_add_co_ci_u32_e64 v10, null, 0, v10, s6
	s_wait_loadcnt 0x1
	v_subrev_nc_u32_e32 v14, s20, v6
	s_wait_loadcnt 0x0
	v_cvt_f64_f32_e32 v[17:18], v12
	s_delay_alu instid0(VALU_DEP_2) | instskip(NEXT) | instid1(VALU_DEP_1)
	v_ashrrev_i32_e32 v15, 31, v14
	v_lshlrev_b64_e32 v[14:15], 3, v[14:15]
	s_delay_alu instid0(VALU_DEP_1) | instskip(SKIP_1) | instid1(VALU_DEP_2)
	v_add_co_u32 v14, s5, s14, v14
	s_wait_alu 0xf1ff
	v_add_co_ci_u32_e64 v15, null, s15, v15, s5
	v_add_co_u32 v4, s5, 0x400, v4
	s_wait_alu 0xf1ff
	v_add_co_ci_u32_e64 v5, null, 0, v5, s5
	global_load_b64 v[14:15], v[14:15], off
	v_cmp_le_i32_e64 s5, s24, v1
	s_wait_alu 0xfffe
	s_or_b32 s25, s5, s25
	s_wait_loadcnt 0x0
	v_fma_f64 v[2:3], v[17:18], v[14:15], v[2:3]
	s_wait_alu 0xfffe
	s_and_not1_b32 exec_lo, exec_lo, s25
	s_cbranch_execnz .LBB92_11
; %bb.12:                               ;   in Loop: Header=BB92_9 Depth=1
	s_or_b32 exec_lo, exec_lo, s25
.LBB92_13:                              ;   in Loop: Header=BB92_9 Depth=1
	s_wait_alu 0xfffe
	s_or_b32 exec_lo, exec_lo, s7
	ds_store_b64 v16, v[2:3]
	s_wait_loadcnt_dscnt 0x0
	s_barrier_signal -1
	s_barrier_wait -1
	global_inv scope:SCOPE_SE
	ds_load_2addr_stride64_b64 v[1:4], v16 offset1:4
	ds_load_2addr_stride64_b64 v[17:20], v16 offset0:8 offset1:12
	s_wait_dscnt 0x0
	v_add_f64_e32 v[3:4], v[3:4], v[17:18]
	s_delay_alu instid0(VALU_DEP_1) | instskip(NEXT) | instid1(VALU_DEP_1)
	v_add_f64_e32 v[3:4], v[3:4], v[19:20]
	v_add_f64_e32 v[1:2], v[1:2], v[3:4]
	ds_store_b64 v16, v[1:2]
	s_wait_loadcnt_dscnt 0x0
	s_barrier_signal -1
	s_barrier_wait -1
	global_inv scope:SCOPE_SE
	s_and_saveexec_b32 s5, vcc_lo
	s_cbranch_execz .LBB92_15
; %bb.14:                               ;   in Loop: Header=BB92_9 Depth=1
	ds_load_2addr_stride64_b64 v[1:4], v16 offset1:1
	ds_load_2addr_stride64_b64 v[17:20], v16 offset0:2 offset1:3
	s_wait_dscnt 0x0
	v_add_f64_e32 v[3:4], v[3:4], v[17:18]
	s_delay_alu instid0(VALU_DEP_1) | instskip(NEXT) | instid1(VALU_DEP_1)
	v_add_f64_e32 v[3:4], v[3:4], v[19:20]
	v_add_f64_e32 v[1:2], v[1:2], v[3:4]
	ds_store_b64 v16, v[1:2]
.LBB92_15:                              ;   in Loop: Header=BB92_9 Depth=1
	s_wait_alu 0xfffe
	s_or_b32 exec_lo, exec_lo, s5
	s_wait_loadcnt_dscnt 0x0
	s_barrier_signal -1
	s_barrier_wait -1
	global_inv scope:SCOPE_SE
	s_and_saveexec_b32 s5, s2
	s_cbranch_execz .LBB92_17
; %bb.16:                               ;   in Loop: Header=BB92_9 Depth=1
	ds_load_2addr_b64 v[1:4], v16 offset1:16
	ds_load_2addr_b64 v[17:20], v16 offset0:32 offset1:48
	s_wait_dscnt 0x0
	v_add_f64_e32 v[3:4], v[3:4], v[17:18]
	s_delay_alu instid0(VALU_DEP_1) | instskip(NEXT) | instid1(VALU_DEP_1)
	v_add_f64_e32 v[3:4], v[3:4], v[19:20]
	v_add_f64_e32 v[1:2], v[1:2], v[3:4]
	ds_store_b64 v16, v[1:2]
.LBB92_17:                              ;   in Loop: Header=BB92_9 Depth=1
	s_wait_alu 0xfffe
	s_or_b32 exec_lo, exec_lo, s5
	s_wait_loadcnt_dscnt 0x0
	s_barrier_signal -1
	s_barrier_wait -1
	global_inv scope:SCOPE_SE
	s_and_saveexec_b32 s5, s3
	s_cbranch_execz .LBB92_19
; %bb.18:                               ;   in Loop: Header=BB92_9 Depth=1
	ds_load_2addr_b64 v[1:4], v16 offset1:4
	ds_load_2addr_b64 v[17:20], v16 offset0:8 offset1:12
	s_wait_dscnt 0x0
	v_add_f64_e32 v[3:4], v[3:4], v[17:18]
	s_delay_alu instid0(VALU_DEP_1) | instskip(NEXT) | instid1(VALU_DEP_1)
	v_add_f64_e32 v[3:4], v[3:4], v[19:20]
	v_add_f64_e32 v[1:2], v[1:2], v[3:4]
	ds_store_b64 v16, v[1:2]
.LBB92_19:                              ;   in Loop: Header=BB92_9 Depth=1
	s_wait_alu 0xfffe
	s_or_b32 exec_lo, exec_lo, s5
	s_wait_loadcnt_dscnt 0x0
	s_barrier_signal -1
	s_barrier_wait -1
	global_inv scope:SCOPE_SE
	s_and_saveexec_b32 s5, s4
	s_cbranch_execz .LBB92_21
; %bb.20:                               ;   in Loop: Header=BB92_9 Depth=1
	ds_load_2addr_b64 v[1:4], v11 offset0:1 offset1:2
	ds_load_b64 v[5:6], v16
	s_wait_dscnt 0x1
	v_add_f64_e32 v[1:2], v[1:2], v[3:4]
	ds_load_b64 v[3:4], v11 offset:24
	s_wait_dscnt 0x0
	v_add_f64_e32 v[1:2], v[1:2], v[3:4]
	s_delay_alu instid0(VALU_DEP_1)
	v_add_f64_e32 v[1:2], v[5:6], v[1:2]
	ds_store_b64 v16, v[1:2]
.LBB92_21:                              ;   in Loop: Header=BB92_9 Depth=1
	s_wait_alu 0xfffe
	s_or_b32 exec_lo, exec_lo, s5
	s_wait_loadcnt_dscnt 0x0
	s_barrier_signal -1
	s_barrier_wait -1
	global_inv scope:SCOPE_SE
	s_and_saveexec_b32 s24, s4
	s_cbranch_execz .LBB92_8
; %bb.22:                               ;   in Loop: Header=BB92_9 Depth=1
	ds_load_b64 v[1:2], v11
	v_mov_b32_e32 v5, 0
	v_bfrev_b32_e32 v6, 1
	s_mov_b32 s5, exec_lo
	s_wait_dscnt 0x0
	v_mul_f64_e32 v[1:2], v[7:8], v[1:2]
.LBB92_23:                              ;   Parent Loop BB92_9 Depth=1
                                        ; =>  This Inner Loop Header: Depth=2
	s_wait_alu 0xfffe
	s_ctz_i32_b32 s25, s5
	s_wait_alu 0xfffe
	s_delay_alu instid0(VALU_DEP_1) | instskip(NEXT) | instid1(VALU_DEP_2)
	v_readlane_b32 s7, v2, s25
	v_readlane_b32 s6, v1, s25
	s_wait_alu 0xf1ff
	s_delay_alu instid0(VALU_DEP_1)
	v_add_f64_e32 v[5:6], s[6:7], v[5:6]
	s_lshl_b32 s6, 1, s25
	s_wait_alu 0xfffe
	s_and_not1_b32 s5, s5, s6
	s_wait_alu 0xfffe
	s_cmp_lg_u32 s5, 0
	s_cbranch_scc1 .LBB92_23
; %bb.24:                               ;   in Loop: Header=BB92_9 Depth=1
	v_mbcnt_lo_u32_b32 v1, exec_lo, 0
	s_mov_b32 s6, exec_lo
	s_delay_alu instid0(VALU_DEP_1)
	v_cmpx_eq_u32_e32 0, v1
	s_wait_alu 0xfffe
	s_xor_b32 s6, exec_lo, s6
	s_cbranch_execz .LBB92_8
; %bb.25:                               ;   in Loop: Header=BB92_9 Depth=1
	s_lshl_b64 s[6:7], s[22:23], 3
	s_mov_b32 s23, 0
	s_wait_alu 0xfffe
	s_add_nc_u64 s[6:7], s[16:17], s[6:7]
	global_load_b64 v[3:4], v11, s[6:7]
.LBB92_26:                              ;   Parent Loop BB92_9 Depth=1
                                        ; =>  This Inner Loop Header: Depth=2
	s_wait_loadcnt 0x0
	v_add_f64_e32 v[1:2], v[3:4], v[5:6]
	global_atomic_cmpswap_b64 v[1:2], v11, v[1:4], s[6:7] th:TH_ATOMIC_RETURN scope:SCOPE_DEV
	s_wait_loadcnt 0x0
	v_cmp_eq_u64_e64 s5, v[1:2], v[3:4]
	v_dual_mov_b32 v4, v2 :: v_dual_mov_b32 v3, v1
	s_or_b32 s23, s5, s23
	s_delay_alu instid0(SALU_CYCLE_1)
	s_and_not1_b32 exec_lo, exec_lo, s23
	s_cbranch_execnz .LBB92_26
; %bb.27:                               ;   in Loop: Header=BB92_9 Depth=1
	s_or_b32 exec_lo, exec_lo, s23
	s_branch .LBB92_8
.LBB92_28:
	s_ashr_i32 s3, s18, 31
	s_mov_b32 s2, s18
	s_ashr_i32 s5, s19, 31
	s_wait_alu 0xfffe
	s_lshl_b64 s[2:3], s[2:3], 2
	s_mov_b32 s4, s19
	s_wait_alu 0xfffe
	s_add_nc_u64 s[2:3], s[8:9], s[2:3]
	s_lshl_b64 s[4:5], s[4:5], 2
	s_load_b32 s6, s[2:3], 0x0
	s_add_nc_u64 s[2:3], s[8:9], s[4:5]
	s_mov_b32 s4, exec_lo
	s_load_b32 s2, s[2:3], 0x0
	s_wait_kmcnt 0x0
	v_add_nc_u32_e32 v5, s6, v13
	s_sub_co_i32 s3, s2, s20
	s_wait_alu 0xfffe
	s_delay_alu instid0(VALU_DEP_1)
	v_cmpx_gt_i32_e64 s3, v5
	s_cbranch_execz .LBB92_38
; %bb.29:
	s_add_co_i32 s5, s19, -1
	s_mov_b32 s7, 0
	s_wait_alu 0xfffe
	s_cmp_lt_i32 s18, s5
	s_cselect_b32 s2, -1, 0
	s_add_co_i32 s6, s19, -2
	s_wait_alu 0xfffe
	s_cmp_lg_u32 s18, s6
	s_cselect_b32 s6, -1, 0
	s_wait_alu 0xfffe
	s_and_b32 s6, s2, s6
	s_branch .LBB92_31
.LBB92_30:                              ;   in Loop: Header=BB92_31 Depth=1
	s_wait_alu 0xfffe
	s_or_b32 exec_lo, exec_lo, s2
	v_add_nc_u32_e32 v5, 0x100, v5
	s_delay_alu instid0(VALU_DEP_1)
	v_cmp_le_i32_e32 vcc_lo, s3, v5
	s_or_b32 s7, vcc_lo, s7
	s_wait_alu 0xfffe
	s_and_not1_b32 exec_lo, exec_lo, s7
	s_cbranch_execz .LBB92_38
.LBB92_31:                              ; =>This Loop Header: Depth=1
                                        ;     Child Loop BB92_33 Depth 2
                                        ;     Child Loop BB92_37 Depth 2
	v_dual_mov_b32 v4, s18 :: v_dual_mov_b32 v1, s5
	s_wait_alu 0xfffe
	s_and_not1_b32 vcc_lo, exec_lo, s6
	s_wait_alu 0xfffe
	s_cbranch_vccnz .LBB92_35
; %bb.32:                               ;   in Loop: Header=BB92_31 Depth=1
	v_dual_mov_b32 v4, s18 :: v_dual_mov_b32 v1, s5
	s_mov_b32 s22, 0
.LBB92_33:                              ;   Parent Loop BB92_31 Depth=1
                                        ; =>  This Inner Loop Header: Depth=2
	s_delay_alu instid0(VALU_DEP_1) | instskip(NEXT) | instid1(VALU_DEP_1)
	v_add_nc_u32_e32 v2, v1, v4
	v_lshrrev_b32_e32 v3, 31, v2
	s_delay_alu instid0(VALU_DEP_1) | instskip(NEXT) | instid1(VALU_DEP_1)
	v_add_nc_u32_e32 v2, v2, v3
	v_ashrrev_i32_e32 v2, 1, v2
	s_delay_alu instid0(VALU_DEP_1) | instskip(NEXT) | instid1(VALU_DEP_1)
	v_ashrrev_i32_e32 v3, 31, v2
	v_lshlrev_b64_e32 v[9:10], 2, v[2:3]
	s_delay_alu instid0(VALU_DEP_1) | instskip(SKIP_1) | instid1(VALU_DEP_2)
	v_add_co_u32 v9, vcc_lo, s8, v9
	s_wait_alu 0xfffd
	v_add_co_ci_u32_e64 v10, null, s9, v10, vcc_lo
	global_load_b32 v3, v[9:10], off
	s_wait_loadcnt 0x0
	v_subrev_nc_u32_e32 v3, s20, v3
	s_delay_alu instid0(VALU_DEP_1) | instskip(SKIP_2) | instid1(VALU_DEP_1)
	v_cmp_lt_i32_e32 vcc_lo, v5, v3
	s_wait_alu 0xfffd
	v_dual_cndmask_b32 v1, v1, v2 :: v_dual_cndmask_b32 v4, v2, v4
	v_add_nc_u32_e32 v2, -1, v1
	s_delay_alu instid0(VALU_DEP_2) | instskip(NEXT) | instid1(VALU_DEP_2)
	v_cmp_ge_i32_e32 vcc_lo, v4, v1
	v_cmp_eq_u32_e64 s2, v4, v2
	s_or_b32 s2, vcc_lo, s2
	s_wait_alu 0xfffe
	s_and_b32 s2, exec_lo, s2
	s_wait_alu 0xfffe
	s_or_b32 s22, s2, s22
	s_delay_alu instid0(SALU_CYCLE_1)
	s_and_not1_b32 exec_lo, exec_lo, s22
	s_cbranch_execnz .LBB92_33
; %bb.34:                               ;   in Loop: Header=BB92_31 Depth=1
	s_or_b32 exec_lo, exec_lo, s22
.LBB92_35:                              ;   in Loop: Header=BB92_31 Depth=1
	v_ashrrev_i32_e32 v2, 31, v1
	v_ashrrev_i32_e32 v6, 31, v5
	s_mov_b32 s2, exec_lo
	s_delay_alu instid0(VALU_DEP_2) | instskip(NEXT) | instid1(VALU_DEP_1)
	v_lshlrev_b64_e32 v[2:3], 2, v[1:2]
	v_add_co_u32 v9, vcc_lo, s8, v2
	s_wait_alu 0xfffd
	s_delay_alu instid0(VALU_DEP_2)
	v_add_co_ci_u32_e64 v10, null, s9, v3, vcc_lo
	v_lshlrev_b64_e32 v[2:3], 2, v[5:6]
	global_load_b32 v6, v[9:10], off
	v_add_co_u32 v9, vcc_lo, s10, v2
	s_wait_alu 0xfffd
	v_add_co_ci_u32_e64 v10, null, s11, v3, vcc_lo
	global_load_b32 v10, v[9:10], off
	s_wait_loadcnt 0x1
	v_subrev_nc_u32_e32 v6, s20, v6
	s_delay_alu instid0(VALU_DEP_1) | instskip(SKIP_4) | instid1(VALU_DEP_1)
	v_cmp_lt_i32_e32 vcc_lo, v5, v6
	s_wait_alu 0xfffd
	v_cndmask_b32_e32 v9, v1, v4, vcc_lo
	s_wait_loadcnt 0x0
	v_subrev_nc_u32_e32 v1, s20, v10
	v_cmpx_ne_u32_e64 v1, v9
	s_cbranch_execz .LBB92_30
; %bb.36:                               ;   in Loop: Header=BB92_31 Depth=1
	v_add_co_u32 v2, vcc_lo, s12, v2
	s_wait_alu 0xfffd
	v_add_co_ci_u32_e64 v3, null, s13, v3, vcc_lo
	v_ashrrev_i32_e32 v10, 31, v9
	s_mov_b32 s22, 0
	global_load_b32 v6, v[2:3], off
	v_lshlrev_b64_e32 v[2:3], 3, v[9:10]
	s_delay_alu instid0(VALU_DEP_1) | instskip(SKIP_1) | instid1(VALU_DEP_2)
	v_add_co_u32 v2, vcc_lo, s14, v2
	s_wait_alu 0xfffd
	v_add_co_ci_u32_e64 v3, null, s15, v3, vcc_lo
	global_load_b64 v[11:12], v[2:3], off
	v_ashrrev_i32_e32 v2, 31, v1
	s_delay_alu instid0(VALU_DEP_1) | instskip(NEXT) | instid1(VALU_DEP_1)
	v_lshlrev_b64_e32 v[1:2], 3, v[1:2]
	v_add_co_u32 v9, vcc_lo, s16, v1
	s_wait_alu 0xfffd
	s_delay_alu instid0(VALU_DEP_2) | instskip(SKIP_3) | instid1(VALU_DEP_1)
	v_add_co_ci_u32_e64 v10, null, s17, v2, vcc_lo
	global_load_b64 v[3:4], v[9:10], off
	s_wait_loadcnt 0x2
	v_cvt_f64_f32_e32 v[1:2], v6
	v_mul_f64_e32 v[1:2], v[7:8], v[1:2]
	s_wait_loadcnt 0x1
	s_delay_alu instid0(VALU_DEP_1)
	v_mul_f64_e32 v[11:12], v[11:12], v[1:2]
.LBB92_37:                              ;   Parent Loop BB92_31 Depth=1
                                        ; =>  This Inner Loop Header: Depth=2
	s_wait_loadcnt 0x0
	s_delay_alu instid0(VALU_DEP_1)
	v_add_f64_e32 v[1:2], v[3:4], v[11:12]
	global_atomic_cmpswap_b64 v[1:2], v[9:10], v[1:4], off th:TH_ATOMIC_RETURN scope:SCOPE_DEV
	s_wait_loadcnt 0x0
	v_cmp_eq_u64_e32 vcc_lo, v[1:2], v[3:4]
	v_dual_mov_b32 v4, v2 :: v_dual_mov_b32 v3, v1
	s_or_b32 s22, vcc_lo, s22
	s_delay_alu instid0(SALU_CYCLE_1)
	s_and_not1_b32 exec_lo, exec_lo, s22
	s_cbranch_execnz .LBB92_37
	s_branch .LBB92_30
.LBB92_38:
	s_or_b32 exec_lo, exec_lo, s4
	s_mov_b32 s2, 0
.LBB92_39:
	s_wait_alu 0xfffe
	s_and_b32 vcc_lo, exec_lo, s2
	s_wait_alu 0xfffe
	s_cbranch_vccz .LBB92_171
; %bb.40:
	s_ashr_i32 s3, s18, 31
	s_mov_b32 s2, s18
	s_cvt_f32_u32 s4, s21
	s_wait_alu 0xfffe
	s_lshl_b64 s[2:3], s[2:3], 2
	s_mov_b32 s5, 0
	s_wait_alu 0xfffe
	s_add_nc_u64 s[2:3], s[8:9], s[2:3]
	v_rcp_iflag_f32_e32 v1, s4
	s_load_b32 s24, s[2:3], 0x0
	s_clause 0x1
	s_load_b64 s[6:7], s[0:1], 0x4
	s_load_b32 s1, s[0:1], 0x64
	s_delay_alu instid0(TRANS32_DEP_1) | instskip(SKIP_1) | instid1(SALU_CYCLE_3)
	v_readfirstlane_b32 s0, v1
	s_mul_f32 s0, s0, 0x4f7ffffe
	s_cvt_u32_f32 s22, s0
	s_sub_co_i32 s0, 0, s21
	s_wait_kmcnt 0x0
	v_add_nc_u32_e32 v5, s24, v13
	s_mul_i32 s0, s0, s22
	s_delay_alu instid0(VALU_DEP_1) | instskip(NEXT) | instid1(VALU_DEP_1)
	v_add_nc_u32_e32 v17, 0x300, v5
	v_cmp_le_i32_e32 vcc_lo, s6, v17
	s_mul_hi_u32 s6, s22, s0
	s_and_saveexec_b32 s0, vcc_lo
	s_delay_alu instid0(SALU_CYCLE_1)
	s_xor_b32 s4, exec_lo, s0
	s_cbranch_execz .LBB92_45
; %bb.41:
	s_ashr_i32 s27, s19, 31
	s_mov_b32 s26, s19
	s_mov_b32 s25, exec_lo
	s_lshl_b64 s[26:27], s[26:27], 2
	s_delay_alu instid0(SALU_CYCLE_1) | instskip(SKIP_3) | instid1(SALU_CYCLE_1)
	s_add_nc_u64 s[26:27], s[8:9], s[26:27]
	s_load_b32 s0, s[26:27], 0x0
	s_wait_kmcnt 0x0
	s_sub_co_i32 s23, s0, s24
	v_cmpx_gt_i32_e64 s23, v0
	s_cbranch_execz .LBB92_44
; %bb.42:
	v_dual_mov_b32 v1, v16 :: v_dual_mov_b32 v2, v0
	s_sub_co_i32 s26, s24, s20
	s_mov_b32 s27, 0
.LBB92_43:                              ; =>This Inner Loop Header: Depth=1
	s_delay_alu instid0(VALU_DEP_1) | instskip(SKIP_1) | instid1(VALU_DEP_2)
	v_add_nc_u32_e32 v3, s26, v2
	v_add_nc_u32_e32 v2, 0x100, v2
	v_ashrrev_i32_e32 v4, 31, v3
	s_delay_alu instid0(VALU_DEP_1) | instskip(NEXT) | instid1(VALU_DEP_1)
	v_lshlrev_b64_e32 v[3:4], 2, v[3:4]
	v_add_co_u32 v3, s0, s12, v3
	s_wait_alu 0xf1ff
	s_delay_alu instid0(VALU_DEP_2)
	v_add_co_ci_u32_e64 v4, null, s13, v4, s0
	v_cmp_le_i32_e64 s0, s23, v2
	global_load_b32 v3, v[3:4], off
	s_or_b32 s27, s0, s27
	s_wait_loadcnt 0x0
	v_cvt_f64_f32_e32 v[3:4], v3
	s_delay_alu instid0(VALU_DEP_1)
	v_mul_f64_e32 v[3:4], v[7:8], v[3:4]
	ds_store_b64 v1, v[3:4]
	v_add_nc_u32_e32 v1, 0x800, v1
	s_wait_alu 0xfffe
	s_and_not1_b32 exec_lo, exec_lo, s27
	s_cbranch_execnz .LBB92_43
.LBB92_44:
	s_or_b32 exec_lo, exec_lo, s25
                                        ; implicit-def: $vgpr7_vgpr8
.LBB92_45:
	s_wait_alu 0xfffe
	s_or_saveexec_b32 s23, s4
	v_ashrrev_i32_e32 v6, 31, v5
	s_and_b32 s4, s1, 0xffff
	s_add_co_i32 s22, s22, s6
	s_wait_alu 0xfffe
	s_xor_b32 exec_lo, exec_lo, s23
	s_cbranch_execz .LBB92_47
; %bb.46:
	v_lshlrev_b64_e32 v[1:2], 2, v[5:6]
	s_delay_alu instid0(VALU_DEP_1) | instskip(SKIP_1) | instid1(VALU_DEP_2)
	v_add_co_u32 v1, s0, s12, v1
	s_wait_alu 0xf1ff
	v_add_co_ci_u32_e64 v2, null, s13, v2, s0
	s_clause 0x3
	global_load_b32 v3, v[1:2], off
	global_load_b32 v4, v[1:2], off offset:1024
	global_load_b32 v9, v[1:2], off offset:2048
	;; [unrolled: 1-line block ×3, first 2 shown]
	s_wait_loadcnt 0x3
	v_cvt_f64_f32_e32 v[1:2], v3
	s_wait_loadcnt 0x2
	v_cvt_f64_f32_e32 v[3:4], v4
	;; [unrolled: 2-line block ×4, first 2 shown]
	s_delay_alu instid0(VALU_DEP_4) | instskip(NEXT) | instid1(VALU_DEP_4)
	v_mul_f64_e32 v[1:2], v[7:8], v[1:2]
	v_mul_f64_e32 v[3:4], v[7:8], v[3:4]
	s_delay_alu instid0(VALU_DEP_4) | instskip(NEXT) | instid1(VALU_DEP_4)
	v_mul_f64_e32 v[9:10], v[7:8], v[9:10]
	v_mul_f64_e32 v[7:8], v[7:8], v[11:12]
	ds_store_2addr_stride64_b64 v16, v[1:2], v[3:4] offset1:4
	ds_store_2addr_stride64_b64 v16, v[9:10], v[7:8] offset0:8 offset1:12
.LBB92_47:
	s_or_b32 exec_lo, exec_lo, s23
	s_mov_b32 s23, s5
	s_mov_b32 s1, exec_lo
	v_cmpx_gt_i32_e64 s7, v0
	s_cbranch_execz .LBB92_50
; %bb.48:
	v_dual_mov_b32 v1, 0 :: v_dual_mov_b32 v4, v0
	v_lshl_add_u32 v3, v0, 3, 0x2000
	s_mov_b32 s6, 0
	s_delay_alu instid0(VALU_DEP_2)
	v_mov_b32_e32 v2, v1
.LBB92_49:                              ; =>This Inner Loop Header: Depth=1
	s_delay_alu instid0(VALU_DEP_3)
	v_add_nc_u32_e32 v4, 0x100, v4
	ds_store_b64 v3, v[1:2]
	v_add_nc_u32_e32 v3, 0x800, v3
	v_cmp_le_i32_e64 s0, s7, v4
	s_wait_alu 0xfffe
	s_or_b32 s6, s0, s6
	s_wait_alu 0xfffe
	s_and_not1_b32 exec_lo, exec_lo, s6
	s_cbranch_execnz .LBB92_49
.LBB92_50:
	s_wait_alu 0xfffe
	s_or_b32 exec_lo, exec_lo, s1
	s_mul_u64 s[0:1], s[4:5], s[22:23]
	s_sub_co_i32 s0, s19, s7
	s_cmp_ge_i32 s19, s7
	s_wait_loadcnt_dscnt 0x0
	s_wait_alu 0xfffe
	s_cselect_b32 s5, s0, 0
	s_barrier_signal -1
	s_barrier_wait -1
	global_inv scope:SCOPE_SE
	s_and_saveexec_b32 s0, vcc_lo
	s_wait_alu 0xfffe
	s_xor_b32 s6, exec_lo, s0
	s_cbranch_execz .LBB92_71
; %bb.51:
	s_ashr_i32 s13, s19, 31
	s_mov_b32 s12, s19
	s_wait_alu 0xfffe
	s_lshl_b64 s[12:13], s[12:13], 2
	s_wait_alu 0xfffe
	s_add_nc_u64 s[12:13], s[8:9], s[12:13]
	s_load_b32 s0, s[12:13], 0x0
	s_mov_b32 s13, exec_lo
	s_wait_kmcnt 0x0
	s_sub_co_i32 s12, s0, s24
	s_wait_alu 0xfffe
	v_cmpx_gt_i32_e64 s12, v0
	s_cbranch_execz .LBB92_70
; %bb.52:
	s_add_co_i32 s23, s19, -2
	s_add_co_i32 s22, s19, -1
	s_wait_alu 0xfffe
	s_cmp_lg_u32 s18, s23
	s_mov_b32 s26, 0
	s_cselect_b32 s23, -1, 0
	s_sub_co_i32 s25, s0, s20
	s_mov_b32 s27, 0
	s_branch .LBB92_55
.LBB92_53:                              ;   in Loop: Header=BB92_55 Depth=1
	s_wait_alu 0xfffe
	s_or_b32 exec_lo, exec_lo, s0
.LBB92_54:                              ;   in Loop: Header=BB92_55 Depth=1
	s_delay_alu instid0(SALU_CYCLE_1) | instskip(SKIP_4) | instid1(VALU_DEP_2)
	s_or_b32 exec_lo, exec_lo, s28
	v_ashrrev_i32_e32 v7, 31, v6
	s_addk_co_i32 s27, 0x100
	s_wait_alu 0xfffe
	v_add_nc_u32_e32 v3, s27, v0
	v_lshlrev_b64_e32 v[1:2], 3, v[6:7]
	s_delay_alu instid0(VALU_DEP_1) | instskip(SKIP_1) | instid1(VALU_DEP_2)
	v_add_co_u32 v1, vcc_lo, s14, v1
	s_wait_alu 0xfffd
	v_add_co_ci_u32_e64 v2, null, s15, v2, vcc_lo
	v_cmp_le_i32_e32 vcc_lo, s12, v3
	global_load_b64 v[1:2], v[1:2], off
	s_or_b32 s26, vcc_lo, s26
	s_wait_loadcnt_dscnt 0x0
	v_mul_f64_e32 v[1:2], v[1:2], v[8:9]
	ds_store_b64 v14, v[1:2]
	s_wait_alu 0xfffe
	s_and_not1_b32 exec_lo, exec_lo, s26
	s_cbranch_execz .LBB92_70
.LBB92_55:                              ; =>This Loop Header: Depth=1
                                        ;     Child Loop BB92_57 Depth 2
                                        ;     Child Loop BB92_64 Depth 2
	;; [unrolled: 1-line block ×3, first 2 shown]
	s_wait_alu 0xfffe
	v_add_nc_u32_e32 v1, s27, v5
	v_mov_b32_e32 v7, s18
	v_mov_b32_e32 v3, s22
	s_and_not1_b32 vcc_lo, exec_lo, s23
	s_wait_alu 0xfffe
	s_cbranch_vccnz .LBB92_59
; %bb.56:                               ;   in Loop: Header=BB92_55 Depth=1
	v_mov_b32_e32 v7, s18
	v_mov_b32_e32 v3, s22
	s_mov_b32 s28, 0
.LBB92_57:                              ;   Parent Loop BB92_55 Depth=1
                                        ; =>  This Inner Loop Header: Depth=2
	s_delay_alu instid0(VALU_DEP_1) | instskip(NEXT) | instid1(VALU_DEP_1)
	v_add_nc_u32_e32 v2, v3, v7
	v_lshrrev_b32_e32 v4, 31, v2
	s_delay_alu instid0(VALU_DEP_1) | instskip(NEXT) | instid1(VALU_DEP_1)
	v_add_nc_u32_e32 v2, v2, v4
	v_ashrrev_i32_e32 v8, 1, v2
	s_delay_alu instid0(VALU_DEP_1) | instskip(NEXT) | instid1(VALU_DEP_1)
	v_ashrrev_i32_e32 v9, 31, v8
	v_lshlrev_b64_e32 v[9:10], 2, v[8:9]
	s_delay_alu instid0(VALU_DEP_1) | instskip(SKIP_1) | instid1(VALU_DEP_2)
	v_add_co_u32 v9, vcc_lo, s8, v9
	s_wait_alu 0xfffd
	v_add_co_ci_u32_e64 v10, null, s9, v10, vcc_lo
	global_load_b32 v2, v[9:10], off
	s_wait_loadcnt 0x0
	v_subrev_nc_u32_e32 v2, s20, v2
	s_delay_alu instid0(VALU_DEP_1) | instskip(SKIP_3) | instid1(VALU_DEP_2)
	v_cmp_lt_i32_e32 vcc_lo, v1, v2
	s_wait_alu 0xfffd
	v_cndmask_b32_e32 v3, v3, v8, vcc_lo
	v_cndmask_b32_e32 v7, v8, v7, vcc_lo
	v_add_nc_u32_e32 v2, -1, v3
	s_delay_alu instid0(VALU_DEP_2) | instskip(NEXT) | instid1(VALU_DEP_2)
	v_cmp_ge_i32_e32 vcc_lo, v7, v3
	v_cmp_eq_u32_e64 s0, v7, v2
	s_or_b32 s0, vcc_lo, s0
	s_wait_alu 0xfffe
	s_and_b32 s0, exec_lo, s0
	s_wait_alu 0xfffe
	s_or_b32 s28, s0, s28
	s_delay_alu instid0(SALU_CYCLE_1)
	s_and_not1_b32 exec_lo, exec_lo, s28
	s_cbranch_execnz .LBB92_57
; %bb.58:                               ;   in Loop: Header=BB92_55 Depth=1
	s_or_b32 exec_lo, exec_lo, s28
.LBB92_59:                              ;   in Loop: Header=BB92_55 Depth=1
	s_delay_alu instid0(VALU_DEP_1) | instskip(SKIP_3) | instid1(VALU_DEP_4)
	v_ashrrev_i32_e32 v4, 31, v3
	v_ashrrev_i32_e32 v2, 31, v1
	v_cmp_le_i32_e64 s0, s25, v1
	v_lshl_add_u32 v14, s27, 3, v16
	v_lshlrev_b64_e32 v[8:9], 2, v[3:4]
	s_delay_alu instid0(VALU_DEP_4) | instskip(NEXT) | instid1(VALU_DEP_2)
	v_lshlrev_b64_e32 v[10:11], 2, v[1:2]
	v_add_co_u32 v8, vcc_lo, s8, v8
	s_wait_alu 0xfffd
	s_delay_alu instid0(VALU_DEP_3) | instskip(NEXT) | instid1(VALU_DEP_3)
	v_add_co_ci_u32_e64 v9, null, s9, v9, vcc_lo
	v_add_co_u32 v10, vcc_lo, s10, v10
	s_wait_alu 0xfffd
	v_add_co_ci_u32_e64 v11, null, s11, v11, vcc_lo
	global_load_b32 v2, v[8:9], off
	global_load_b32 v4, v[10:11], off
                                        ; implicit-def: $vgpr8_vgpr9
	s_wait_loadcnt 0x1
	v_subrev_nc_u32_e32 v2, s20, v2
	s_wait_loadcnt 0x0
	v_subrev_nc_u32_e32 v6, s20, v4
	s_delay_alu instid0(VALU_DEP_2) | instskip(SKIP_2) | instid1(VALU_DEP_1)
	v_cmp_lt_i32_e32 vcc_lo, v1, v2
	s_wait_alu 0xfffd
	v_cndmask_b32_e32 v2, v3, v7, vcc_lo
	v_cmp_eq_u32_e32 vcc_lo, v6, v2
	s_or_b32 s0, vcc_lo, s0
	s_wait_alu 0xfffe
	s_and_saveexec_b32 s28, s0
	s_delay_alu instid0(SALU_CYCLE_1)
	s_xor_b32 s0, exec_lo, s28
; %bb.60:                               ;   in Loop: Header=BB92_55 Depth=1
	ds_load_b64 v[8:9], v14
                                        ; implicit-def: $vgpr2
; %bb.61:                               ;   in Loop: Header=BB92_55 Depth=1
	s_wait_alu 0xfffe
	s_and_not1_saveexec_b32 s28, s0
	s_cbranch_execz .LBB92_54
; %bb.62:                               ;   in Loop: Header=BB92_55 Depth=1
	v_ashrrev_i32_e32 v3, 31, v2
	s_wait_dscnt 0x0
	ds_load_b64 v[8:9], v14
	v_cmp_le_i32_e64 s0, s19, v6
	v_lshlrev_b64_e32 v[1:2], 3, v[2:3]
	s_delay_alu instid0(VALU_DEP_1) | instskip(SKIP_1) | instid1(VALU_DEP_2)
	v_add_co_u32 v1, vcc_lo, s14, v1
	s_wait_alu 0xfffd
	v_add_co_ci_u32_e64 v2, null, s15, v2, vcc_lo
	v_cmp_gt_i32_e32 vcc_lo, s5, v6
	global_load_b64 v[1:2], v[1:2], off
	s_or_b32 s0, vcc_lo, s0
	s_wait_loadcnt_dscnt 0x0
	v_mul_f64_e32 v[10:11], v[8:9], v[1:2]
	s_wait_alu 0xfffe
	s_and_saveexec_b32 s29, s0
	s_delay_alu instid0(SALU_CYCLE_1)
	s_xor_b32 s0, exec_lo, s29
	s_cbranch_execz .LBB92_66
; %bb.63:                               ;   in Loop: Header=BB92_55 Depth=1
	v_ashrrev_i32_e32 v7, 31, v6
	s_mov_b32 s29, 0
	s_delay_alu instid0(VALU_DEP_1) | instskip(NEXT) | instid1(VALU_DEP_1)
	v_lshlrev_b64_e32 v[1:2], 3, v[6:7]
	v_add_co_u32 v12, vcc_lo, s16, v1
	s_wait_alu 0xfffd
	s_delay_alu instid0(VALU_DEP_2)
	v_add_co_ci_u32_e64 v13, null, s17, v2, vcc_lo
	global_load_b64 v[3:4], v[12:13], off
.LBB92_64:                              ;   Parent Loop BB92_55 Depth=1
                                        ; =>  This Inner Loop Header: Depth=2
	s_wait_loadcnt 0x0
	v_add_f64_e32 v[1:2], v[3:4], v[10:11]
	global_atomic_cmpswap_b64 v[1:2], v[12:13], v[1:4], off th:TH_ATOMIC_RETURN scope:SCOPE_DEV
	s_wait_loadcnt 0x0
	v_cmp_eq_u64_e32 vcc_lo, v[1:2], v[3:4]
	v_dual_mov_b32 v4, v2 :: v_dual_mov_b32 v3, v1
	s_or_b32 s29, vcc_lo, s29
	s_delay_alu instid0(SALU_CYCLE_1)
	s_and_not1_b32 exec_lo, exec_lo, s29
	s_cbranch_execnz .LBB92_64
; %bb.65:                               ;   in Loop: Header=BB92_55 Depth=1
	s_or_b32 exec_lo, exec_lo, s29
                                        ; implicit-def: $vgpr10_vgpr11
.LBB92_66:                              ;   in Loop: Header=BB92_55 Depth=1
	s_wait_alu 0xfffe
	s_and_not1_saveexec_b32 s0, s0
	s_cbranch_execz .LBB92_53
; %bb.67:                               ;   in Loop: Header=BB92_55 Depth=1
	v_subrev_nc_u32_e32 v1, s5, v6
	s_mov_b32 s29, 0
	s_delay_alu instid0(VALU_DEP_1)
	v_lshl_add_u32 v3, v1, 3, 0x2000
	ds_load_b64 v[1:2], v3
.LBB92_68:                              ;   Parent Loop BB92_55 Depth=1
                                        ; =>  This Inner Loop Header: Depth=2
	s_wait_dscnt 0x0
	v_add_f64_e32 v[12:13], v[1:2], v[10:11]
	ds_cmpstore_rtn_b64 v[12:13], v3, v[12:13], v[1:2]
	s_wait_dscnt 0x0
	v_cmp_eq_u64_e32 vcc_lo, v[12:13], v[1:2]
	v_dual_mov_b32 v1, v12 :: v_dual_mov_b32 v2, v13
	s_or_b32 s29, vcc_lo, s29
	s_delay_alu instid0(SALU_CYCLE_1)
	s_and_not1_b32 exec_lo, exec_lo, s29
	s_cbranch_execnz .LBB92_68
; %bb.69:                               ;   in Loop: Header=BB92_55 Depth=1
	s_or_b32 exec_lo, exec_lo, s29
	s_branch .LBB92_53
.LBB92_70:
	s_or_b32 exec_lo, exec_lo, s13
                                        ; implicit-def: $vgpr17
                                        ; implicit-def: $vgpr5
.LBB92_71:
	s_wait_alu 0xfffe
	s_and_not1_saveexec_b32 s6, s6
	s_cbranch_execz .LBB92_141
; %bb.72:
	s_add_co_i32 s12, s19, -1
	s_add_co_i32 s0, s19, -2
	v_mov_b32_e32 v3, s18
	s_wait_alu 0xfffe
	v_mov_b32_e32 v1, s12
	s_cmp_lg_u32 s18, s0
	s_cselect_b32 s13, -1, 0
	s_cmp_eq_u32 s18, s0
	s_cbranch_scc1 .LBB92_76
; %bb.73:
	v_mov_b32_e32 v3, s18
	v_mov_b32_e32 v1, s12
	s_mov_b32 s22, 0
.LBB92_74:                              ; =>This Inner Loop Header: Depth=1
	s_delay_alu instid0(VALU_DEP_1) | instskip(NEXT) | instid1(VALU_DEP_1)
	v_add_nc_u32_e32 v2, v1, v3
	v_lshrrev_b32_e32 v4, 31, v2
	s_delay_alu instid0(VALU_DEP_1) | instskip(NEXT) | instid1(VALU_DEP_1)
	v_add_nc_u32_e32 v2, v2, v4
	v_ashrrev_i32_e32 v7, 1, v2
	s_delay_alu instid0(VALU_DEP_1) | instskip(NEXT) | instid1(VALU_DEP_1)
	v_ashrrev_i32_e32 v8, 31, v7
	v_lshlrev_b64_e32 v[8:9], 2, v[7:8]
	s_delay_alu instid0(VALU_DEP_1) | instskip(SKIP_1) | instid1(VALU_DEP_2)
	v_add_co_u32 v8, vcc_lo, s8, v8
	s_wait_alu 0xfffd
	v_add_co_ci_u32_e64 v9, null, s9, v9, vcc_lo
	global_load_b32 v2, v[8:9], off
	s_wait_loadcnt 0x0
	v_subrev_nc_u32_e32 v2, s20, v2
	s_delay_alu instid0(VALU_DEP_1) | instskip(SKIP_2) | instid1(VALU_DEP_1)
	v_cmp_lt_i32_e32 vcc_lo, v5, v2
	s_wait_alu 0xfffd
	v_cndmask_b32_e32 v1, v1, v7, vcc_lo
	v_dual_cndmask_b32 v3, v7, v3 :: v_dual_add_nc_u32 v2, -1, v1
	s_delay_alu instid0(VALU_DEP_1) | instskip(NEXT) | instid1(VALU_DEP_2)
	v_cmp_ge_i32_e32 vcc_lo, v3, v1
	v_cmp_eq_u32_e64 s0, v3, v2
	s_or_b32 s0, vcc_lo, s0
	s_wait_alu 0xfffe
	s_and_b32 s0, exec_lo, s0
	s_wait_alu 0xfffe
	s_or_b32 s22, s0, s22
	s_wait_alu 0xfffe
	s_and_not1_b32 exec_lo, exec_lo, s22
	s_cbranch_execnz .LBB92_74
; %bb.75:
	s_or_b32 exec_lo, exec_lo, s22
.LBB92_76:
	v_ashrrev_i32_e32 v2, 31, v1
	v_lshlrev_b64_e32 v[9:10], 2, v[5:6]
	s_mov_b32 s0, exec_lo
	s_delay_alu instid0(VALU_DEP_2) | instskip(NEXT) | instid1(VALU_DEP_1)
	v_lshlrev_b64_e32 v[7:8], 2, v[1:2]
	v_add_co_u32 v7, vcc_lo, s8, v7
	s_wait_alu 0xfffd
	s_delay_alu instid0(VALU_DEP_2)
	v_add_co_ci_u32_e64 v8, null, s9, v8, vcc_lo
	v_add_co_u32 v6, vcc_lo, s10, v9
	s_mov_b32 s10, s19
	global_load_b32 v2, v[7:8], off
	s_wait_alu 0xfffd
	v_add_co_ci_u32_e64 v7, null, s11, v10, vcc_lo
	s_ashr_i32 s11, s19, 31
                                        ; implicit-def: $vgpr10_vgpr11
	s_wait_alu 0xfffe
	s_lshl_b64 s[10:11], s[10:11], 2
	global_load_b32 v4, v[6:7], off
	s_wait_alu 0xfffe
	s_add_nc_u64 s[10:11], s[8:9], s[10:11]
	s_wait_loadcnt 0x1
	v_subrev_nc_u32_e32 v2, s20, v2
	s_delay_alu instid0(VALU_DEP_1) | instskip(SKIP_4) | instid1(VALU_DEP_1)
	v_cmp_lt_i32_e32 vcc_lo, v5, v2
	s_wait_loadcnt 0x0
	v_subrev_nc_u32_e32 v8, s20, v4
	s_wait_alu 0xfffd
	v_cndmask_b32_e32 v1, v1, v3, vcc_lo
	v_cmpx_ne_u32_e64 v8, v1
	s_xor_b32 s22, exec_lo, s0
	s_cbranch_execz .LBB92_87
; %bb.77:
	s_load_b32 s0, s[10:11], 0x0
	ds_load_b64 v[10:11], v16
	s_mov_b32 s23, exec_lo
	s_wait_kmcnt 0x0
	s_sub_co_i32 s0, s0, s20
	s_wait_alu 0xfffe
	v_cmpx_gt_i32_e64 s0, v5
	s_cbranch_execz .LBB92_86
; %bb.78:
	v_ashrrev_i32_e32 v2, 31, v1
	v_cmp_le_i32_e64 s0, s19, v8
	s_delay_alu instid0(VALU_DEP_2) | instskip(NEXT) | instid1(VALU_DEP_1)
	v_lshlrev_b64_e32 v[1:2], 3, v[1:2]
	v_add_co_u32 v1, vcc_lo, s14, v1
	s_wait_alu 0xfffd
	s_delay_alu instid0(VALU_DEP_2)
	v_add_co_ci_u32_e64 v2, null, s15, v2, vcc_lo
	v_cmp_gt_i32_e32 vcc_lo, s5, v8
	global_load_b64 v[1:2], v[1:2], off
	s_or_b32 s0, vcc_lo, s0
	s_wait_loadcnt_dscnt 0x0
	v_mul_f64_e32 v[12:13], v[10:11], v[1:2]
	s_wait_alu 0xfffe
	s_and_saveexec_b32 s25, s0
	s_wait_alu 0xfffe
	s_xor_b32 s0, exec_lo, s25
	s_cbranch_execz .LBB92_82
; %bb.79:
	v_ashrrev_i32_e32 v9, 31, v8
	s_mov_b32 s25, 0
	s_delay_alu instid0(VALU_DEP_1) | instskip(NEXT) | instid1(VALU_DEP_1)
	v_lshlrev_b64_e32 v[1:2], 3, v[8:9]
	v_add_co_u32 v14, vcc_lo, s16, v1
	s_wait_alu 0xfffd
	s_delay_alu instid0(VALU_DEP_2)
	v_add_co_ci_u32_e64 v15, null, s17, v2, vcc_lo
	global_load_b64 v[3:4], v[14:15], off
.LBB92_80:                              ; =>This Inner Loop Header: Depth=1
	s_wait_loadcnt 0x0
	v_add_f64_e32 v[1:2], v[3:4], v[12:13]
	global_atomic_cmpswap_b64 v[1:2], v[14:15], v[1:4], off th:TH_ATOMIC_RETURN scope:SCOPE_DEV
	s_wait_loadcnt 0x0
	v_cmp_eq_u64_e32 vcc_lo, v[1:2], v[3:4]
	v_dual_mov_b32 v4, v2 :: v_dual_mov_b32 v3, v1
	s_wait_alu 0xfffe
	s_or_b32 s25, vcc_lo, s25
	s_wait_alu 0xfffe
	s_and_not1_b32 exec_lo, exec_lo, s25
	s_cbranch_execnz .LBB92_80
; %bb.81:
	s_or_b32 exec_lo, exec_lo, s25
                                        ; implicit-def: $vgpr12_vgpr13
.LBB92_82:
	s_wait_alu 0xfffe
	s_and_not1_saveexec_b32 s0, s0
	s_cbranch_execz .LBB92_86
; %bb.83:
	v_subrev_nc_u32_e32 v1, s5, v8
	s_mov_b32 s0, 0
	s_delay_alu instid0(VALU_DEP_1)
	v_lshl_add_u32 v3, v1, 3, 0x2000
	ds_load_b64 v[1:2], v3
.LBB92_84:                              ; =>This Inner Loop Header: Depth=1
	s_wait_dscnt 0x0
	v_add_f64_e32 v[14:15], v[1:2], v[12:13]
	ds_cmpstore_rtn_b64 v[14:15], v3, v[14:15], v[1:2]
	s_wait_dscnt 0x0
	v_cmp_eq_u64_e32 vcc_lo, v[14:15], v[1:2]
	v_dual_mov_b32 v1, v14 :: v_dual_mov_b32 v2, v15
	s_wait_alu 0xfffe
	s_or_b32 s0, vcc_lo, s0
	s_wait_alu 0xfffe
	s_and_not1_b32 exec_lo, exec_lo, s0
	s_cbranch_execnz .LBB92_84
; %bb.85:
	s_or_b32 exec_lo, exec_lo, s0
.LBB92_86:
	s_delay_alu instid0(SALU_CYCLE_1)
	s_or_b32 exec_lo, exec_lo, s23
.LBB92_87:
	s_wait_alu 0xfffe
	s_and_not1_saveexec_b32 s0, s22
	s_cbranch_execz .LBB92_89
; %bb.88:
	s_wait_dscnt 0x0
	ds_load_b64 v[10:11], v16
.LBB92_89:
	s_wait_alu 0xfffe
	s_or_b32 exec_lo, exec_lo, s0
	v_ashrrev_i32_e32 v9, 31, v8
	v_cndmask_b32_e64 v18, 0, 1, s13
	v_dual_mov_b32 v4, s18 :: v_dual_add_nc_u32 v3, 0x100, v5
	s_delay_alu instid0(VALU_DEP_3) | instskip(NEXT) | instid1(VALU_DEP_1)
	v_lshlrev_b64_e32 v[1:2], 3, v[8:9]
	v_add_co_u32 v1, vcc_lo, s14, v1
	s_wait_alu 0xfffd
	s_delay_alu instid0(VALU_DEP_2)
	v_add_co_ci_u32_e64 v2, null, s15, v2, vcc_lo
	s_and_not1_b32 vcc_lo, exec_lo, s13
	global_load_b64 v[1:2], v[1:2], off
	s_wait_loadcnt_dscnt 0x0
	v_mul_f64_e32 v[8:9], v[1:2], v[10:11]
	v_mov_b32_e32 v1, s12
	ds_store_b64 v16, v[8:9]
	s_wait_alu 0xfffe
	s_cbranch_vccnz .LBB92_93
; %bb.90:
	v_dual_mov_b32 v4, s18 :: v_dual_mov_b32 v1, s12
	s_mov_b32 s13, 0
.LBB92_91:                              ; =>This Inner Loop Header: Depth=1
	s_delay_alu instid0(VALU_DEP_1) | instskip(NEXT) | instid1(VALU_DEP_1)
	v_add_nc_u32_e32 v2, v1, v4
	v_lshrrev_b32_e32 v8, 31, v2
	s_delay_alu instid0(VALU_DEP_1) | instskip(NEXT) | instid1(VALU_DEP_1)
	v_add_nc_u32_e32 v2, v2, v8
	v_ashrrev_i32_e32 v8, 1, v2
	s_delay_alu instid0(VALU_DEP_1) | instskip(NEXT) | instid1(VALU_DEP_1)
	v_ashrrev_i32_e32 v9, 31, v8
	v_lshlrev_b64_e32 v[9:10], 2, v[8:9]
	s_delay_alu instid0(VALU_DEP_1) | instskip(SKIP_1) | instid1(VALU_DEP_2)
	v_add_co_u32 v9, vcc_lo, s8, v9
	s_wait_alu 0xfffd
	v_add_co_ci_u32_e64 v10, null, s9, v10, vcc_lo
	global_load_b32 v2, v[9:10], off
	s_wait_loadcnt 0x0
	v_subrev_nc_u32_e32 v2, s20, v2
	s_delay_alu instid0(VALU_DEP_1) | instskip(SKIP_3) | instid1(VALU_DEP_2)
	v_cmp_lt_i32_e32 vcc_lo, v3, v2
	s_wait_alu 0xfffd
	v_cndmask_b32_e32 v1, v1, v8, vcc_lo
	v_cndmask_b32_e32 v4, v8, v4, vcc_lo
	v_add_nc_u32_e32 v2, -1, v1
	s_delay_alu instid0(VALU_DEP_2) | instskip(NEXT) | instid1(VALU_DEP_2)
	v_cmp_ge_i32_e32 vcc_lo, v4, v1
	v_cmp_eq_u32_e64 s0, v4, v2
	s_or_b32 s0, vcc_lo, s0
	s_wait_alu 0xfffe
	s_and_b32 s0, exec_lo, s0
	s_wait_alu 0xfffe
	s_or_b32 s13, s0, s13
	s_wait_alu 0xfffe
	s_and_not1_b32 exec_lo, exec_lo, s13
	s_cbranch_execnz .LBB92_91
; %bb.92:
	s_or_b32 exec_lo, exec_lo, s13
.LBB92_93:
	v_ashrrev_i32_e32 v2, 31, v1
                                        ; implicit-def: $vgpr10_vgpr11
	s_mov_b32 s0, exec_lo
	s_delay_alu instid0(VALU_DEP_1) | instskip(NEXT) | instid1(VALU_DEP_1)
	v_lshlrev_b64_e32 v[8:9], 2, v[1:2]
	v_add_co_u32 v8, vcc_lo, s8, v8
	s_wait_alu 0xfffd
	s_delay_alu instid0(VALU_DEP_2)
	v_add_co_ci_u32_e64 v9, null, s9, v9, vcc_lo
	global_load_b32 v2, v[8:9], off
	global_load_b32 v8, v[6:7], off offset:1024
	s_wait_loadcnt 0x1
	v_subrev_nc_u32_e32 v2, s20, v2
	s_wait_loadcnt 0x0
	v_subrev_nc_u32_e32 v8, s20, v8
	s_delay_alu instid0(VALU_DEP_2) | instskip(SKIP_2) | instid1(VALU_DEP_1)
	v_cmp_lt_i32_e32 vcc_lo, v3, v2
	s_wait_alu 0xfffd
	v_cndmask_b32_e32 v1, v1, v4, vcc_lo
	v_cmpx_ne_u32_e64 v8, v1
	s_wait_alu 0xfffe
	s_xor_b32 s13, exec_lo, s0
	s_cbranch_execz .LBB92_104
; %bb.94:
	s_load_b32 s0, s[10:11], 0x0
	ds_load_b64 v[10:11], v16 offset:2048
	s_mov_b32 s22, exec_lo
	s_wait_kmcnt 0x0
	s_sub_co_i32 s0, s0, s20
	s_wait_alu 0xfffe
	v_cmpx_gt_i32_e64 s0, v3
	s_cbranch_execz .LBB92_103
; %bb.95:
	v_ashrrev_i32_e32 v2, 31, v1
	v_cmp_le_i32_e64 s0, s19, v8
	s_delay_alu instid0(VALU_DEP_2) | instskip(NEXT) | instid1(VALU_DEP_1)
	v_lshlrev_b64_e32 v[1:2], 3, v[1:2]
	v_add_co_u32 v1, vcc_lo, s14, v1
	s_wait_alu 0xfffd
	s_delay_alu instid0(VALU_DEP_2)
	v_add_co_ci_u32_e64 v2, null, s15, v2, vcc_lo
	v_cmp_gt_i32_e32 vcc_lo, s5, v8
	global_load_b64 v[1:2], v[1:2], off
	s_or_b32 s0, vcc_lo, s0
	s_wait_loadcnt_dscnt 0x0
	v_mul_f64_e32 v[12:13], v[10:11], v[1:2]
	s_wait_alu 0xfffe
	s_and_saveexec_b32 s23, s0
	s_wait_alu 0xfffe
	s_xor_b32 s0, exec_lo, s23
	s_cbranch_execz .LBB92_99
; %bb.96:
	v_ashrrev_i32_e32 v9, 31, v8
	s_mov_b32 s23, 0
	s_delay_alu instid0(VALU_DEP_1) | instskip(NEXT) | instid1(VALU_DEP_1)
	v_lshlrev_b64_e32 v[1:2], 3, v[8:9]
	v_add_co_u32 v14, vcc_lo, s16, v1
	s_wait_alu 0xfffd
	s_delay_alu instid0(VALU_DEP_2)
	v_add_co_ci_u32_e64 v15, null, s17, v2, vcc_lo
	global_load_b64 v[3:4], v[14:15], off
.LBB92_97:                              ; =>This Inner Loop Header: Depth=1
	s_wait_loadcnt 0x0
	v_add_f64_e32 v[1:2], v[3:4], v[12:13]
	global_atomic_cmpswap_b64 v[1:2], v[14:15], v[1:4], off th:TH_ATOMIC_RETURN scope:SCOPE_DEV
	s_wait_loadcnt 0x0
	v_cmp_eq_u64_e32 vcc_lo, v[1:2], v[3:4]
	v_dual_mov_b32 v4, v2 :: v_dual_mov_b32 v3, v1
	s_wait_alu 0xfffe
	s_or_b32 s23, vcc_lo, s23
	s_wait_alu 0xfffe
	s_and_not1_b32 exec_lo, exec_lo, s23
	s_cbranch_execnz .LBB92_97
; %bb.98:
	s_or_b32 exec_lo, exec_lo, s23
                                        ; implicit-def: $vgpr12_vgpr13
.LBB92_99:
	s_wait_alu 0xfffe
	s_and_not1_saveexec_b32 s0, s0
	s_cbranch_execz .LBB92_103
; %bb.100:
	v_subrev_nc_u32_e32 v1, s5, v8
	s_mov_b32 s0, 0
	s_delay_alu instid0(VALU_DEP_1)
	v_lshl_add_u32 v3, v1, 3, 0x2000
	ds_load_b64 v[1:2], v3
.LBB92_101:                             ; =>This Inner Loop Header: Depth=1
	s_wait_dscnt 0x0
	v_add_f64_e32 v[14:15], v[1:2], v[12:13]
	ds_cmpstore_rtn_b64 v[14:15], v3, v[14:15], v[1:2]
	s_wait_dscnt 0x0
	v_cmp_eq_u64_e32 vcc_lo, v[14:15], v[1:2]
	v_dual_mov_b32 v1, v14 :: v_dual_mov_b32 v2, v15
	s_wait_alu 0xfffe
	s_or_b32 s0, vcc_lo, s0
	s_wait_alu 0xfffe
	s_and_not1_b32 exec_lo, exec_lo, s0
	s_cbranch_execnz .LBB92_101
; %bb.102:
	s_or_b32 exec_lo, exec_lo, s0
.LBB92_103:
	s_delay_alu instid0(SALU_CYCLE_1)
	s_or_b32 exec_lo, exec_lo, s22
.LBB92_104:
	s_wait_alu 0xfffe
	s_and_not1_saveexec_b32 s0, s13
	s_cbranch_execz .LBB92_106
; %bb.105:
	s_wait_dscnt 0x0
	ds_load_b64 v[10:11], v16 offset:2048
.LBB92_106:
	s_wait_alu 0xfffe
	s_or_b32 exec_lo, exec_lo, s0
	v_ashrrev_i32_e32 v9, 31, v8
	v_dual_mov_b32 v4, s18 :: v_dual_add_nc_u32 v3, 0x200, v5
	s_delay_alu instid0(VALU_DEP_2) | instskip(NEXT) | instid1(VALU_DEP_1)
	v_lshlrev_b64_e32 v[1:2], 3, v[8:9]
	v_add_co_u32 v1, vcc_lo, s14, v1
	s_wait_alu 0xfffd
	s_delay_alu instid0(VALU_DEP_2)
	v_add_co_ci_u32_e64 v2, null, s15, v2, vcc_lo
	v_cmp_ne_u32_e32 vcc_lo, 1, v18
	global_load_b64 v[1:2], v[1:2], off
	s_and_b32 vcc_lo, exec_lo, vcc_lo
	s_wait_loadcnt_dscnt 0x0
	v_mul_f64_e32 v[8:9], v[1:2], v[10:11]
	v_mov_b32_e32 v1, s12
	ds_store_b64 v16, v[8:9] offset:2048
	s_wait_alu 0xfffe
	s_cbranch_vccnz .LBB92_110
; %bb.107:
	v_dual_mov_b32 v4, s18 :: v_dual_mov_b32 v1, s12
	s_mov_b32 s13, 0
.LBB92_108:                             ; =>This Inner Loop Header: Depth=1
	s_delay_alu instid0(VALU_DEP_1) | instskip(NEXT) | instid1(VALU_DEP_1)
	v_add_nc_u32_e32 v2, v1, v4
	v_lshrrev_b32_e32 v5, 31, v2
	s_delay_alu instid0(VALU_DEP_1) | instskip(NEXT) | instid1(VALU_DEP_1)
	v_add_nc_u32_e32 v2, v2, v5
	v_ashrrev_i32_e32 v8, 1, v2
	s_delay_alu instid0(VALU_DEP_1) | instskip(NEXT) | instid1(VALU_DEP_1)
	v_ashrrev_i32_e32 v9, 31, v8
	v_lshlrev_b64_e32 v[9:10], 2, v[8:9]
	s_delay_alu instid0(VALU_DEP_1) | instskip(SKIP_1) | instid1(VALU_DEP_2)
	v_add_co_u32 v9, vcc_lo, s8, v9
	s_wait_alu 0xfffd
	v_add_co_ci_u32_e64 v10, null, s9, v10, vcc_lo
	global_load_b32 v2, v[9:10], off
	s_wait_loadcnt 0x0
	v_subrev_nc_u32_e32 v2, s20, v2
	s_delay_alu instid0(VALU_DEP_1) | instskip(SKIP_3) | instid1(VALU_DEP_2)
	v_cmp_lt_i32_e32 vcc_lo, v3, v2
	s_wait_alu 0xfffd
	v_cndmask_b32_e32 v1, v1, v8, vcc_lo
	v_cndmask_b32_e32 v4, v8, v4, vcc_lo
	v_add_nc_u32_e32 v2, -1, v1
	s_delay_alu instid0(VALU_DEP_2) | instskip(NEXT) | instid1(VALU_DEP_2)
	v_cmp_ge_i32_e32 vcc_lo, v4, v1
	v_cmp_eq_u32_e64 s0, v4, v2
	s_or_b32 s0, vcc_lo, s0
	s_wait_alu 0xfffe
	s_and_b32 s0, exec_lo, s0
	s_wait_alu 0xfffe
	s_or_b32 s13, s0, s13
	s_wait_alu 0xfffe
	s_and_not1_b32 exec_lo, exec_lo, s13
	s_cbranch_execnz .LBB92_108
; %bb.109:
	s_or_b32 exec_lo, exec_lo, s13
.LBB92_110:
	v_ashrrev_i32_e32 v2, 31, v1
                                        ; implicit-def: $vgpr10_vgpr11
	s_mov_b32 s0, exec_lo
	s_delay_alu instid0(VALU_DEP_1) | instskip(NEXT) | instid1(VALU_DEP_1)
	v_lshlrev_b64_e32 v[8:9], 2, v[1:2]
	v_add_co_u32 v8, vcc_lo, s8, v8
	s_wait_alu 0xfffd
	s_delay_alu instid0(VALU_DEP_2)
	v_add_co_ci_u32_e64 v9, null, s9, v9, vcc_lo
	global_load_b32 v2, v[8:9], off
	global_load_b32 v5, v[6:7], off offset:2048
	s_wait_loadcnt 0x1
	v_subrev_nc_u32_e32 v2, s20, v2
	s_wait_loadcnt 0x0
	v_subrev_nc_u32_e32 v8, s20, v5
	s_delay_alu instid0(VALU_DEP_2) | instskip(SKIP_2) | instid1(VALU_DEP_1)
	v_cmp_lt_i32_e32 vcc_lo, v3, v2
	s_wait_alu 0xfffd
	v_cndmask_b32_e32 v1, v1, v4, vcc_lo
	v_cmpx_ne_u32_e64 v8, v1
	s_wait_alu 0xfffe
	s_xor_b32 s13, exec_lo, s0
	s_cbranch_execz .LBB92_121
; %bb.111:
	s_load_b32 s0, s[10:11], 0x0
	ds_load_b64 v[10:11], v16 offset:4096
	s_mov_b32 s22, exec_lo
	s_wait_kmcnt 0x0
	s_sub_co_i32 s0, s0, s20
	s_wait_alu 0xfffe
	v_cmpx_gt_i32_e64 s0, v3
	s_cbranch_execz .LBB92_120
; %bb.112:
	v_ashrrev_i32_e32 v2, 31, v1
	v_cmp_le_i32_e64 s0, s19, v8
	s_delay_alu instid0(VALU_DEP_2) | instskip(NEXT) | instid1(VALU_DEP_1)
	v_lshlrev_b64_e32 v[1:2], 3, v[1:2]
	v_add_co_u32 v1, vcc_lo, s14, v1
	s_wait_alu 0xfffd
	s_delay_alu instid0(VALU_DEP_2)
	v_add_co_ci_u32_e64 v2, null, s15, v2, vcc_lo
	v_cmp_gt_i32_e32 vcc_lo, s5, v8
	global_load_b64 v[1:2], v[1:2], off
	s_or_b32 s0, vcc_lo, s0
	s_wait_loadcnt_dscnt 0x0
	v_mul_f64_e32 v[12:13], v[10:11], v[1:2]
	s_wait_alu 0xfffe
	s_and_saveexec_b32 s23, s0
	s_wait_alu 0xfffe
	s_xor_b32 s0, exec_lo, s23
	s_cbranch_execz .LBB92_116
; %bb.113:
	v_ashrrev_i32_e32 v9, 31, v8
	s_mov_b32 s23, 0
	s_delay_alu instid0(VALU_DEP_1) | instskip(NEXT) | instid1(VALU_DEP_1)
	v_lshlrev_b64_e32 v[1:2], 3, v[8:9]
	v_add_co_u32 v14, vcc_lo, s16, v1
	s_wait_alu 0xfffd
	s_delay_alu instid0(VALU_DEP_2)
	v_add_co_ci_u32_e64 v15, null, s17, v2, vcc_lo
	global_load_b64 v[3:4], v[14:15], off
.LBB92_114:                             ; =>This Inner Loop Header: Depth=1
	s_wait_loadcnt 0x0
	v_add_f64_e32 v[1:2], v[3:4], v[12:13]
	global_atomic_cmpswap_b64 v[1:2], v[14:15], v[1:4], off th:TH_ATOMIC_RETURN scope:SCOPE_DEV
	s_wait_loadcnt 0x0
	v_cmp_eq_u64_e32 vcc_lo, v[1:2], v[3:4]
	v_dual_mov_b32 v4, v2 :: v_dual_mov_b32 v3, v1
	s_wait_alu 0xfffe
	s_or_b32 s23, vcc_lo, s23
	s_wait_alu 0xfffe
	s_and_not1_b32 exec_lo, exec_lo, s23
	s_cbranch_execnz .LBB92_114
; %bb.115:
	s_or_b32 exec_lo, exec_lo, s23
                                        ; implicit-def: $vgpr12_vgpr13
.LBB92_116:
	s_wait_alu 0xfffe
	s_and_not1_saveexec_b32 s0, s0
	s_cbranch_execz .LBB92_120
; %bb.117:
	v_subrev_nc_u32_e32 v1, s5, v8
	s_mov_b32 s0, 0
	s_delay_alu instid0(VALU_DEP_1)
	v_lshl_add_u32 v3, v1, 3, 0x2000
	ds_load_b64 v[1:2], v3
.LBB92_118:                             ; =>This Inner Loop Header: Depth=1
	s_wait_dscnt 0x0
	v_add_f64_e32 v[4:5], v[1:2], v[12:13]
	ds_cmpstore_rtn_b64 v[4:5], v3, v[4:5], v[1:2]
	s_wait_dscnt 0x0
	v_cmp_eq_u64_e32 vcc_lo, v[4:5], v[1:2]
	v_dual_mov_b32 v1, v4 :: v_dual_mov_b32 v2, v5
	s_wait_alu 0xfffe
	s_or_b32 s0, vcc_lo, s0
	s_wait_alu 0xfffe
	s_and_not1_b32 exec_lo, exec_lo, s0
	s_cbranch_execnz .LBB92_118
; %bb.119:
	s_or_b32 exec_lo, exec_lo, s0
.LBB92_120:
	s_delay_alu instid0(SALU_CYCLE_1)
	s_or_b32 exec_lo, exec_lo, s22
.LBB92_121:
	s_wait_alu 0xfffe
	s_and_not1_saveexec_b32 s0, s13
	s_cbranch_execz .LBB92_123
; %bb.122:
	s_wait_dscnt 0x0
	ds_load_b64 v[10:11], v16 offset:4096
.LBB92_123:
	s_wait_alu 0xfffe
	s_or_b32 exec_lo, exec_lo, s0
	v_ashrrev_i32_e32 v9, 31, v8
	v_mov_b32_e32 v3, s18
	s_delay_alu instid0(VALU_DEP_2) | instskip(NEXT) | instid1(VALU_DEP_1)
	v_lshlrev_b64_e32 v[1:2], 3, v[8:9]
	v_add_co_u32 v1, vcc_lo, s14, v1
	s_wait_alu 0xfffd
	s_delay_alu instid0(VALU_DEP_2)
	v_add_co_ci_u32_e64 v2, null, s15, v2, vcc_lo
	v_cmp_ne_u32_e32 vcc_lo, 1, v18
	global_load_b64 v[1:2], v[1:2], off
	s_and_b32 vcc_lo, exec_lo, vcc_lo
	s_wait_loadcnt_dscnt 0x0
	v_mul_f64_e32 v[4:5], v[1:2], v[10:11]
	v_mov_b32_e32 v1, s12
	ds_store_b64 v16, v[4:5] offset:4096
	s_wait_alu 0xfffe
	s_cbranch_vccnz .LBB92_127
; %bb.124:
	v_mov_b32_e32 v3, s18
	v_mov_b32_e32 v1, s12
	s_mov_b32 s12, 0
.LBB92_125:                             ; =>This Inner Loop Header: Depth=1
	s_delay_alu instid0(VALU_DEP_1) | instskip(NEXT) | instid1(VALU_DEP_1)
	v_add_nc_u32_e32 v2, v1, v3
	v_lshrrev_b32_e32 v4, 31, v2
	s_delay_alu instid0(VALU_DEP_1) | instskip(NEXT) | instid1(VALU_DEP_1)
	v_add_nc_u32_e32 v2, v2, v4
	v_ashrrev_i32_e32 v4, 1, v2
	s_delay_alu instid0(VALU_DEP_1) | instskip(NEXT) | instid1(VALU_DEP_1)
	v_ashrrev_i32_e32 v5, 31, v4
	v_lshlrev_b64_e32 v[8:9], 2, v[4:5]
	s_delay_alu instid0(VALU_DEP_1) | instskip(SKIP_1) | instid1(VALU_DEP_2)
	v_add_co_u32 v8, vcc_lo, s8, v8
	s_wait_alu 0xfffd
	v_add_co_ci_u32_e64 v9, null, s9, v9, vcc_lo
	global_load_b32 v2, v[8:9], off
	s_wait_loadcnt 0x0
	v_subrev_nc_u32_e32 v2, s20, v2
	s_delay_alu instid0(VALU_DEP_1) | instskip(SKIP_2) | instid1(VALU_DEP_1)
	v_cmp_lt_i32_e32 vcc_lo, v17, v2
	s_wait_alu 0xfffd
	v_cndmask_b32_e32 v1, v1, v4, vcc_lo
	v_dual_cndmask_b32 v3, v4, v3 :: v_dual_add_nc_u32 v2, -1, v1
	s_delay_alu instid0(VALU_DEP_1) | instskip(NEXT) | instid1(VALU_DEP_2)
	v_cmp_ge_i32_e32 vcc_lo, v3, v1
	v_cmp_eq_u32_e64 s0, v3, v2
	s_or_b32 s0, vcc_lo, s0
	s_wait_alu 0xfffe
	s_and_b32 s0, exec_lo, s0
	s_wait_alu 0xfffe
	s_or_b32 s12, s0, s12
	s_wait_alu 0xfffe
	s_and_not1_b32 exec_lo, exec_lo, s12
	s_cbranch_execnz .LBB92_125
; %bb.126:
	s_or_b32 exec_lo, exec_lo, s12
.LBB92_127:
	v_ashrrev_i32_e32 v2, 31, v1
	s_mov_b32 s0, exec_lo
	s_delay_alu instid0(VALU_DEP_1) | instskip(NEXT) | instid1(VALU_DEP_1)
	v_lshlrev_b64_e32 v[4:5], 2, v[1:2]
	v_add_co_u32 v4, vcc_lo, s8, v4
	s_wait_alu 0xfffd
	s_delay_alu instid0(VALU_DEP_2)
	v_add_co_ci_u32_e64 v5, null, s9, v5, vcc_lo
	global_load_b32 v2, v[4:5], off
	global_load_b32 v4, v[6:7], off offset:3072
                                        ; implicit-def: $vgpr7_vgpr8
	s_wait_loadcnt 0x1
	v_subrev_nc_u32_e32 v2, s20, v2
	s_wait_loadcnt 0x0
	v_subrev_nc_u32_e32 v5, s20, v4
	s_delay_alu instid0(VALU_DEP_2) | instskip(SKIP_2) | instid1(VALU_DEP_1)
	v_cmp_lt_i32_e32 vcc_lo, v17, v2
	s_wait_alu 0xfffd
	v_cndmask_b32_e32 v1, v1, v3, vcc_lo
	v_cmpx_ne_u32_e64 v5, v1
	s_wait_alu 0xfffe
	s_xor_b32 s12, exec_lo, s0
	s_cbranch_execz .LBB92_138
; %bb.128:
	s_load_b32 s0, s[10:11], 0x0
	ds_load_b64 v[7:8], v16 offset:6144
	s_mov_b32 s10, exec_lo
	s_wait_kmcnt 0x0
	s_sub_co_i32 s0, s0, s20
	s_wait_alu 0xfffe
	v_cmpx_gt_i32_e64 s0, v17
	s_cbranch_execz .LBB92_137
; %bb.129:
	v_ashrrev_i32_e32 v2, 31, v1
	v_cmp_le_i32_e64 s0, s19, v5
	s_delay_alu instid0(VALU_DEP_2) | instskip(NEXT) | instid1(VALU_DEP_1)
	v_lshlrev_b64_e32 v[1:2], 3, v[1:2]
	v_add_co_u32 v1, vcc_lo, s14, v1
	s_wait_alu 0xfffd
	s_delay_alu instid0(VALU_DEP_2)
	v_add_co_ci_u32_e64 v2, null, s15, v2, vcc_lo
	v_cmp_gt_i32_e32 vcc_lo, s5, v5
	global_load_b64 v[1:2], v[1:2], off
	s_or_b32 s0, vcc_lo, s0
	s_wait_loadcnt_dscnt 0x0
	v_mul_f64_e32 v[9:10], v[7:8], v[1:2]
	s_wait_alu 0xfffe
	s_and_saveexec_b32 s11, s0
	s_wait_alu 0xfffe
	s_xor_b32 s0, exec_lo, s11
	s_cbranch_execz .LBB92_133
; %bb.130:
	v_ashrrev_i32_e32 v6, 31, v5
	s_mov_b32 s11, 0
	s_delay_alu instid0(VALU_DEP_1) | instskip(NEXT) | instid1(VALU_DEP_1)
	v_lshlrev_b64_e32 v[1:2], 3, v[5:6]
	v_add_co_u32 v11, vcc_lo, s16, v1
	s_wait_alu 0xfffd
	s_delay_alu instid0(VALU_DEP_2)
	v_add_co_ci_u32_e64 v12, null, s17, v2, vcc_lo
	global_load_b64 v[3:4], v[11:12], off
.LBB92_131:                             ; =>This Inner Loop Header: Depth=1
	s_wait_loadcnt 0x0
	v_add_f64_e32 v[1:2], v[3:4], v[9:10]
	global_atomic_cmpswap_b64 v[1:2], v[11:12], v[1:4], off th:TH_ATOMIC_RETURN scope:SCOPE_DEV
	s_wait_loadcnt 0x0
	v_cmp_eq_u64_e32 vcc_lo, v[1:2], v[3:4]
	v_dual_mov_b32 v4, v2 :: v_dual_mov_b32 v3, v1
	s_wait_alu 0xfffe
	s_or_b32 s11, vcc_lo, s11
	s_wait_alu 0xfffe
	s_and_not1_b32 exec_lo, exec_lo, s11
	s_cbranch_execnz .LBB92_131
; %bb.132:
	s_or_b32 exec_lo, exec_lo, s11
                                        ; implicit-def: $vgpr9_vgpr10
.LBB92_133:
	s_wait_alu 0xfffe
	s_and_not1_saveexec_b32 s0, s0
	s_cbranch_execz .LBB92_137
; %bb.134:
	v_subrev_nc_u32_e32 v1, s5, v5
	s_mov_b32 s0, 0
	s_delay_alu instid0(VALU_DEP_1)
	v_lshl_add_u32 v3, v1, 3, 0x2000
	ds_load_b64 v[1:2], v3
.LBB92_135:                             ; =>This Inner Loop Header: Depth=1
	s_wait_dscnt 0x0
	v_add_f64_e32 v[11:12], v[1:2], v[9:10]
	ds_cmpstore_rtn_b64 v[11:12], v3, v[11:12], v[1:2]
	s_wait_dscnt 0x0
	v_cmp_eq_u64_e32 vcc_lo, v[11:12], v[1:2]
	v_dual_mov_b32 v1, v11 :: v_dual_mov_b32 v2, v12
	s_wait_alu 0xfffe
	s_or_b32 s0, vcc_lo, s0
	s_wait_alu 0xfffe
	s_and_not1_b32 exec_lo, exec_lo, s0
	s_cbranch_execnz .LBB92_135
; %bb.136:
	s_or_b32 exec_lo, exec_lo, s0
.LBB92_137:
	s_delay_alu instid0(SALU_CYCLE_1)
	s_or_b32 exec_lo, exec_lo, s10
.LBB92_138:
	s_wait_alu 0xfffe
	s_and_not1_saveexec_b32 s0, s12
	s_cbranch_execz .LBB92_140
; %bb.139:
	s_wait_dscnt 0x0
	ds_load_b64 v[7:8], v16 offset:6144
.LBB92_140:
	s_wait_alu 0xfffe
	s_or_b32 exec_lo, exec_lo, s0
	v_ashrrev_i32_e32 v6, 31, v5
	s_delay_alu instid0(VALU_DEP_1) | instskip(NEXT) | instid1(VALU_DEP_1)
	v_lshlrev_b64_e32 v[1:2], 3, v[5:6]
	v_add_co_u32 v1, vcc_lo, s14, v1
	s_wait_alu 0xfffd
	s_delay_alu instid0(VALU_DEP_2)
	v_add_co_ci_u32_e64 v2, null, s15, v2, vcc_lo
	global_load_b64 v[1:2], v[1:2], off
	s_wait_loadcnt_dscnt 0x0
	v_mul_f64_e32 v[1:2], v[1:2], v[7:8]
	ds_store_b64 v16, v[1:2] offset:6144
.LBB92_141:
	s_wait_alu 0xfffe
	s_or_b32 exec_lo, exec_lo, s6
	s_min_i32 s6, s19, s7
	s_mov_b32 s7, exec_lo
	s_wait_alu 0xfffe
	s_sub_co_i32 s0, s6, s21
	s_wait_loadcnt_dscnt 0x0
	s_barrier_signal -1
	s_barrier_wait -1
	global_inv scope:SCOPE_SE
	s_wait_alu 0xfffe
	v_cmpx_gt_i32_e64 s0, v0
	s_cbranch_execz .LBB92_146
; %bb.142:
	v_mov_b32_e32 v9, v0
	s_mov_b32 s10, 0
.LBB92_143:                             ; =>This Loop Header: Depth=1
                                        ;     Child Loop BB92_144 Depth 2
	s_delay_alu instid0(VALU_DEP_1) | instskip(SKIP_1) | instid1(VALU_DEP_1)
	v_add_nc_u32_e32 v1, s5, v9
	s_mov_b32 s11, 0
	v_ashrrev_i32_e32 v2, 31, v1
	s_delay_alu instid0(VALU_DEP_1) | instskip(NEXT) | instid1(VALU_DEP_1)
	v_lshlrev_b64_e32 v[1:2], 3, v[1:2]
	v_add_co_u32 v5, vcc_lo, s16, v1
	s_wait_alu 0xfffd
	s_delay_alu instid0(VALU_DEP_2)
	v_add_co_ci_u32_e64 v6, null, s17, v2, vcc_lo
	v_lshl_add_u32 v1, v9, 3, 0x2000
	global_load_b64 v[3:4], v[5:6], off
	ds_load_b64 v[7:8], v1
.LBB92_144:                             ;   Parent Loop BB92_143 Depth=1
                                        ; =>  This Inner Loop Header: Depth=2
	s_wait_loadcnt_dscnt 0x0
	v_add_f64_e32 v[1:2], v[3:4], v[7:8]
	global_atomic_cmpswap_b64 v[1:2], v[5:6], v[1:4], off th:TH_ATOMIC_RETURN scope:SCOPE_DEV
	s_wait_loadcnt 0x0
	v_cmp_eq_u64_e32 vcc_lo, v[1:2], v[3:4]
	v_dual_mov_b32 v4, v2 :: v_dual_mov_b32 v3, v1
	s_wait_alu 0xfffe
	s_or_b32 s11, vcc_lo, s11
	s_wait_alu 0xfffe
	s_and_not1_b32 exec_lo, exec_lo, s11
	s_cbranch_execnz .LBB92_144
; %bb.145:                              ;   in Loop: Header=BB92_143 Depth=1
	s_or_b32 exec_lo, exec_lo, s11
	v_add_nc_u32_e32 v9, 0x100, v9
	s_delay_alu instid0(VALU_DEP_1)
	v_cmp_le_i32_e32 vcc_lo, s0, v9
	s_or_b32 s10, vcc_lo, s10
	s_wait_alu 0xfffe
	s_and_not1_b32 exec_lo, exec_lo, s10
	s_cbranch_execnz .LBB92_143
.LBB92_146:
	s_or_b32 exec_lo, exec_lo, s7
	s_mul_i32 s5, s1, s21
	s_add_co_i32 s7, s1, 1
	s_wait_alu 0xfffe
	s_sub_co_i32 s5, s4, s5
	v_add_nc_u32_e32 v5, s18, v0
	s_wait_alu 0xfffe
	s_sub_co_i32 s10, s5, s21
	s_cmp_ge_u32 s5, s21
	s_wait_loadcnt 0x0
	s_cselect_b32 s1, s7, s1
	s_wait_alu 0xfffe
	s_cselect_b32 s5, s10, s5
	s_add_co_i32 s7, s1, 1
	s_wait_alu 0xfffe
	s_cmp_ge_u32 s5, s21
	s_barrier_signal -1
	s_cselect_b32 s1, s7, s1
	s_barrier_wait -1
	s_wait_alu 0xfffe
	s_add_co_i32 s1, s1, -1
	global_inv scope:SCOPE_SE
	s_wait_alu 0xfffe
	s_ashr_i32 s5, s1, 1
	s_wait_alu 0xfffe
	s_or_b32 s1, s5, s1
	s_wait_alu 0xfffe
	s_ashr_i32 s5, s1, 2
	s_wait_alu 0xfffe
	s_or_b32 s1, s5, s1
	;; [unrolled: 4-line block ×5, first 2 shown]
	s_mov_b32 s5, -1
	s_wait_alu 0xfffe
	s_add_co_i32 s1, s1, 1
	s_wait_alu 0xfffe
	s_ashr_i32 s1, s1, 1
	s_wait_alu 0xfffe
	s_cmp_gt_i32 s1, 1
	s_cbranch_scc1 .LBB92_157
; %bb.147:
	s_mov_b32 s5, exec_lo
	v_cmpx_gt_i32_e64 s19, v5
	s_cbranch_execz .LBB92_156
; %bb.148:
	s_sub_co_i32 s6, s6, s19
	v_mov_b32_e32 v6, v5
	s_lshl_b32 s10, s24, 3
	s_wait_alu 0xfffe
	s_lshl_b32 s6, s6, 3
	s_mov_b32 s7, 0
	s_wait_alu 0xfffe
	s_addk_co_i32 s6, 0x2000
	s_sub_co_i32 s10, 0, s10
.LBB92_149:                             ; =>This Loop Header: Depth=1
                                        ;     Child Loop BB92_151 Depth 2
                                        ;     Child Loop BB92_154 Depth 2
	v_ashrrev_i32_e32 v7, 31, v6
	s_mov_b32 s11, exec_lo
	s_delay_alu instid0(VALU_DEP_1) | instskip(NEXT) | instid1(VALU_DEP_1)
	v_lshlrev_b64_e32 v[1:2], 2, v[6:7]
	v_add_co_u32 v1, vcc_lo, s8, v1
	s_wait_alu 0xfffd
	s_delay_alu instid0(VALU_DEP_2)
	v_add_co_ci_u32_e64 v2, null, s9, v2, vcc_lo
	global_load_b64 v[3:4], v[1:2], off
	v_mov_b32_e32 v1, 0
	v_mov_b32_e32 v2, 0
	s_wait_loadcnt 0x0
	v_cmpx_lt_i32_e64 v3, v4
	s_cbranch_execz .LBB92_153
; %bb.150:                              ;   in Loop: Header=BB92_149 Depth=1
	v_mov_b32_e32 v1, 0
	v_subrev_nc_u32_e32 v4, s24, v4
	v_subrev_nc_u32_e32 v8, s24, v3
	v_mov_b32_e32 v2, 0
	s_wait_alu 0xfffe
	v_lshl_add_u32 v3, v3, 3, s10
	s_mov_b32 s12, 0
.LBB92_151:                             ;   Parent Loop BB92_149 Depth=1
                                        ; =>  This Inner Loop Header: Depth=2
	ds_load_b64 v[9:10], v3
	v_add_nc_u32_e32 v8, 1, v8
	v_add_nc_u32_e32 v3, 8, v3
	s_delay_alu instid0(VALU_DEP_2)
	v_cmp_ge_i32_e32 vcc_lo, v8, v4
	s_wait_alu 0xfffe
	s_or_b32 s12, vcc_lo, s12
	s_wait_dscnt 0x0
	v_add_f64_e32 v[1:2], v[1:2], v[9:10]
	s_wait_alu 0xfffe
	s_and_not1_b32 exec_lo, exec_lo, s12
	s_cbranch_execnz .LBB92_151
; %bb.152:                              ;   in Loop: Header=BB92_149 Depth=1
	s_or_b32 exec_lo, exec_lo, s12
.LBB92_153:                             ;   in Loop: Header=BB92_149 Depth=1
	s_wait_alu 0xfffe
	s_or_b32 exec_lo, exec_lo, s11
	v_lshlrev_b64_e32 v[3:4], 3, v[6:7]
	v_lshl_add_u32 v9, v6, 3, s6
	s_mov_b32 s11, 0
	ds_load_b64 v[9:10], v9
	v_add_co_u32 v7, vcc_lo, s16, v3
	s_wait_alu 0xfffd
	v_add_co_ci_u32_e64 v8, null, s17, v4, vcc_lo
	global_load_b64 v[3:4], v[7:8], off
	s_wait_dscnt 0x0
	v_add_f64_e32 v[9:10], v[1:2], v[9:10]
.LBB92_154:                             ;   Parent Loop BB92_149 Depth=1
                                        ; =>  This Inner Loop Header: Depth=2
	s_wait_loadcnt 0x0
	s_delay_alu instid0(VALU_DEP_1)
	v_add_f64_e32 v[1:2], v[3:4], v[9:10]
	global_atomic_cmpswap_b64 v[1:2], v[7:8], v[1:4], off th:TH_ATOMIC_RETURN scope:SCOPE_DEV
	s_wait_loadcnt 0x0
	v_cmp_eq_u64_e32 vcc_lo, v[1:2], v[3:4]
	v_dual_mov_b32 v4, v2 :: v_dual_mov_b32 v3, v1
	s_wait_alu 0xfffe
	s_or_b32 s11, vcc_lo, s11
	s_wait_alu 0xfffe
	s_and_not1_b32 exec_lo, exec_lo, s11
	s_cbranch_execnz .LBB92_154
; %bb.155:                              ;   in Loop: Header=BB92_149 Depth=1
	s_or_b32 exec_lo, exec_lo, s11
	v_add_nc_u32_e32 v6, s4, v6
	s_delay_alu instid0(VALU_DEP_1)
	v_cmp_le_i32_e32 vcc_lo, s19, v6
	s_or_b32 s7, vcc_lo, s7
	s_wait_alu 0xfffe
	s_and_not1_b32 exec_lo, exec_lo, s7
	s_cbranch_execnz .LBB92_149
.LBB92_156:
	s_wait_alu 0xfffe
	s_or_b32 exec_lo, exec_lo, s5
	s_mov_b32 s5, 0
.LBB92_157:
	s_wait_alu 0xfffe
	s_and_not1_b32 vcc_lo, exec_lo, s5
	s_wait_alu 0xfffe
	s_cbranch_vccnz .LBB92_171
; %bb.158:
	s_cvt_f32_u32 s4, s1
	s_sub_co_i32 s5, 0, s1
	s_wait_alu 0xfffe
	s_delay_alu instid0(SALU_CYCLE_1) | instskip(NEXT) | instid1(TRANS32_DEP_1)
	v_rcp_iflag_f32_e32 v1, s4
	v_readfirstlane_b32 s4, v1
	s_mul_f32 s4, s4, 0x4f7ffffe
	s_wait_alu 0xfffe
	s_delay_alu instid0(SALU_CYCLE_2) | instskip(SKIP_1) | instid1(SALU_CYCLE_2)
	s_cvt_u32_f32 s4, s4
	s_wait_alu 0xfffe
	s_mul_i32 s5, s5, s4
	s_wait_alu 0xfffe
	s_mul_hi_u32 s5, s4, s5
	s_wait_alu 0xfffe
	s_add_co_i32 s4, s4, s5
	s_wait_alu 0xfffe
	v_mul_hi_u32 v1, v0, s4
	s_delay_alu instid0(VALU_DEP_1) | instskip(NEXT) | instid1(VALU_DEP_1)
	v_mul_lo_u32 v2, v1, s1
	v_sub_nc_u32_e32 v2, v0, v2
	s_delay_alu instid0(VALU_DEP_1) | instskip(SKIP_2) | instid1(VALU_DEP_2)
	v_subrev_nc_u32_e32 v4, s1, v2
	v_cmp_le_u32_e32 vcc_lo, s1, v2
	s_wait_alu 0xfffd
	v_dual_cndmask_b32 v2, v2, v4 :: v_dual_add_nc_u32 v3, 1, v1
	s_delay_alu instid0(VALU_DEP_1) | instskip(NEXT) | instid1(VALU_DEP_2)
	v_cndmask_b32_e32 v1, v1, v3, vcc_lo
	v_cmp_le_u32_e32 vcc_lo, s1, v2
	s_delay_alu instid0(VALU_DEP_2) | instskip(SKIP_1) | instid1(VALU_DEP_1)
	v_add_nc_u32_e32 v3, 1, v1
	s_wait_alu 0xfffd
	v_cndmask_b32_e32 v1, v1, v3, vcc_lo
	s_delay_alu instid0(VALU_DEP_1)
	v_lshlrev_b32_e32 v2, 2, v1
	global_load_b64 v[6:7], v2, s[2:3]
	s_abs_i32 s3, s1
	s_wait_alu 0xfffe
	s_cvt_f32_u32 s2, s3
	s_wait_alu 0xfffe
	s_delay_alu instid0(SALU_CYCLE_2) | instskip(SKIP_1) | instid1(TRANS32_DEP_1)
	v_rcp_iflag_f32_e32 v2, s2
	s_mov_b32 s2, exec_lo
	v_readfirstlane_b32 s4, v2
	v_mov_b32_e32 v2, 0
	v_mov_b32_e32 v3, 0
	v_cmpx_gt_i32_e64 s21, v1
	s_cbranch_execz .LBB92_166
; %bb.159:
	s_wait_loadcnt 0x0
	v_subrev_nc_u32_e32 v1, s24, v6
	v_subrev_nc_u32_e32 v4, s24, v7
	s_mul_f32 s4, s4, 0x4f7ffffe
	s_sub_co_i32 s5, 0, s3
	s_wait_alu 0xfffe
	s_delay_alu instid0(SALU_CYCLE_1) | instskip(SKIP_2) | instid1(SALU_CYCLE_1)
	s_cvt_u32_f32 s4, s4
	v_sub_nc_u32_e32 v6, v4, v1
	s_wait_alu 0xfffe
	s_mul_i32 s5, s5, s4
	s_delay_alu instid0(VALU_DEP_1)
	v_sub_nc_u32_e32 v2, 0, v6
	s_wait_alu 0xfffe
	s_mul_hi_u32 s5, s4, s5
	s_wait_alu 0xfffe
	s_add_co_i32 s4, s4, s5
	v_max_i32_e32 v7, v6, v2
	v_ashrrev_i32_e32 v6, 31, v6
	s_wait_alu 0xfffe
	s_delay_alu instid0(VALU_DEP_2) | instskip(SKIP_4) | instid1(VALU_DEP_1)
	v_mad_co_u64_u32 v[2:3], null, v7, s4, 0
	s_ashr_i32 s4, s1, 31
	s_wait_alu 0xfffe
	v_xor_b32_e32 v6, s4, v6
	v_mul_lo_u32 v2, v3, s3
	v_sub_nc_u32_e32 v2, v7, v2
	s_delay_alu instid0(VALU_DEP_1) | instskip(SKIP_2) | instid1(VALU_DEP_2)
	v_subrev_nc_u32_e32 v8, s3, v2
	v_cmp_le_u32_e32 vcc_lo, s3, v2
	s_wait_alu 0xfffd
	v_dual_cndmask_b32 v2, v2, v8 :: v_dual_add_nc_u32 v7, 1, v3
	s_delay_alu instid0(VALU_DEP_1) | instskip(NEXT) | instid1(VALU_DEP_2)
	v_cndmask_b32_e32 v3, v3, v7, vcc_lo
	v_cmp_le_u32_e32 vcc_lo, s3, v2
	s_add_co_i32 s3, s1, -1
	s_wait_alu 0xfffe
	v_and_b32_e32 v9, s3, v0
	s_mov_b32 s3, exec_lo
	s_delay_alu instid0(VALU_DEP_1) | instskip(SKIP_2) | instid1(VALU_DEP_1)
	v_lshlrev_b32_e32 v8, 3, v9
	v_add_nc_u32_e32 v7, 1, v3
	s_wait_alu 0xfffd
	v_cndmask_b32_e32 v2, v3, v7, vcc_lo
	s_delay_alu instid0(VALU_DEP_1) | instskip(NEXT) | instid1(VALU_DEP_1)
	v_xor_b32_e32 v2, v2, v6
	v_sub_nc_u32_e32 v6, v2, v6
	v_mov_b32_e32 v2, 0
	v_mov_b32_e32 v3, 0
	s_delay_alu instid0(VALU_DEP_3)
	v_cmpx_lt_i32_e32 0, v6
	s_cbranch_execz .LBB92_163
; %bb.160:
	v_mov_b32_e32 v2, 0
	v_lshl_add_u32 v7, v1, 3, v8
	v_dual_mov_b32 v3, 0 :: v_dual_mov_b32 v10, v6
	s_lshl_b32 s5, s1, 3
	s_mov_b32 s4, 0
.LBB92_161:                             ; =>This Inner Loop Header: Depth=1
	ds_load_b64 v[11:12], v7
	v_add_nc_u32_e32 v10, -1, v10
	s_wait_alu 0xfffe
	v_add_nc_u32_e32 v7, s5, v7
	s_delay_alu instid0(VALU_DEP_2)
	v_cmp_eq_u32_e32 vcc_lo, 0, v10
	s_or_b32 s4, vcc_lo, s4
	s_wait_dscnt 0x0
	v_add_f64_e32 v[2:3], v[2:3], v[11:12]
	s_wait_alu 0xfffe
	s_and_not1_b32 exec_lo, exec_lo, s4
	s_cbranch_execnz .LBB92_161
; %bb.162:
	s_or_b32 exec_lo, exec_lo, s4
.LBB92_163:
	s_wait_alu 0xfffe
	s_or_b32 exec_lo, exec_lo, s3
	s_delay_alu instid0(VALU_DEP_1) | instskip(SKIP_2) | instid1(VALU_DEP_1)
	v_mad_co_u64_u32 v[6:7], null, v6, s1, v[1:2]
	s_mov_b32 s3, exec_lo
	v_sub_nc_u32_e32 v1, v4, v6
	v_cmpx_lt_i32_e64 v9, v1
	s_cbranch_execz .LBB92_165
; %bb.164:
	v_lshl_add_u32 v1, v6, 3, v8
	ds_load_b64 v[6:7], v1
	s_wait_dscnt 0x0
	v_add_f64_e32 v[2:3], v[2:3], v[6:7]
.LBB92_165:
	s_wait_alu 0xfffe
	s_or_b32 exec_lo, exec_lo, s3
.LBB92_166:
	s_wait_alu 0xfffe
	s_or_b32 exec_lo, exec_lo, s2
	v_cmp_gt_i32_e32 vcc_lo, s21, v0
	s_wait_loadcnt 0x0
	s_barrier_signal -1
	s_barrier_wait -1
	global_inv scope:SCOPE_SE
	ds_store_b64 v16, v[2:3]
	s_wait_loadcnt_dscnt 0x0
	s_barrier_signal -1
	s_barrier_wait -1
	global_inv scope:SCOPE_SE
	s_and_b32 exec_lo, exec_lo, vcc_lo
	s_cbranch_execz .LBB92_171
; %bb.167:
	v_mul_lo_u32 v1, s1, v0
	v_mov_b32_e32 v7, 0
	s_delay_alu instid0(VALU_DEP_2)
	v_dual_mov_b32 v8, 0 :: v_dual_lshlrev_b32 v1, 3, v1
.LBB92_168:                             ; =>This Inner Loop Header: Depth=1
	ds_load_b64 v[2:3], v1
	v_add_nc_u32_e32 v1, 8, v1
	s_add_co_i32 s1, s1, -1
	s_wait_alu 0xfffe
	s_cmp_eq_u32 s1, 0
	s_wait_dscnt 0x0
	v_add_f64_e32 v[7:8], v[7:8], v[2:3]
	s_cbranch_scc0 .LBB92_168
; %bb.169:
	v_ashrrev_i32_e32 v6, 31, v5
	v_lshlrev_b32_e32 v0, 3, v0
	s_lshl_b32 s0, s0, 3
	s_delay_alu instid0(VALU_DEP_2) | instskip(SKIP_1) | instid1(VALU_DEP_2)
	v_lshlrev_b64_e32 v[1:2], 3, v[5:6]
	s_wait_alu 0xfffe
	v_add3_u32 v0, 0x2000, s0, v0
	s_mov_b32 s0, 0
	s_delay_alu instid0(VALU_DEP_2)
	v_add_co_u32 v4, vcc_lo, s16, v1
	s_wait_alu 0xfffd
	v_add_co_ci_u32_e64 v5, null, s17, v2, vcc_lo
	ds_load_b64 v[0:1], v0
	global_load_b64 v[2:3], v[4:5], off
	s_wait_dscnt 0x0
	v_add_f64_e32 v[6:7], v[7:8], v[0:1]
.LBB92_170:                             ; =>This Inner Loop Header: Depth=1
	s_wait_loadcnt 0x0
	s_delay_alu instid0(VALU_DEP_1)
	v_add_f64_e32 v[0:1], v[2:3], v[6:7]
	global_atomic_cmpswap_b64 v[0:1], v[4:5], v[0:3], off th:TH_ATOMIC_RETURN scope:SCOPE_DEV
	s_wait_loadcnt 0x0
	v_cmp_eq_u64_e32 vcc_lo, v[0:1], v[2:3]
	v_dual_mov_b32 v3, v1 :: v_dual_mov_b32 v2, v0
	s_wait_alu 0xfffe
	s_or_b32 s0, vcc_lo, s0
	s_wait_alu 0xfffe
	s_and_not1_b32 exec_lo, exec_lo, s0
	s_cbranch_execnz .LBB92_170
.LBB92_171:
	s_endpgm
	.section	.rodata,"a",@progbits
	.p2align	6, 0x0
	.amdhsa_kernel _ZN9rocsparseL27csrmvn_symm_adaptive_kernelIiifdddEEvbT_S1_PKS1_NS_24const_host_device_scalarIT4_EES3_PKT0_PKT1_PKT2_S6_PT3_21rocsparse_index_base_b
		.amdhsa_group_segment_fixed_size 8192
		.amdhsa_private_segment_fixed_size 0
		.amdhsa_kernarg_size 344
		.amdhsa_user_sgpr_count 2
		.amdhsa_user_sgpr_dispatch_ptr 0
		.amdhsa_user_sgpr_queue_ptr 0
		.amdhsa_user_sgpr_kernarg_segment_ptr 1
		.amdhsa_user_sgpr_dispatch_id 0
		.amdhsa_user_sgpr_private_segment_size 0
		.amdhsa_wavefront_size32 1
		.amdhsa_uses_dynamic_stack 0
		.amdhsa_enable_private_segment 0
		.amdhsa_system_sgpr_workgroup_id_x 1
		.amdhsa_system_sgpr_workgroup_id_y 0
		.amdhsa_system_sgpr_workgroup_id_z 0
		.amdhsa_system_sgpr_workgroup_info 0
		.amdhsa_system_vgpr_workitem_id 0
		.amdhsa_next_free_vgpr 21
		.amdhsa_next_free_sgpr 30
		.amdhsa_reserve_vcc 1
		.amdhsa_float_round_mode_32 0
		.amdhsa_float_round_mode_16_64 0
		.amdhsa_float_denorm_mode_32 3
		.amdhsa_float_denorm_mode_16_64 3
		.amdhsa_fp16_overflow 0
		.amdhsa_workgroup_processor_mode 1
		.amdhsa_memory_ordered 1
		.amdhsa_forward_progress 1
		.amdhsa_inst_pref_size 68
		.amdhsa_round_robin_scheduling 0
		.amdhsa_exception_fp_ieee_invalid_op 0
		.amdhsa_exception_fp_denorm_src 0
		.amdhsa_exception_fp_ieee_div_zero 0
		.amdhsa_exception_fp_ieee_overflow 0
		.amdhsa_exception_fp_ieee_underflow 0
		.amdhsa_exception_fp_ieee_inexact 0
		.amdhsa_exception_int_div_zero 0
	.end_amdhsa_kernel
	.section	.text._ZN9rocsparseL27csrmvn_symm_adaptive_kernelIiifdddEEvbT_S1_PKS1_NS_24const_host_device_scalarIT4_EES3_PKT0_PKT1_PKT2_S6_PT3_21rocsparse_index_base_b,"axG",@progbits,_ZN9rocsparseL27csrmvn_symm_adaptive_kernelIiifdddEEvbT_S1_PKS1_NS_24const_host_device_scalarIT4_EES3_PKT0_PKT1_PKT2_S6_PT3_21rocsparse_index_base_b,comdat
.Lfunc_end92:
	.size	_ZN9rocsparseL27csrmvn_symm_adaptive_kernelIiifdddEEvbT_S1_PKS1_NS_24const_host_device_scalarIT4_EES3_PKT0_PKT1_PKT2_S6_PT3_21rocsparse_index_base_b, .Lfunc_end92-_ZN9rocsparseL27csrmvn_symm_adaptive_kernelIiifdddEEvbT_S1_PKS1_NS_24const_host_device_scalarIT4_EES3_PKT0_PKT1_PKT2_S6_PT3_21rocsparse_index_base_b
                                        ; -- End function
	.set _ZN9rocsparseL27csrmvn_symm_adaptive_kernelIiifdddEEvbT_S1_PKS1_NS_24const_host_device_scalarIT4_EES3_PKT0_PKT1_PKT2_S6_PT3_21rocsparse_index_base_b.num_vgpr, 21
	.set _ZN9rocsparseL27csrmvn_symm_adaptive_kernelIiifdddEEvbT_S1_PKS1_NS_24const_host_device_scalarIT4_EES3_PKT0_PKT1_PKT2_S6_PT3_21rocsparse_index_base_b.num_agpr, 0
	.set _ZN9rocsparseL27csrmvn_symm_adaptive_kernelIiifdddEEvbT_S1_PKS1_NS_24const_host_device_scalarIT4_EES3_PKT0_PKT1_PKT2_S6_PT3_21rocsparse_index_base_b.numbered_sgpr, 30
	.set _ZN9rocsparseL27csrmvn_symm_adaptive_kernelIiifdddEEvbT_S1_PKS1_NS_24const_host_device_scalarIT4_EES3_PKT0_PKT1_PKT2_S6_PT3_21rocsparse_index_base_b.num_named_barrier, 0
	.set _ZN9rocsparseL27csrmvn_symm_adaptive_kernelIiifdddEEvbT_S1_PKS1_NS_24const_host_device_scalarIT4_EES3_PKT0_PKT1_PKT2_S6_PT3_21rocsparse_index_base_b.private_seg_size, 0
	.set _ZN9rocsparseL27csrmvn_symm_adaptive_kernelIiifdddEEvbT_S1_PKS1_NS_24const_host_device_scalarIT4_EES3_PKT0_PKT1_PKT2_S6_PT3_21rocsparse_index_base_b.uses_vcc, 1
	.set _ZN9rocsparseL27csrmvn_symm_adaptive_kernelIiifdddEEvbT_S1_PKS1_NS_24const_host_device_scalarIT4_EES3_PKT0_PKT1_PKT2_S6_PT3_21rocsparse_index_base_b.uses_flat_scratch, 0
	.set _ZN9rocsparseL27csrmvn_symm_adaptive_kernelIiifdddEEvbT_S1_PKS1_NS_24const_host_device_scalarIT4_EES3_PKT0_PKT1_PKT2_S6_PT3_21rocsparse_index_base_b.has_dyn_sized_stack, 0
	.set _ZN9rocsparseL27csrmvn_symm_adaptive_kernelIiifdddEEvbT_S1_PKS1_NS_24const_host_device_scalarIT4_EES3_PKT0_PKT1_PKT2_S6_PT3_21rocsparse_index_base_b.has_recursion, 0
	.set _ZN9rocsparseL27csrmvn_symm_adaptive_kernelIiifdddEEvbT_S1_PKS1_NS_24const_host_device_scalarIT4_EES3_PKT0_PKT1_PKT2_S6_PT3_21rocsparse_index_base_b.has_indirect_call, 0
	.section	.AMDGPU.csdata,"",@progbits
; Kernel info:
; codeLenInByte = 8600
; TotalNumSgprs: 32
; NumVgprs: 21
; ScratchSize: 0
; MemoryBound: 0
; FloatMode: 240
; IeeeMode: 1
; LDSByteSize: 8192 bytes/workgroup (compile time only)
; SGPRBlocks: 0
; VGPRBlocks: 2
; NumSGPRsForWavesPerEU: 32
; NumVGPRsForWavesPerEU: 21
; Occupancy: 16
; WaveLimiterHint : 1
; COMPUTE_PGM_RSRC2:SCRATCH_EN: 0
; COMPUTE_PGM_RSRC2:USER_SGPR: 2
; COMPUTE_PGM_RSRC2:TRAP_HANDLER: 0
; COMPUTE_PGM_RSRC2:TGID_X_EN: 1
; COMPUTE_PGM_RSRC2:TGID_Y_EN: 0
; COMPUTE_PGM_RSRC2:TGID_Z_EN: 0
; COMPUTE_PGM_RSRC2:TIDIG_COMP_CNT: 0
	.section	.text._ZL33csrmvn_symm_large_adaptive_kernelIiifdddEvbT_PKS0_N9rocsparse24const_host_device_scalarIT4_EES2_PKT0_PKT1_PKT2_S6_PT3_21rocsparse_index_base_b,"axG",@progbits,_ZL33csrmvn_symm_large_adaptive_kernelIiifdddEvbT_PKS0_N9rocsparse24const_host_device_scalarIT4_EES2_PKT0_PKT1_PKT2_S6_PT3_21rocsparse_index_base_b,comdat
	.globl	_ZL33csrmvn_symm_large_adaptive_kernelIiifdddEvbT_PKS0_N9rocsparse24const_host_device_scalarIT4_EES2_PKT0_PKT1_PKT2_S6_PT3_21rocsparse_index_base_b ; -- Begin function _ZL33csrmvn_symm_large_adaptive_kernelIiifdddEvbT_PKS0_N9rocsparse24const_host_device_scalarIT4_EES2_PKT0_PKT1_PKT2_S6_PT3_21rocsparse_index_base_b
	.p2align	8
	.type	_ZL33csrmvn_symm_large_adaptive_kernelIiifdddEvbT_PKS0_N9rocsparse24const_host_device_scalarIT4_EES2_PKT0_PKT1_PKT2_S6_PT3_21rocsparse_index_base_b,@function
_ZL33csrmvn_symm_large_adaptive_kernelIiifdddEvbT_PKS0_N9rocsparse24const_host_device_scalarIT4_EES2_PKT0_PKT1_PKT2_S6_PT3_21rocsparse_index_base_b: ; @_ZL33csrmvn_symm_large_adaptive_kernelIiifdddEvbT_PKS0_N9rocsparse24const_host_device_scalarIT4_EES2_PKT0_PKT1_PKT2_S6_PT3_21rocsparse_index_base_b
; %bb.0:
	s_clause 0x2
	s_load_b64 s[6:7], s[0:1], 0x48
	s_load_b64 s[4:5], s[0:1], 0x10
	;; [unrolled: 1-line block ×3, first 2 shown]
	s_wait_kmcnt 0x0
	s_bitcmp1_b32 s7, 0
	v_dual_mov_b32 v4, s4 :: v_dual_mov_b32 v5, s5
	s_cselect_b32 s7, -1, 0
	s_delay_alu instid0(SALU_CYCLE_1)
	s_and_b32 vcc_lo, exec_lo, s7
	s_xor_b32 s7, s7, -1
	s_cbranch_vccnz .LBB93_2
; %bb.1:
	v_dual_mov_b32 v1, s4 :: v_dual_mov_b32 v2, s5
	flat_load_b64 v[4:5], v[1:2]
.LBB93_2:
	v_dual_mov_b32 v1, s2 :: v_dual_mov_b32 v2, s3
	s_and_not1_b32 vcc_lo, exec_lo, s7
	s_cbranch_vccnz .LBB93_4
; %bb.3:
	v_dual_mov_b32 v1, s2 :: v_dual_mov_b32 v2, s3
	flat_load_b64 v[1:2], v[1:2]
.LBB93_4:
	s_wait_loadcnt_dscnt 0x0
	v_cmp_neq_f64_e32 vcc_lo, 0, v[4:5]
	v_cmp_neq_f64_e64 s2, 1.0, v[1:2]
	s_or_b32 s2, vcc_lo, s2
	s_wait_alu 0xfffe
	s_and_saveexec_b32 s3, s2
	s_cbranch_execz .LBB93_37
; %bb.5:
	s_load_b64 s[4:5], s[0:1], 0x8
	s_mov_b32 s8, 0
	s_mov_b32 s2, ttmp9
	s_mov_b32 s9, s8
	v_dual_mov_b32 v1, s8 :: v_dual_lshlrev_b32 v10, 3, v0
	s_ashr_i32 s3, ttmp9, 31
	v_mov_b32_e32 v2, s9
	s_wait_alu 0xfffe
	s_lshl_b64 s[2:3], s[2:3], 2
	ds_store_2addr_stride64_b64 v10, v[1:2], v[1:2] offset1:4
	ds_store_2addr_stride64_b64 v10, v[1:2], v[1:2] offset0:8 offset1:12
	s_wait_dscnt 0x0
	s_barrier_signal -1
	s_barrier_wait -1
	global_inv scope:SCOPE_SE
	v_subrev_nc_u32_e32 v11, s6, v0
	s_wait_kmcnt 0x0
	s_wait_alu 0xfffe
	s_add_nc_u64 s[2:3], s[4:5], s[2:3]
	s_load_b64 s[16:17], s[2:3], 0x0
	s_clause 0x1
	s_load_b256 s[8:15], s[0:1], 0x18
	s_load_b64 s[18:19], s[0:1], 0x40
	s_wait_kmcnt 0x0
	s_cmp_ge_i32 s16, s17
	s_cbranch_scc1 .LBB93_27
; %bb.6:
	v_cmp_gt_u32_e64 s0, 16, v0
	v_cmp_gt_u32_e64 s1, 4, v0
	v_cmp_eq_u32_e64 s2, 0, v0
	v_mov_b32_e32 v12, 0
	s_mov_b32 s20, s16
	v_cmp_gt_u32_e32 vcc_lo, 64, v0
	s_branch .LBB93_8
.LBB93_7:                               ;   in Loop: Header=BB93_8 Depth=1
	s_wait_alu 0xfffe
	s_or_b32 exec_lo, exec_lo, s7
	s_add_co_i32 s20, s20, 1
	s_delay_alu instid0(SALU_CYCLE_1)
	s_cmp_ge_i32 s20, s17
	s_cbranch_scc1 .LBB93_27
.LBB93_8:                               ; =>This Loop Header: Depth=1
                                        ;     Child Loop BB93_10 Depth 2
                                        ;     Child Loop BB93_22 Depth 2
	;; [unrolled: 1-line block ×3, first 2 shown]
	s_ashr_i32 s21, s20, 31
	v_mov_b32_e32 v1, 0
	s_lshl_b64 s[4:5], s[20:21], 2
	v_mov_b32_e32 v2, 0
	s_wait_alu 0xfffe
	s_add_nc_u64 s[4:5], s[8:9], s[4:5]
	s_load_b64 s[4:5], s[4:5], 0x0
	s_wait_kmcnt 0x0
	v_add_nc_u32_e32 v0, s4, v11
	s_sub_co_i32 s7, s5, s6
	s_mov_b32 s5, exec_lo
	s_wait_alu 0xfffe
	s_delay_alu instid0(VALU_DEP_1)
	v_cmpx_gt_i32_e64 s7, v0
	s_cbranch_execz .LBB93_12
; %bb.9:                                ;   in Loop: Header=BB93_8 Depth=1
	v_ashrrev_i32_e32 v1, 31, v0
	s_mov_b32 s22, 0
	s_delay_alu instid0(VALU_DEP_1) | instskip(SKIP_2) | instid1(VALU_DEP_3)
	v_lshlrev_b64_e32 v[8:9], 2, v[0:1]
	v_mov_b32_e32 v1, 0
	v_mov_b32_e32 v2, 0
	v_add_co_u32 v6, s3, s10, v8
	s_wait_alu 0xf1ff
	s_delay_alu instid0(VALU_DEP_4)
	v_add_co_ci_u32_e64 v7, null, s11, v9, s3
	v_add_co_u32 v8, s3, s12, v8
	s_wait_alu 0xf1ff
	v_add_co_ci_u32_e64 v9, null, s13, v9, s3
.LBB93_10:                              ;   Parent Loop BB93_8 Depth=1
                                        ; =>  This Inner Loop Header: Depth=2
	global_load_b32 v3, v[6:7], off
	global_load_b32 v15, v[8:9], off
	v_add_nc_u32_e32 v0, 0x100, v0
	v_add_co_u32 v8, s4, 0x400, v8
	s_wait_alu 0xf1ff
	v_add_co_ci_u32_e64 v9, null, 0, v9, s4
	s_wait_loadcnt 0x1
	v_subrev_nc_u32_e32 v13, s6, v3
	s_wait_loadcnt 0x0
	v_cvt_f64_f32_e32 v[15:16], v15
	s_delay_alu instid0(VALU_DEP_2) | instskip(NEXT) | instid1(VALU_DEP_1)
	v_ashrrev_i32_e32 v14, 31, v13
	v_lshlrev_b64_e32 v[13:14], 3, v[13:14]
	s_delay_alu instid0(VALU_DEP_1) | instskip(SKIP_1) | instid1(VALU_DEP_2)
	v_add_co_u32 v13, s3, s14, v13
	s_wait_alu 0xf1ff
	v_add_co_ci_u32_e64 v14, null, s15, v14, s3
	v_add_co_u32 v6, s3, 0x400, v6
	s_wait_alu 0xf1ff
	v_add_co_ci_u32_e64 v7, null, 0, v7, s3
	global_load_b64 v[13:14], v[13:14], off
	v_cmp_le_i32_e64 s3, s7, v0
	s_wait_alu 0xfffe
	s_or_b32 s22, s3, s22
	s_wait_loadcnt 0x0
	v_fma_f64 v[1:2], v[15:16], v[13:14], v[1:2]
	s_wait_alu 0xfffe
	s_and_not1_b32 exec_lo, exec_lo, s22
	s_cbranch_execnz .LBB93_10
; %bb.11:                               ;   in Loop: Header=BB93_8 Depth=1
	s_or_b32 exec_lo, exec_lo, s22
.LBB93_12:                              ;   in Loop: Header=BB93_8 Depth=1
	s_delay_alu instid0(SALU_CYCLE_1)
	s_or_b32 exec_lo, exec_lo, s5
	ds_store_b64 v10, v[1:2]
	s_wait_loadcnt_dscnt 0x0
	s_barrier_signal -1
	s_barrier_wait -1
	global_inv scope:SCOPE_SE
	ds_load_2addr_stride64_b64 v[0:3], v10 offset1:4
	ds_load_2addr_stride64_b64 v[6:9], v10 offset0:8 offset1:12
	s_wait_dscnt 0x0
	v_add_f64_e32 v[2:3], v[2:3], v[6:7]
	s_delay_alu instid0(VALU_DEP_1) | instskip(NEXT) | instid1(VALU_DEP_1)
	v_add_f64_e32 v[2:3], v[2:3], v[8:9]
	v_add_f64_e32 v[0:1], v[0:1], v[2:3]
	ds_store_b64 v10, v[0:1]
	s_wait_loadcnt_dscnt 0x0
	s_barrier_signal -1
	s_barrier_wait -1
	global_inv scope:SCOPE_SE
	s_and_saveexec_b32 s3, vcc_lo
	s_cbranch_execz .LBB93_14
; %bb.13:                               ;   in Loop: Header=BB93_8 Depth=1
	ds_load_2addr_stride64_b64 v[0:3], v10 offset1:1
	ds_load_2addr_stride64_b64 v[6:9], v10 offset0:2 offset1:3
	s_wait_dscnt 0x0
	v_add_f64_e32 v[2:3], v[2:3], v[6:7]
	s_delay_alu instid0(VALU_DEP_1) | instskip(NEXT) | instid1(VALU_DEP_1)
	v_add_f64_e32 v[2:3], v[2:3], v[8:9]
	v_add_f64_e32 v[0:1], v[0:1], v[2:3]
	ds_store_b64 v10, v[0:1]
.LBB93_14:                              ;   in Loop: Header=BB93_8 Depth=1
	s_wait_alu 0xfffe
	s_or_b32 exec_lo, exec_lo, s3
	s_wait_loadcnt_dscnt 0x0
	s_barrier_signal -1
	s_barrier_wait -1
	global_inv scope:SCOPE_SE
	s_and_saveexec_b32 s3, s0
	s_cbranch_execz .LBB93_16
; %bb.15:                               ;   in Loop: Header=BB93_8 Depth=1
	ds_load_2addr_b64 v[0:3], v10 offset1:16
	ds_load_2addr_b64 v[6:9], v10 offset0:32 offset1:48
	s_wait_dscnt 0x0
	v_add_f64_e32 v[2:3], v[2:3], v[6:7]
	s_delay_alu instid0(VALU_DEP_1) | instskip(NEXT) | instid1(VALU_DEP_1)
	v_add_f64_e32 v[2:3], v[2:3], v[8:9]
	v_add_f64_e32 v[0:1], v[0:1], v[2:3]
	ds_store_b64 v10, v[0:1]
.LBB93_16:                              ;   in Loop: Header=BB93_8 Depth=1
	s_wait_alu 0xfffe
	s_or_b32 exec_lo, exec_lo, s3
	s_wait_loadcnt_dscnt 0x0
	s_barrier_signal -1
	s_barrier_wait -1
	global_inv scope:SCOPE_SE
	s_and_saveexec_b32 s3, s1
	s_cbranch_execz .LBB93_18
; %bb.17:                               ;   in Loop: Header=BB93_8 Depth=1
	ds_load_2addr_b64 v[0:3], v10 offset1:4
	ds_load_2addr_b64 v[6:9], v10 offset0:8 offset1:12
	s_wait_dscnt 0x0
	v_add_f64_e32 v[2:3], v[2:3], v[6:7]
	s_delay_alu instid0(VALU_DEP_1) | instskip(NEXT) | instid1(VALU_DEP_1)
	v_add_f64_e32 v[2:3], v[2:3], v[8:9]
	v_add_f64_e32 v[0:1], v[0:1], v[2:3]
	ds_store_b64 v10, v[0:1]
.LBB93_18:                              ;   in Loop: Header=BB93_8 Depth=1
	s_wait_alu 0xfffe
	s_or_b32 exec_lo, exec_lo, s3
	s_wait_loadcnt_dscnt 0x0
	s_barrier_signal -1
	s_barrier_wait -1
	global_inv scope:SCOPE_SE
	s_and_saveexec_b32 s3, s2
	s_cbranch_execz .LBB93_20
; %bb.19:                               ;   in Loop: Header=BB93_8 Depth=1
	ds_load_2addr_b64 v[0:3], v12 offset0:1 offset1:2
	ds_load_b64 v[6:7], v10
	s_wait_dscnt 0x1
	v_add_f64_e32 v[0:1], v[0:1], v[2:3]
	ds_load_b64 v[2:3], v12 offset:24
	s_wait_dscnt 0x0
	v_add_f64_e32 v[0:1], v[0:1], v[2:3]
	s_delay_alu instid0(VALU_DEP_1)
	v_add_f64_e32 v[0:1], v[6:7], v[0:1]
	ds_store_b64 v10, v[0:1]
.LBB93_20:                              ;   in Loop: Header=BB93_8 Depth=1
	s_wait_alu 0xfffe
	s_or_b32 exec_lo, exec_lo, s3
	s_wait_loadcnt_dscnt 0x0
	s_barrier_signal -1
	s_barrier_wait -1
	global_inv scope:SCOPE_SE
	s_and_saveexec_b32 s7, s2
	s_cbranch_execz .LBB93_7
; %bb.21:                               ;   in Loop: Header=BB93_8 Depth=1
	ds_load_b64 v[0:1], v12
	v_mov_b32_e32 v6, 0
	v_bfrev_b32_e32 v7, 1
	s_mov_b32 s3, exec_lo
	s_wait_dscnt 0x0
	v_mul_f64_e32 v[0:1], v[4:5], v[0:1]
.LBB93_22:                              ;   Parent Loop BB93_8 Depth=1
                                        ; =>  This Inner Loop Header: Depth=2
	s_wait_alu 0xfffe
	s_ctz_i32_b32 s22, s3
	s_wait_alu 0xfffe
	s_delay_alu instid0(VALU_DEP_1) | instskip(NEXT) | instid1(VALU_DEP_2)
	v_readlane_b32 s5, v1, s22
	v_readlane_b32 s4, v0, s22
	s_wait_alu 0xf1ff
	s_delay_alu instid0(VALU_DEP_1)
	v_add_f64_e32 v[6:7], s[4:5], v[6:7]
	s_lshl_b32 s4, 1, s22
	s_wait_alu 0xfffe
	s_and_not1_b32 s3, s3, s4
	s_wait_alu 0xfffe
	s_cmp_lg_u32 s3, 0
	s_cbranch_scc1 .LBB93_22
; %bb.23:                               ;   in Loop: Header=BB93_8 Depth=1
	v_mbcnt_lo_u32_b32 v0, exec_lo, 0
	s_mov_b32 s4, exec_lo
	s_delay_alu instid0(VALU_DEP_1)
	v_cmpx_eq_u32_e32 0, v0
	s_wait_alu 0xfffe
	s_xor_b32 s4, exec_lo, s4
	s_cbranch_execz .LBB93_7
; %bb.24:                               ;   in Loop: Header=BB93_8 Depth=1
	s_lshl_b64 s[4:5], s[20:21], 3
	s_mov_b32 s21, 0
	s_wait_alu 0xfffe
	s_add_nc_u64 s[4:5], s[18:19], s[4:5]
	global_load_b64 v[2:3], v12, s[4:5]
.LBB93_25:                              ;   Parent Loop BB93_8 Depth=1
                                        ; =>  This Inner Loop Header: Depth=2
	s_wait_loadcnt 0x0
	v_add_f64_e32 v[0:1], v[2:3], v[6:7]
	global_atomic_cmpswap_b64 v[0:1], v12, v[0:3], s[4:5] th:TH_ATOMIC_RETURN scope:SCOPE_DEV
	s_wait_loadcnt 0x0
	v_cmp_eq_u64_e64 s3, v[0:1], v[2:3]
	v_dual_mov_b32 v3, v1 :: v_dual_mov_b32 v2, v0
	s_or_b32 s21, s3, s21
	s_delay_alu instid0(SALU_CYCLE_1)
	s_and_not1_b32 exec_lo, exec_lo, s21
	s_cbranch_execnz .LBB93_25
; %bb.26:                               ;   in Loop: Header=BB93_8 Depth=1
	s_or_b32 exec_lo, exec_lo, s21
	s_branch .LBB93_7
.LBB93_27:
	s_ashr_i32 s1, s16, 31
	s_mov_b32 s0, s16
	s_ashr_i32 s3, s17, 31
	s_lshl_b64 s[0:1], s[0:1], 2
	s_mov_b32 s2, s17
	s_add_nc_u64 s[0:1], s[8:9], s[0:1]
	s_wait_alu 0xfffe
	s_lshl_b64 s[2:3], s[2:3], 2
	s_load_b32 s4, s[0:1], 0x0
	s_add_nc_u64 s[0:1], s[8:9], s[2:3]
	s_load_b32 s0, s[0:1], 0x0
	s_wait_kmcnt 0x0
	v_add_nc_u32_e32 v6, s4, v11
	s_sub_co_i32 s1, s0, s6
	s_delay_alu instid0(VALU_DEP_1) | instid1(SALU_CYCLE_1)
	v_cmp_gt_i32_e32 vcc_lo, s1, v6
	s_and_b32 exec_lo, exec_lo, vcc_lo
	s_cbranch_execz .LBB93_37
; %bb.28:
	s_add_co_i32 s2, s17, -1
	s_mov_b32 s4, 0
	s_wait_alu 0xfffe
	s_cmp_lt_i32 s16, s2
	s_cselect_b32 s0, -1, 0
	s_add_co_i32 s3, s17, -2
	s_wait_alu 0xfffe
	s_cmp_lg_u32 s16, s3
	s_cselect_b32 s3, -1, 0
	s_wait_alu 0xfffe
	s_and_b32 s3, s0, s3
	s_branch .LBB93_30
.LBB93_29:                              ;   in Loop: Header=BB93_30 Depth=1
	s_wait_alu 0xfffe
	s_or_b32 exec_lo, exec_lo, s0
	v_add_nc_u32_e32 v6, 0x100, v6
	s_delay_alu instid0(VALU_DEP_1)
	v_cmp_le_i32_e32 vcc_lo, s1, v6
	s_or_b32 s4, vcc_lo, s4
	s_wait_alu 0xfffe
	s_and_not1_b32 exec_lo, exec_lo, s4
	s_cbranch_execz .LBB93_37
.LBB93_30:                              ; =>This Loop Header: Depth=1
                                        ;     Child Loop BB93_32 Depth 2
                                        ;     Child Loop BB93_36 Depth 2
	v_dual_mov_b32 v3, s16 :: v_dual_mov_b32 v0, s2
	s_wait_alu 0xfffe
	s_and_not1_b32 vcc_lo, exec_lo, s3
	s_wait_alu 0xfffe
	s_cbranch_vccnz .LBB93_34
; %bb.31:                               ;   in Loop: Header=BB93_30 Depth=1
	v_dual_mov_b32 v3, s16 :: v_dual_mov_b32 v0, s2
	s_mov_b32 s5, 0
.LBB93_32:                              ;   Parent Loop BB93_30 Depth=1
                                        ; =>  This Inner Loop Header: Depth=2
	s_delay_alu instid0(VALU_DEP_1) | instskip(NEXT) | instid1(VALU_DEP_1)
	v_add_nc_u32_e32 v1, v0, v3
	v_lshrrev_b32_e32 v2, 31, v1
	s_delay_alu instid0(VALU_DEP_1) | instskip(NEXT) | instid1(VALU_DEP_1)
	v_add_nc_u32_e32 v1, v1, v2
	v_ashrrev_i32_e32 v1, 1, v1
	s_delay_alu instid0(VALU_DEP_1) | instskip(NEXT) | instid1(VALU_DEP_1)
	v_ashrrev_i32_e32 v2, 31, v1
	v_lshlrev_b64_e32 v[7:8], 2, v[1:2]
	s_delay_alu instid0(VALU_DEP_1) | instskip(SKIP_1) | instid1(VALU_DEP_2)
	v_add_co_u32 v7, vcc_lo, s8, v7
	s_wait_alu 0xfffd
	v_add_co_ci_u32_e64 v8, null, s9, v8, vcc_lo
	global_load_b32 v2, v[7:8], off
	s_wait_loadcnt 0x0
	v_subrev_nc_u32_e32 v2, s6, v2
	s_delay_alu instid0(VALU_DEP_1) | instskip(SKIP_2) | instid1(VALU_DEP_1)
	v_cmp_lt_i32_e32 vcc_lo, v6, v2
	s_wait_alu 0xfffd
	v_dual_cndmask_b32 v0, v0, v1 :: v_dual_cndmask_b32 v3, v1, v3
	v_add_nc_u32_e32 v1, -1, v0
	s_delay_alu instid0(VALU_DEP_2) | instskip(NEXT) | instid1(VALU_DEP_2)
	v_cmp_ge_i32_e32 vcc_lo, v3, v0
	v_cmp_eq_u32_e64 s0, v3, v1
	s_or_b32 s0, vcc_lo, s0
	s_wait_alu 0xfffe
	s_and_b32 s0, exec_lo, s0
	s_wait_alu 0xfffe
	s_or_b32 s5, s0, s5
	s_wait_alu 0xfffe
	s_and_not1_b32 exec_lo, exec_lo, s5
	s_cbranch_execnz .LBB93_32
; %bb.33:                               ;   in Loop: Header=BB93_30 Depth=1
	s_or_b32 exec_lo, exec_lo, s5
.LBB93_34:                              ;   in Loop: Header=BB93_30 Depth=1
	v_ashrrev_i32_e32 v1, 31, v0
	v_ashrrev_i32_e32 v7, 31, v6
	s_mov_b32 s0, exec_lo
	s_delay_alu instid0(VALU_DEP_2) | instskip(NEXT) | instid1(VALU_DEP_1)
	v_lshlrev_b64_e32 v[1:2], 2, v[0:1]
	v_add_co_u32 v8, vcc_lo, s8, v1
	s_wait_alu 0xfffd
	s_delay_alu instid0(VALU_DEP_2)
	v_add_co_ci_u32_e64 v9, null, s9, v2, vcc_lo
	v_lshlrev_b64_e32 v[1:2], 2, v[6:7]
	global_load_b32 v9, v[8:9], off
	v_add_co_u32 v7, vcc_lo, s10, v1
	s_wait_alu 0xfffd
	v_add_co_ci_u32_e64 v8, null, s11, v2, vcc_lo
	global_load_b32 v8, v[7:8], off
	s_wait_loadcnt 0x1
	v_subrev_nc_u32_e32 v7, s6, v9
	s_delay_alu instid0(VALU_DEP_1) | instskip(SKIP_4) | instid1(VALU_DEP_1)
	v_cmp_lt_i32_e32 vcc_lo, v6, v7
	s_wait_alu 0xfffd
	v_cndmask_b32_e32 v7, v0, v3, vcc_lo
	s_wait_loadcnt 0x0
	v_subrev_nc_u32_e32 v0, s6, v8
	v_cmpx_ne_u32_e64 v0, v7
	s_cbranch_execz .LBB93_29
; %bb.35:                               ;   in Loop: Header=BB93_30 Depth=1
	v_add_co_u32 v1, vcc_lo, s12, v1
	s_wait_alu 0xfffd
	v_add_co_ci_u32_e64 v2, null, s13, v2, vcc_lo
	v_ashrrev_i32_e32 v8, 31, v7
	s_mov_b32 s5, 0
	global_load_b32 v11, v[1:2], off
	v_lshlrev_b64_e32 v[1:2], 3, v[7:8]
	s_delay_alu instid0(VALU_DEP_1) | instskip(SKIP_1) | instid1(VALU_DEP_2)
	v_add_co_u32 v1, vcc_lo, s14, v1
	s_wait_alu 0xfffd
	v_add_co_ci_u32_e64 v2, null, s15, v2, vcc_lo
	global_load_b64 v[9:10], v[1:2], off
	v_ashrrev_i32_e32 v1, 31, v0
	s_delay_alu instid0(VALU_DEP_1) | instskip(NEXT) | instid1(VALU_DEP_1)
	v_lshlrev_b64_e32 v[0:1], 3, v[0:1]
	v_add_co_u32 v7, vcc_lo, s18, v0
	s_wait_alu 0xfffd
	s_delay_alu instid0(VALU_DEP_2) | instskip(SKIP_3) | instid1(VALU_DEP_1)
	v_add_co_ci_u32_e64 v8, null, s19, v1, vcc_lo
	global_load_b64 v[2:3], v[7:8], off
	s_wait_loadcnt 0x2
	v_cvt_f64_f32_e32 v[0:1], v11
	v_mul_f64_e32 v[0:1], v[4:5], v[0:1]
	s_wait_loadcnt 0x1
	s_delay_alu instid0(VALU_DEP_1)
	v_mul_f64_e32 v[9:10], v[9:10], v[0:1]
.LBB93_36:                              ;   Parent Loop BB93_30 Depth=1
                                        ; =>  This Inner Loop Header: Depth=2
	s_wait_loadcnt 0x0
	s_delay_alu instid0(VALU_DEP_1)
	v_add_f64_e32 v[0:1], v[2:3], v[9:10]
	global_atomic_cmpswap_b64 v[0:1], v[7:8], v[0:3], off th:TH_ATOMIC_RETURN scope:SCOPE_DEV
	s_wait_loadcnt 0x0
	v_cmp_eq_u64_e32 vcc_lo, v[0:1], v[2:3]
	v_dual_mov_b32 v3, v1 :: v_dual_mov_b32 v2, v0
	s_wait_alu 0xfffe
	s_or_b32 s5, vcc_lo, s5
	s_wait_alu 0xfffe
	s_and_not1_b32 exec_lo, exec_lo, s5
	s_cbranch_execnz .LBB93_36
	s_branch .LBB93_29
.LBB93_37:
	s_endpgm
	.section	.rodata,"a",@progbits
	.p2align	6, 0x0
	.amdhsa_kernel _ZL33csrmvn_symm_large_adaptive_kernelIiifdddEvbT_PKS0_N9rocsparse24const_host_device_scalarIT4_EES2_PKT0_PKT1_PKT2_S6_PT3_21rocsparse_index_base_b
		.amdhsa_group_segment_fixed_size 8192
		.amdhsa_private_segment_fixed_size 0
		.amdhsa_kernarg_size 80
		.amdhsa_user_sgpr_count 2
		.amdhsa_user_sgpr_dispatch_ptr 0
		.amdhsa_user_sgpr_queue_ptr 0
		.amdhsa_user_sgpr_kernarg_segment_ptr 1
		.amdhsa_user_sgpr_dispatch_id 0
		.amdhsa_user_sgpr_private_segment_size 0
		.amdhsa_wavefront_size32 1
		.amdhsa_uses_dynamic_stack 0
		.amdhsa_enable_private_segment 0
		.amdhsa_system_sgpr_workgroup_id_x 1
		.amdhsa_system_sgpr_workgroup_id_y 0
		.amdhsa_system_sgpr_workgroup_id_z 0
		.amdhsa_system_sgpr_workgroup_info 0
		.amdhsa_system_vgpr_workitem_id 0
		.amdhsa_next_free_vgpr 17
		.amdhsa_next_free_sgpr 23
		.amdhsa_reserve_vcc 1
		.amdhsa_float_round_mode_32 0
		.amdhsa_float_round_mode_16_64 0
		.amdhsa_float_denorm_mode_32 3
		.amdhsa_float_denorm_mode_16_64 3
		.amdhsa_fp16_overflow 0
		.amdhsa_workgroup_processor_mode 1
		.amdhsa_memory_ordered 1
		.amdhsa_forward_progress 1
		.amdhsa_inst_pref_size 17
		.amdhsa_round_robin_scheduling 0
		.amdhsa_exception_fp_ieee_invalid_op 0
		.amdhsa_exception_fp_denorm_src 0
		.amdhsa_exception_fp_ieee_div_zero 0
		.amdhsa_exception_fp_ieee_overflow 0
		.amdhsa_exception_fp_ieee_underflow 0
		.amdhsa_exception_fp_ieee_inexact 0
		.amdhsa_exception_int_div_zero 0
	.end_amdhsa_kernel
	.section	.text._ZL33csrmvn_symm_large_adaptive_kernelIiifdddEvbT_PKS0_N9rocsparse24const_host_device_scalarIT4_EES2_PKT0_PKT1_PKT2_S6_PT3_21rocsparse_index_base_b,"axG",@progbits,_ZL33csrmvn_symm_large_adaptive_kernelIiifdddEvbT_PKS0_N9rocsparse24const_host_device_scalarIT4_EES2_PKT0_PKT1_PKT2_S6_PT3_21rocsparse_index_base_b,comdat
.Lfunc_end93:
	.size	_ZL33csrmvn_symm_large_adaptive_kernelIiifdddEvbT_PKS0_N9rocsparse24const_host_device_scalarIT4_EES2_PKT0_PKT1_PKT2_S6_PT3_21rocsparse_index_base_b, .Lfunc_end93-_ZL33csrmvn_symm_large_adaptive_kernelIiifdddEvbT_PKS0_N9rocsparse24const_host_device_scalarIT4_EES2_PKT0_PKT1_PKT2_S6_PT3_21rocsparse_index_base_b
                                        ; -- End function
	.set _ZL33csrmvn_symm_large_adaptive_kernelIiifdddEvbT_PKS0_N9rocsparse24const_host_device_scalarIT4_EES2_PKT0_PKT1_PKT2_S6_PT3_21rocsparse_index_base_b.num_vgpr, 17
	.set _ZL33csrmvn_symm_large_adaptive_kernelIiifdddEvbT_PKS0_N9rocsparse24const_host_device_scalarIT4_EES2_PKT0_PKT1_PKT2_S6_PT3_21rocsparse_index_base_b.num_agpr, 0
	.set _ZL33csrmvn_symm_large_adaptive_kernelIiifdddEvbT_PKS0_N9rocsparse24const_host_device_scalarIT4_EES2_PKT0_PKT1_PKT2_S6_PT3_21rocsparse_index_base_b.numbered_sgpr, 23
	.set _ZL33csrmvn_symm_large_adaptive_kernelIiifdddEvbT_PKS0_N9rocsparse24const_host_device_scalarIT4_EES2_PKT0_PKT1_PKT2_S6_PT3_21rocsparse_index_base_b.num_named_barrier, 0
	.set _ZL33csrmvn_symm_large_adaptive_kernelIiifdddEvbT_PKS0_N9rocsparse24const_host_device_scalarIT4_EES2_PKT0_PKT1_PKT2_S6_PT3_21rocsparse_index_base_b.private_seg_size, 0
	.set _ZL33csrmvn_symm_large_adaptive_kernelIiifdddEvbT_PKS0_N9rocsparse24const_host_device_scalarIT4_EES2_PKT0_PKT1_PKT2_S6_PT3_21rocsparse_index_base_b.uses_vcc, 1
	.set _ZL33csrmvn_symm_large_adaptive_kernelIiifdddEvbT_PKS0_N9rocsparse24const_host_device_scalarIT4_EES2_PKT0_PKT1_PKT2_S6_PT3_21rocsparse_index_base_b.uses_flat_scratch, 0
	.set _ZL33csrmvn_symm_large_adaptive_kernelIiifdddEvbT_PKS0_N9rocsparse24const_host_device_scalarIT4_EES2_PKT0_PKT1_PKT2_S6_PT3_21rocsparse_index_base_b.has_dyn_sized_stack, 0
	.set _ZL33csrmvn_symm_large_adaptive_kernelIiifdddEvbT_PKS0_N9rocsparse24const_host_device_scalarIT4_EES2_PKT0_PKT1_PKT2_S6_PT3_21rocsparse_index_base_b.has_recursion, 0
	.set _ZL33csrmvn_symm_large_adaptive_kernelIiifdddEvbT_PKS0_N9rocsparse24const_host_device_scalarIT4_EES2_PKT0_PKT1_PKT2_S6_PT3_21rocsparse_index_base_b.has_indirect_call, 0
	.section	.AMDGPU.csdata,"",@progbits
; Kernel info:
; codeLenInByte = 2080
; TotalNumSgprs: 25
; NumVgprs: 17
; ScratchSize: 0
; MemoryBound: 0
; FloatMode: 240
; IeeeMode: 1
; LDSByteSize: 8192 bytes/workgroup (compile time only)
; SGPRBlocks: 0
; VGPRBlocks: 2
; NumSGPRsForWavesPerEU: 25
; NumVGPRsForWavesPerEU: 17
; Occupancy: 16
; WaveLimiterHint : 1
; COMPUTE_PGM_RSRC2:SCRATCH_EN: 0
; COMPUTE_PGM_RSRC2:USER_SGPR: 2
; COMPUTE_PGM_RSRC2:TRAP_HANDLER: 0
; COMPUTE_PGM_RSRC2:TGID_X_EN: 1
; COMPUTE_PGM_RSRC2:TGID_Y_EN: 0
; COMPUTE_PGM_RSRC2:TGID_Z_EN: 0
; COMPUTE_PGM_RSRC2:TIDIG_COMP_CNT: 0
	.section	.text._ZN9rocsparseL22csrmvn_adaptive_kernelIlifdddEEvbT_PKS1_PjPKT0_NS_24const_host_device_scalarIT4_EES3_S7_PKT1_PKT2_SA_PT3_21rocsparse_index_base_b,"axG",@progbits,_ZN9rocsparseL22csrmvn_adaptive_kernelIlifdddEEvbT_PKS1_PjPKT0_NS_24const_host_device_scalarIT4_EES3_S7_PKT1_PKT2_SA_PT3_21rocsparse_index_base_b,comdat
	.globl	_ZN9rocsparseL22csrmvn_adaptive_kernelIlifdddEEvbT_PKS1_PjPKT0_NS_24const_host_device_scalarIT4_EES3_S7_PKT1_PKT2_SA_PT3_21rocsparse_index_base_b ; -- Begin function _ZN9rocsparseL22csrmvn_adaptive_kernelIlifdddEEvbT_PKS1_PjPKT0_NS_24const_host_device_scalarIT4_EES3_S7_PKT1_PKT2_SA_PT3_21rocsparse_index_base_b
	.p2align	8
	.type	_ZN9rocsparseL22csrmvn_adaptive_kernelIlifdddEEvbT_PKS1_PjPKT0_NS_24const_host_device_scalarIT4_EES3_S7_PKT1_PKT2_SA_PT3_21rocsparse_index_base_b,@function
_ZN9rocsparseL22csrmvn_adaptive_kernelIlifdddEEvbT_PKS1_PjPKT0_NS_24const_host_device_scalarIT4_EES3_S7_PKT1_PKT2_SA_PT3_21rocsparse_index_base_b: ; @_ZN9rocsparseL22csrmvn_adaptive_kernelIlifdddEEvbT_PKS1_PjPKT0_NS_24const_host_device_scalarIT4_EES3_S7_PKT1_PKT2_SA_PT3_21rocsparse_index_base_b
; %bb.0:
	s_clause 0x2
	s_load_b64 s[34:35], s[0:1], 0x60
	s_load_b64 s[4:5], s[0:1], 0x28
	;; [unrolled: 1-line block ×3, first 2 shown]
	s_wait_kmcnt 0x0
	s_bitcmp1_b32 s35, 0
	v_dual_mov_b32 v8, s5 :: v_dual_mov_b32 v7, s4
	s_cselect_b32 s6, -1, 0
	s_delay_alu instid0(SALU_CYCLE_1)
	s_and_b32 vcc_lo, exec_lo, s6
	s_xor_b32 s6, s6, -1
	s_cbranch_vccnz .LBB94_2
; %bb.1:
	v_dual_mov_b32 v1, s4 :: v_dual_mov_b32 v2, s5
	flat_load_b64 v[7:8], v[1:2]
.LBB94_2:
	v_dual_mov_b32 v6, s3 :: v_dual_mov_b32 v5, s2
	s_and_not1_b32 vcc_lo, exec_lo, s6
	s_cbranch_vccnz .LBB94_4
; %bb.3:
	v_dual_mov_b32 v1, s2 :: v_dual_mov_b32 v2, s3
	flat_load_b64 v[5:6], v[1:2]
.LBB94_4:
	s_wait_loadcnt_dscnt 0x0
	v_cmp_neq_f64_e32 vcc_lo, 0, v[7:8]
	v_cmp_neq_f64_e64 s2, 1.0, v[5:6]
	s_or_b32 s2, vcc_lo, s2
	s_wait_alu 0xfffe
	s_and_saveexec_b32 s3, s2
	s_cbranch_execz .LBB94_116
; %bb.5:
	s_clause 0x1
	s_load_b64 s[2:3], s[0:1], 0x10
	s_load_b64 s[6:7], s[0:1], 0x20
	s_mov_b32 s38, ttmp9
	s_ashr_i32 s39, ttmp9, 31
	s_delay_alu instid0(SALU_CYCLE_1)
	s_lshl_b64 s[4:5], s[38:39], 3
	s_lshl_b64 s[40:41], s[38:39], 2
	s_wait_kmcnt 0x0
	s_wait_alu 0xfffe
	s_add_nc_u64 s[2:3], s[2:3], s[4:5]
	s_load_b128 s[20:23], s[2:3], 0x0
	s_clause 0x1
	s_load_b256 s[12:19], s[0:1], 0x30
	s_load_b64 s[24:25], s[0:1], 0x58
	s_add_nc_u64 s[2:3], s[6:7], s[40:41]
	s_wait_kmcnt 0x0
	s_lshl_b64 s[36:37], s[20:21], 3
	s_delay_alu instid0(SALU_CYCLE_1)
	s_add_nc_u64 s[28:29], s[12:13], s[36:37]
	s_load_b32 s26, s[2:3], 0x0
	s_load_b64 s[30:31], s[28:29], 0x0
	s_sub_co_i32 s3, s22, s20
	s_mov_b32 s2, -1
	s_wait_alu 0xfffe
	s_cmp_lt_i32 s3, 2
	s_cbranch_scc0 .LBB94_72
; %bb.6:
	s_cmp_lg_u32 s3, 1
	s_cselect_b32 s2, -1, 0
	s_wait_kmcnt 0x0
	s_cmp_lg_u32 s26, 0
	s_cselect_b32 s3, -1, 0
	s_wait_alu 0xfffe
	s_or_b32 s2, s2, s3
	s_wait_alu 0xfffe
	s_and_b32 vcc_lo, exec_lo, s2
	s_mov_b32 s2, -1
	s_cbranch_vccnz .LBB94_35
; %bb.7:
	v_cmp_le_i64_e64 s2, s[22:23], s[20:21]
	s_wait_alu 0xfffe
	s_and_b32 vcc_lo, exec_lo, s2
	s_cbranch_vccnz .LBB94_34
; %bb.8:
	v_cmp_neq_f64_e64 s2, 0, v[5:6]
	v_sub_co_u32 v14, s3, v0, s34
	v_dual_mov_b32 v13, 0 :: v_dual_lshlrev_b32 v16, 3, v0
	s_wait_alu 0xf1ff
	v_sub_co_ci_u32_e64 v15, null, 0, 0, s3
	v_cmp_gt_u32_e64 s3, 0x80, v0
	v_cmp_gt_u32_e64 s4, 64, v0
	;; [unrolled: 1-line block ×7, first 2 shown]
	v_cmp_eq_u32_e64 s10, 0, v0
	s_mov_b32 s35, 0
	s_mov_b64 s[42:43], s[20:21]
	s_branch .LBB94_11
.LBB94_9:                               ;   in Loop: Header=BB94_11 Depth=1
	s_or_b32 exec_lo, exec_lo, s27
	s_wait_dscnt 0x0
	global_store_b64 v13, v[1:2], s[44:45]
.LBB94_10:                              ;   in Loop: Header=BB94_11 Depth=1
	s_wait_alu 0xfffe
	s_or_b32 exec_lo, exec_lo, s11
	s_add_nc_u64 s[42:43], s[42:43], 1
	s_wait_alu 0xfffe
	v_cmp_ge_i64_e64 s11, s[42:43], s[22:23]
	s_and_b32 vcc_lo, exec_lo, s11
	s_wait_alu 0xfffe
	s_cbranch_vccnz .LBB94_34
.LBB94_11:                              ; =>This Loop Header: Depth=1
                                        ;     Child Loop BB94_13 Depth 2
	s_lshl_b64 s[44:45], s[42:43], 3
	v_mov_b32_e32 v3, 0
	s_add_nc_u64 s[46:47], s[12:13], s[44:45]
	v_mov_b32_e32 v4, 0
	s_load_b128 s[48:51], s[46:47], 0x0
	s_mov_b32 s27, exec_lo
	s_wait_kmcnt 0x0
	v_add_co_u32 v1, vcc_lo, s48, v14
	s_wait_alu 0xfffd
	v_add_co_ci_u32_e64 v2, null, s49, v15, vcc_lo
	s_sub_nc_u64 s[46:47], s[50:51], s[34:35]
	s_wait_alu 0xfffe
	v_cmpx_gt_i64_e64 s[46:47], v[1:2]
	s_cbranch_execz .LBB94_15
; %bb.12:                               ;   in Loop: Header=BB94_11 Depth=1
	v_lshlrev_b64_e32 v[11:12], 2, v[1:2]
	v_mov_b32_e32 v3, 0
	v_mov_b32_e32 v4, 0
	s_mov_b32 s33, 0
	s_delay_alu instid0(VALU_DEP_3)
	v_add_co_u32 v9, vcc_lo, s16, v11
	s_wait_alu 0xfffd
	v_add_co_ci_u32_e64 v10, null, s17, v12, vcc_lo
	v_add_co_u32 v11, vcc_lo, s14, v11
	s_wait_alu 0xfffd
	v_add_co_ci_u32_e64 v12, null, s15, v12, vcc_lo
.LBB94_13:                              ;   Parent Loop BB94_11 Depth=1
                                        ; =>  This Inner Loop Header: Depth=2
	global_load_b32 v17, v[11:12], off
	global_load_b32 v19, v[9:10], off
	v_add_co_u32 v11, s11, 0x400, v11
	s_wait_alu 0xf1ff
	v_add_co_ci_u32_e64 v12, null, 0, v12, s11
	s_wait_loadcnt 0x1
	v_subrev_nc_u32_e32 v17, s34, v17
	s_wait_loadcnt 0x0
	v_cvt_f64_f32_e32 v[19:20], v19
	s_delay_alu instid0(VALU_DEP_2) | instskip(NEXT) | instid1(VALU_DEP_1)
	v_ashrrev_i32_e32 v18, 31, v17
	v_lshlrev_b64_e32 v[17:18], 3, v[17:18]
	s_delay_alu instid0(VALU_DEP_1) | instskip(SKIP_1) | instid1(VALU_DEP_2)
	v_add_co_u32 v17, vcc_lo, s18, v17
	s_wait_alu 0xfffd
	v_add_co_ci_u32_e64 v18, null, s19, v18, vcc_lo
	v_add_co_u32 v1, vcc_lo, 0x100, v1
	s_wait_alu 0xfffd
	v_add_co_ci_u32_e64 v2, null, 0, v2, vcc_lo
	global_load_b64 v[17:18], v[17:18], off
	v_add_co_u32 v9, vcc_lo, 0x400, v9
	s_wait_alu 0xfffd
	v_add_co_ci_u32_e64 v10, null, 0, v10, vcc_lo
	v_cmp_le_i64_e32 vcc_lo, s[46:47], v[1:2]
	s_or_b32 s33, vcc_lo, s33
	v_mul_f64_e32 v[19:20], v[7:8], v[19:20]
	s_wait_loadcnt 0x0
	s_delay_alu instid0(VALU_DEP_1)
	v_fma_f64 v[3:4], v[19:20], v[17:18], v[3:4]
	s_and_not1_b32 exec_lo, exec_lo, s33
	s_cbranch_execnz .LBB94_13
; %bb.14:                               ;   in Loop: Header=BB94_11 Depth=1
	s_or_b32 exec_lo, exec_lo, s33
.LBB94_15:                              ;   in Loop: Header=BB94_11 Depth=1
	s_delay_alu instid0(SALU_CYCLE_1)
	s_or_b32 exec_lo, exec_lo, s27
	ds_store_b64 v16, v[3:4]
	s_wait_dscnt 0x0
	s_barrier_signal -1
	s_barrier_wait -1
	global_inv scope:SCOPE_SE
	s_and_saveexec_b32 s11, s3
	s_cbranch_execz .LBB94_17
; %bb.16:                               ;   in Loop: Header=BB94_11 Depth=1
	ds_load_2addr_stride64_b64 v[1:4], v16 offset1:2
	s_wait_dscnt 0x0
	v_add_f64_e32 v[1:2], v[1:2], v[3:4]
	ds_store_b64 v16, v[1:2]
.LBB94_17:                              ;   in Loop: Header=BB94_11 Depth=1
	s_wait_alu 0xfffe
	s_or_b32 exec_lo, exec_lo, s11
	s_wait_loadcnt_dscnt 0x0
	s_barrier_signal -1
	s_barrier_wait -1
	global_inv scope:SCOPE_SE
	s_and_saveexec_b32 s11, s4
	s_cbranch_execz .LBB94_19
; %bb.18:                               ;   in Loop: Header=BB94_11 Depth=1
	ds_load_2addr_stride64_b64 v[1:4], v16 offset1:1
	s_wait_dscnt 0x0
	v_add_f64_e32 v[1:2], v[1:2], v[3:4]
	ds_store_b64 v16, v[1:2]
.LBB94_19:                              ;   in Loop: Header=BB94_11 Depth=1
	s_wait_alu 0xfffe
	s_or_b32 exec_lo, exec_lo, s11
	s_wait_loadcnt_dscnt 0x0
	s_barrier_signal -1
	s_barrier_wait -1
	global_inv scope:SCOPE_SE
	s_and_saveexec_b32 s11, s5
	s_cbranch_execz .LBB94_21
; %bb.20:                               ;   in Loop: Header=BB94_11 Depth=1
	ds_load_2addr_b64 v[1:4], v16 offset1:32
	s_wait_dscnt 0x0
	v_add_f64_e32 v[1:2], v[1:2], v[3:4]
	ds_store_b64 v16, v[1:2]
.LBB94_21:                              ;   in Loop: Header=BB94_11 Depth=1
	s_wait_alu 0xfffe
	s_or_b32 exec_lo, exec_lo, s11
	s_wait_loadcnt_dscnt 0x0
	s_barrier_signal -1
	s_barrier_wait -1
	global_inv scope:SCOPE_SE
	s_and_saveexec_b32 s11, s6
	s_cbranch_execz .LBB94_23
; %bb.22:                               ;   in Loop: Header=BB94_11 Depth=1
	ds_load_2addr_b64 v[1:4], v16 offset1:16
	s_wait_dscnt 0x0
	v_add_f64_e32 v[1:2], v[1:2], v[3:4]
	ds_store_b64 v16, v[1:2]
.LBB94_23:                              ;   in Loop: Header=BB94_11 Depth=1
	;; [unrolled: 14-line block ×5, first 2 shown]
	s_wait_alu 0xfffe
	s_or_b32 exec_lo, exec_lo, s11
	s_wait_loadcnt_dscnt 0x0
	s_barrier_signal -1
	s_barrier_wait -1
	global_inv scope:SCOPE_SE
	s_and_saveexec_b32 s11, s10
	s_cbranch_execz .LBB94_31
; %bb.30:                               ;   in Loop: Header=BB94_11 Depth=1
	ds_load_b128 v[1:4], v13
	s_wait_dscnt 0x0
	v_add_f64_e32 v[1:2], v[1:2], v[3:4]
	ds_store_b64 v13, v[1:2]
.LBB94_31:                              ;   in Loop: Header=BB94_11 Depth=1
	s_wait_alu 0xfffe
	s_or_b32 exec_lo, exec_lo, s11
	s_wait_loadcnt_dscnt 0x0
	s_barrier_signal -1
	s_barrier_wait -1
	global_inv scope:SCOPE_SE
	s_and_saveexec_b32 s11, s10
	s_cbranch_execz .LBB94_10
; %bb.32:                               ;   in Loop: Header=BB94_11 Depth=1
	ds_load_b64 v[1:2], v13
	s_add_nc_u64 s[44:45], s[24:25], s[44:45]
	s_and_saveexec_b32 s27, s2
	s_cbranch_execz .LBB94_9
; %bb.33:                               ;   in Loop: Header=BB94_11 Depth=1
	global_load_b64 v[3:4], v13, s[44:45]
	s_wait_loadcnt_dscnt 0x0
	v_fma_f64 v[1:2], v[5:6], v[3:4], v[1:2]
	s_branch .LBB94_9
.LBB94_34:
	s_mov_b32 s2, 0
.LBB94_35:
	s_wait_alu 0xfffe
	s_and_not1_b32 vcc_lo, exec_lo, s2
	s_wait_alu 0xfffe
	s_cbranch_vccnz .LBB94_71
; %bb.36:
	s_load_b64 s[6:7], s[0:1], 0x18
	v_mov_b32_e32 v3, 0
	v_mov_b32_e32 v1, 0
	;; [unrolled: 1-line block ×3, first 2 shown]
	v_or_b32_e32 v4, s26, v0
	s_sub_co_i32 s8, s38, s26
	s_mov_b32 s35, 0
	s_mov_b32 s2, exec_lo
	s_wait_kmcnt 0x0
	s_add_nc_u64 s[4:5], s[6:7], s[40:41]
	global_load_b32 v13, v3, s[4:5]
	v_cmpx_eq_u32_e32 0, v4
	s_cbranch_execz .LBB94_40
; %bb.37:
	s_add_nc_u64 s[10:11], s[24:25], s[36:37]
	s_mov_b32 s3, exec_lo
	global_load_b64 v[1:2], v3, s[10:11]
	v_add_f64_e32 v[3:4], -1.0, v[5:6]
	s_wait_alu 0xfffe
	v_mbcnt_lo_u32_b32 v9, s3, 0
	s_mov_b32 s10, exec_lo
	s_wait_loadcnt 0x0
	s_wait_storecnt 0x0
	global_inv scope:SCOPE_DEV
	v_cmpx_eq_u32_e32 0, v9
	s_cbranch_execz .LBB94_39
; %bb.38:
	s_bcnt1_i32_b32 s3, s3
	s_ashr_i32 s9, s8, 31
	s_wait_alu 0xfffe
	s_and_b32 s3, s3, 1
	s_wait_alu 0xfffe
	v_dual_mov_b32 v9, 0 :: v_dual_mov_b32 v10, s3
	s_lshl_b64 s[38:39], s[8:9], 2
	s_delay_alu instid0(SALU_CYCLE_1)
	s_add_nc_u64 s[38:39], s[6:7], s[38:39]
	global_atomic_xor_b32 v9, v10, s[38:39] scope:SCOPE_DEV
.LBB94_39:
	s_wait_alu 0xfffe
	s_or_b32 exec_lo, exec_lo, s10
	v_mul_f64_e32 v[1:2], v[3:4], v[1:2]
.LBB94_40:
	s_wait_alu 0xfffe
	s_or_b32 exec_lo, exec_lo, s2
	s_load_b64 s[2:3], s[28:29], 0x8
	s_ashr_i32 s27, s26, 31
	s_sub_nc_u64 s[38:39], s[30:31], s[34:35]
	s_wait_alu 0xfffe
	s_mul_u64 s[10:11], s[26:27], 0xc00
	s_wait_alu 0xfffe
	s_add_nc_u64 s[10:11], s[38:39], s[10:11]
	s_wait_alu 0xfffe
	v_add_co_u32 v3, s9, s10, v0
	s_delay_alu instid0(VALU_DEP_1)
	v_add_co_ci_u32_e64 v4, null, s11, 0, s9
	s_mov_b32 s9, exec_lo
	s_wait_kmcnt 0x0
	s_sub_nc_u64 s[2:3], s[2:3], s[34:35]
	s_wait_alu 0xfffe
	v_cmpx_gt_i64_e64 s[2:3], v[3:4]
	s_cbranch_execz .LBB94_44
; %bb.41:
	v_lshlrev_b64_e32 v[11:12], 2, v[3:4]
	s_add_nc_u64 s[10:11], s[10:11], 0xc00
	s_wait_alu 0xfffe
	v_cmp_lt_i64_e64 s27, s[10:11], s[2:3]
	s_delay_alu instid0(VALU_DEP_2)
	v_add_co_u32 v9, vcc_lo, s16, v11
	s_wait_alu 0xfffd
	v_add_co_ci_u32_e64 v10, null, s17, v12, vcc_lo
	v_add_co_u32 v11, vcc_lo, s14, v11
	s_wait_alu 0xfffd
	v_add_co_ci_u32_e64 v12, null, s15, v12, vcc_lo
	s_and_b32 s27, s27, exec_lo
	s_cselect_b32 s11, s11, s3
	s_cselect_b32 s10, s10, s2
	s_mov_b32 s3, 0
.LBB94_42:                              ; =>This Inner Loop Header: Depth=1
	global_load_b32 v14, v[11:12], off
	global_load_b32 v16, v[9:10], off
	v_add_co_u32 v11, s2, 0x400, v11
	s_wait_alu 0xf1ff
	v_add_co_ci_u32_e64 v12, null, 0, v12, s2
	s_wait_loadcnt 0x1
	v_subrev_nc_u32_e32 v14, s34, v14
	s_wait_loadcnt 0x0
	v_cvt_f64_f32_e32 v[16:17], v16
	s_delay_alu instid0(VALU_DEP_2) | instskip(NEXT) | instid1(VALU_DEP_1)
	v_ashrrev_i32_e32 v15, 31, v14
	v_lshlrev_b64_e32 v[14:15], 3, v[14:15]
	s_delay_alu instid0(VALU_DEP_1) | instskip(SKIP_1) | instid1(VALU_DEP_2)
	v_add_co_u32 v14, vcc_lo, s18, v14
	s_wait_alu 0xfffd
	v_add_co_ci_u32_e64 v15, null, s19, v15, vcc_lo
	v_add_co_u32 v3, vcc_lo, 0x100, v3
	s_wait_alu 0xfffd
	v_add_co_ci_u32_e64 v4, null, 0, v4, vcc_lo
	global_load_b64 v[14:15], v[14:15], off
	v_add_co_u32 v9, vcc_lo, 0x400, v9
	s_wait_alu 0xfffd
	v_add_co_ci_u32_e64 v10, null, 0, v10, vcc_lo
	s_wait_alu 0xfffe
	v_cmp_le_i64_e32 vcc_lo, s[10:11], v[3:4]
	s_or_b32 s3, vcc_lo, s3
	v_mul_f64_e32 v[16:17], v[7:8], v[16:17]
	s_wait_loadcnt 0x0
	s_delay_alu instid0(VALU_DEP_1)
	v_fma_f64 v[1:2], v[16:17], v[14:15], v[1:2]
	s_wait_alu 0xfffe
	s_and_not1_b32 exec_lo, exec_lo, s3
	s_cbranch_execnz .LBB94_42
; %bb.43:
	s_or_b32 exec_lo, exec_lo, s3
.LBB94_44:
	s_delay_alu instid0(SALU_CYCLE_1)
	s_or_b32 exec_lo, exec_lo, s9
	v_lshlrev_b32_e32 v3, 3, v0
	s_mov_b32 s2, exec_lo
	ds_store_b64 v3, v[1:2]
	s_wait_storecnt 0x0
	s_wait_loadcnt_dscnt 0x0
	s_barrier_signal -1
	s_barrier_wait -1
	global_inv scope:SCOPE_SE
	v_cmpx_gt_u32_e32 0x80, v0
	s_cbranch_execz .LBB94_46
; %bb.45:
	ds_load_2addr_stride64_b64 v[9:12], v3 offset1:2
	s_wait_dscnt 0x0
	v_add_f64_e32 v[1:2], v[9:10], v[11:12]
	ds_store_b64 v3, v[1:2]
.LBB94_46:
	s_wait_alu 0xfffe
	s_or_b32 exec_lo, exec_lo, s2
	s_delay_alu instid0(SALU_CYCLE_1)
	s_mov_b32 s2, exec_lo
	s_wait_loadcnt_dscnt 0x0
	s_barrier_signal -1
	s_barrier_wait -1
	global_inv scope:SCOPE_SE
	v_cmpx_gt_u32_e32 64, v0
	s_cbranch_execz .LBB94_48
; %bb.47:
	ds_load_2addr_stride64_b64 v[9:12], v3 offset1:1
	s_wait_dscnt 0x0
	v_add_f64_e32 v[1:2], v[9:10], v[11:12]
	ds_store_b64 v3, v[1:2]
.LBB94_48:
	s_wait_alu 0xfffe
	s_or_b32 exec_lo, exec_lo, s2
	s_delay_alu instid0(SALU_CYCLE_1)
	s_mov_b32 s2, exec_lo
	s_wait_loadcnt_dscnt 0x0
	s_barrier_signal -1
	s_barrier_wait -1
	global_inv scope:SCOPE_SE
	v_cmpx_gt_u32_e32 32, v0
	s_cbranch_execz .LBB94_50
; %bb.49:
	ds_load_2addr_b64 v[9:12], v3 offset1:32
	s_wait_dscnt 0x0
	v_add_f64_e32 v[1:2], v[9:10], v[11:12]
	ds_store_b64 v3, v[1:2]
.LBB94_50:
	s_wait_alu 0xfffe
	s_or_b32 exec_lo, exec_lo, s2
	s_delay_alu instid0(SALU_CYCLE_1)
	s_mov_b32 s2, exec_lo
	s_wait_loadcnt_dscnt 0x0
	s_barrier_signal -1
	s_barrier_wait -1
	global_inv scope:SCOPE_SE
	v_cmpx_gt_u32_e32 16, v0
	s_cbranch_execz .LBB94_52
; %bb.51:
	ds_load_2addr_b64 v[9:12], v3 offset1:16
	s_wait_dscnt 0x0
	v_add_f64_e32 v[1:2], v[9:10], v[11:12]
	ds_store_b64 v3, v[1:2]
.LBB94_52:
	;; [unrolled: 16-line block ×5, first 2 shown]
	s_wait_alu 0xfffe
	s_or_b32 exec_lo, exec_lo, s2
	v_cmp_eq_u32_e32 vcc_lo, 0, v0
	s_wait_loadcnt_dscnt 0x0
	s_barrier_signal -1
	s_barrier_wait -1
	global_inv scope:SCOPE_SE
	s_and_saveexec_b32 s2, vcc_lo
	s_cbranch_execz .LBB94_60
; %bb.59:
	v_mov_b32_e32 v9, 0
	ds_load_b128 v[1:4], v9
	s_wait_dscnt 0x0
	v_add_f64_e32 v[1:2], v[1:2], v[3:4]
	ds_store_b64 v9, v[1:2]
.LBB94_60:
	s_wait_alu 0xfffe
	s_or_b32 exec_lo, exec_lo, s2
	s_wait_loadcnt_dscnt 0x0
	s_barrier_signal -1
	s_barrier_wait -1
	global_inv scope:SCOPE_SE
	s_and_saveexec_b32 s10, vcc_lo
	s_cbranch_execz .LBB94_70
; %bb.61:
	s_cmp_eq_u32 s26, 0
	s_cbranch_scc1 .LBB94_67
; %bb.62:
	s_ashr_i32 s9, s8, 31
	v_mov_b32_e32 v1, 0
	s_wait_alu 0xfffe
	s_lshl_b64 s[2:3], s[8:9], 2
	s_wait_alu 0xfffe
	s_add_nc_u64 s[2:3], s[6:7], s[2:3]
	s_branch .LBB94_64
.LBB94_63:                              ;   in Loop: Header=BB94_64 Depth=1
	s_wait_alu 0xfffe
	s_or_b32 exec_lo, exec_lo, s6
	s_wait_loadcnt 0x0
	v_readfirstlane_b32 s6, v2
	s_wait_alu 0xf1ff
	s_delay_alu instid0(VALU_DEP_1)
	v_cmp_eq_u32_e32 vcc_lo, s6, v13
	s_cbranch_vccz .LBB94_66
.LBB94_64:                              ; =>This Inner Loop Header: Depth=1
	v_mbcnt_lo_u32_b32 v2, exec_lo, 0
	s_delay_alu instid0(VALU_DEP_1)
	v_cmp_eq_u32_e32 vcc_lo, 0, v2
                                        ; implicit-def: $vgpr2
	s_and_saveexec_b32 s6, vcc_lo
	s_cbranch_execz .LBB94_63
; %bb.65:                               ;   in Loop: Header=BB94_64 Depth=1
	global_load_b32 v2, v1, s[2:3] scope:SCOPE_DEV
	s_branch .LBB94_63
.LBB94_66:
	v_mov_b32_e32 v1, 0
	global_load_u16 v2, v1, s[4:5]
	s_wait_loadcnt 0x0
	v_xor_b32_e32 v2, 1, v2
	global_store_b16 v1, v2, s[4:5]
.LBB94_67:
	s_mov_b32 s4, exec_lo
	s_wait_alu 0xfffe
	v_mbcnt_lo_u32_b32 v1, s4, 0
	s_delay_alu instid0(VALU_DEP_1)
	v_cmp_eq_u32_e32 vcc_lo, 0, v1
	s_and_b32 s2, exec_lo, vcc_lo
	s_wait_alu 0xfffe
	s_mov_b32 exec_lo, s2
	s_cbranch_execz .LBB94_70
; %bb.68:
	v_mov_b32_e32 v11, 0
	s_add_nc_u64 s[2:3], s[24:25], s[36:37]
	s_bcnt1_i32_b32 s4, s4
	s_wait_alu 0xfffe
	v_cvt_f64_u32_e32 v[1:2], s4
	global_load_b64 v[3:4], v11, s[2:3]
	ds_load_b64 v[9:10], v11
	s_mov_b32 s4, 0
	s_wait_dscnt 0x0
	v_mul_f64_e32 v[9:10], v[9:10], v[1:2]
.LBB94_69:                              ; =>This Inner Loop Header: Depth=1
	s_wait_loadcnt 0x0
	s_delay_alu instid0(VALU_DEP_1)
	v_add_f64_e32 v[1:2], v[3:4], v[9:10]
	global_atomic_cmpswap_b64 v[1:2], v11, v[1:4], s[2:3] th:TH_ATOMIC_RETURN scope:SCOPE_DEV
	s_wait_loadcnt 0x0
	v_cmp_eq_u64_e32 vcc_lo, v[1:2], v[3:4]
	v_dual_mov_b32 v4, v2 :: v_dual_mov_b32 v3, v1
	s_wait_alu 0xfffe
	s_or_b32 s4, vcc_lo, s4
	s_wait_alu 0xfffe
	s_and_not1_b32 exec_lo, exec_lo, s4
	s_cbranch_execnz .LBB94_69
.LBB94_70:
	s_wait_alu 0xfffe
	s_or_b32 exec_lo, exec_lo, s10
.LBB94_71:
	s_mov_b32 s2, 0
.LBB94_72:
	s_wait_alu 0xfffe
	s_and_not1_b32 vcc_lo, exec_lo, s2
	s_wait_alu 0xfffe
	s_cbranch_vccnz .LBB94_116
; %bb.73:
	s_load_b64 s[0:1], s[0:1], 0x8
	v_sub_co_u32 v1, s2, v0, s34
	s_wait_alu 0xf1ff
	v_sub_co_ci_u32_e64 v2, null, 0, 0, s2
	s_mov_b32 s35, 0
	s_wait_kmcnt 0x0
	v_add_co_u32 v1, vcc_lo, s30, v1
	s_wait_alu 0xfffd
	v_add_co_ci_u32_e64 v2, null, s31, v2, vcc_lo
	s_delay_alu instid0(VALU_DEP_2) | instskip(SKIP_1) | instid1(VALU_DEP_2)
	v_add_co_u32 v3, vcc_lo, 0x300, v1
	s_wait_alu 0xfffd
	v_add_co_ci_u32_e64 v4, null, 0, v2, vcc_lo
	s_delay_alu instid0(VALU_DEP_1)
	v_cmp_le_i64_e32 vcc_lo, s[0:1], v[3:4]
	s_and_saveexec_b32 s0, vcc_lo
	s_wait_alu 0xfffe
	s_xor_b32 s1, exec_lo, s0
	s_cbranch_execz .LBB94_78
; %bb.74:
	s_lshl_b64 s[2:3], s[22:23], 3
	s_mov_b32 s4, exec_lo
	s_wait_alu 0xfffe
	s_add_nc_u64 s[2:3], s[12:13], s[2:3]
	s_load_b64 s[2:3], s[2:3], 0x0
	s_wait_kmcnt 0x0
	s_sub_nc_u64 s[2:3], s[2:3], s[34:35]
	s_wait_alu 0xfffe
	v_cmpx_gt_i64_e64 s[2:3], v[1:2]
	s_cbranch_execz .LBB94_77
; %bb.75:
	v_lshlrev_b64_e32 v[9:10], 2, v[1:2]
	v_lshlrev_b32_e32 v11, 3, v0
	s_mov_b32 s5, 0
	s_delay_alu instid0(VALU_DEP_2) | instskip(SKIP_1) | instid1(VALU_DEP_3)
	v_add_co_u32 v3, vcc_lo, s16, v9
	s_wait_alu 0xfffd
	v_add_co_ci_u32_e64 v4, null, s17, v10, vcc_lo
	v_add_co_u32 v9, vcc_lo, s14, v9
	s_wait_alu 0xfffd
	v_add_co_ci_u32_e64 v10, null, s15, v10, vcc_lo
.LBB94_76:                              ; =>This Inner Loop Header: Depth=1
	global_load_b32 v12, v[9:10], off
	global_load_b32 v14, v[3:4], off
	s_wait_loadcnt 0x1
	v_subrev_nc_u32_e32 v12, s34, v12
	s_wait_loadcnt 0x0
	v_cvt_f64_f32_e32 v[14:15], v14
	s_delay_alu instid0(VALU_DEP_2) | instskip(NEXT) | instid1(VALU_DEP_1)
	v_ashrrev_i32_e32 v13, 31, v12
	v_lshlrev_b64_e32 v[12:13], 3, v[12:13]
	s_delay_alu instid0(VALU_DEP_1) | instskip(SKIP_1) | instid1(VALU_DEP_2)
	v_add_co_u32 v12, vcc_lo, s18, v12
	s_wait_alu 0xfffd
	v_add_co_ci_u32_e64 v13, null, s19, v13, vcc_lo
	v_add_co_u32 v1, vcc_lo, 0x100, v1
	s_wait_alu 0xfffd
	v_add_co_ci_u32_e64 v2, null, 0, v2, vcc_lo
	global_load_b64 v[12:13], v[12:13], off
	v_add_co_u32 v3, vcc_lo, 0x400, v3
	v_cmp_le_i64_e64 s0, s[2:3], v[1:2]
	s_wait_alu 0xfffd
	v_add_co_ci_u32_e64 v4, null, 0, v4, vcc_lo
	v_add_co_u32 v9, vcc_lo, 0x400, v9
	s_wait_alu 0xfffd
	v_add_co_ci_u32_e64 v10, null, 0, v10, vcc_lo
	s_wait_alu 0xfffe
	s_or_b32 s5, s0, s5
	v_mul_f64_e32 v[14:15], v[7:8], v[14:15]
	s_wait_loadcnt 0x0
	s_delay_alu instid0(VALU_DEP_1)
	v_mul_f64_e32 v[12:13], v[14:15], v[12:13]
	ds_store_b64 v11, v[12:13]
	v_add_nc_u32_e32 v11, 0x800, v11
	s_wait_alu 0xfffe
	s_and_not1_b32 exec_lo, exec_lo, s5
	s_cbranch_execnz .LBB94_76
.LBB94_77:
	s_or_b32 exec_lo, exec_lo, s4
                                        ; implicit-def: $vgpr1_vgpr2
                                        ; implicit-def: $vgpr7_vgpr8
.LBB94_78:
	s_wait_alu 0xfffe
	s_or_saveexec_b32 s0, s1
	v_lshlrev_b32_e32 v11, 3, v0
	s_wait_alu 0xfffe
	s_xor_b32 exec_lo, exec_lo, s0
	s_cbranch_execz .LBB94_80
; %bb.79:
	v_lshlrev_b64_e32 v[1:2], 2, v[1:2]
	s_delay_alu instid0(VALU_DEP_1) | instskip(SKIP_1) | instid1(VALU_DEP_2)
	v_add_co_u32 v3, vcc_lo, s14, v1
	s_wait_alu 0xfffd
	v_add_co_ci_u32_e64 v4, null, s15, v2, vcc_lo
	v_add_co_u32 v1, vcc_lo, s16, v1
	s_wait_alu 0xfffd
	v_add_co_ci_u32_e64 v2, null, s17, v2, vcc_lo
	s_clause 0x3
	global_load_b32 v9, v[3:4], off
	global_load_b32 v10, v[3:4], off offset:1024
	global_load_b32 v12, v[3:4], off offset:2048
	;; [unrolled: 1-line block ×3, first 2 shown]
	s_clause 0x3
	global_load_b32 v14, v[1:2], off
	global_load_b32 v16, v[1:2], off offset:1024
	global_load_b32 v18, v[1:2], off offset:2048
	;; [unrolled: 1-line block ×3, first 2 shown]
	s_wait_loadcnt 0x7
	v_subrev_nc_u32_e32 v1, s34, v9
	s_wait_loadcnt 0x6
	v_subrev_nc_u32_e32 v3, s34, v10
	;; [unrolled: 2-line block ×4, first 2 shown]
	s_wait_loadcnt 0x3
	v_cvt_f64_f32_e32 v[14:15], v14
	v_ashrrev_i32_e32 v2, 31, v1
	v_ashrrev_i32_e32 v4, 31, v3
	;; [unrolled: 1-line block ×4, first 2 shown]
	s_wait_loadcnt 0x2
	v_cvt_f64_f32_e32 v[16:17], v16
	v_lshlrev_b64_e32 v[1:2], 3, v[1:2]
	v_lshlrev_b64_e32 v[3:4], 3, v[3:4]
	;; [unrolled: 1-line block ×4, first 2 shown]
	s_wait_loadcnt 0x1
	v_cvt_f64_f32_e32 v[18:19], v18
	s_wait_loadcnt 0x0
	v_cvt_f64_f32_e32 v[20:21], v20
	v_add_co_u32 v1, vcc_lo, s18, v1
	s_wait_alu 0xfffd
	v_add_co_ci_u32_e64 v2, null, s19, v2, vcc_lo
	v_add_co_u32 v3, vcc_lo, s18, v3
	s_wait_alu 0xfffd
	v_add_co_ci_u32_e64 v4, null, s19, v4, vcc_lo
	;; [unrolled: 3-line block ×4, first 2 shown]
	s_clause 0x3
	global_load_b64 v[1:2], v[1:2], off
	global_load_b64 v[3:4], v[3:4], off
	;; [unrolled: 1-line block ×4, first 2 shown]
	v_mul_f64_e32 v[14:15], v[7:8], v[14:15]
	v_mul_f64_e32 v[16:17], v[7:8], v[16:17]
	v_mul_f64_e32 v[18:19], v[7:8], v[18:19]
	v_mul_f64_e32 v[7:8], v[7:8], v[20:21]
	s_wait_loadcnt 0x3
	s_delay_alu instid0(VALU_DEP_4) | instskip(SKIP_1) | instid1(VALU_DEP_4)
	v_mul_f64_e32 v[1:2], v[14:15], v[1:2]
	s_wait_loadcnt 0x2
	v_mul_f64_e32 v[3:4], v[16:17], v[3:4]
	s_wait_loadcnt 0x1
	s_delay_alu instid0(VALU_DEP_4) | instskip(SKIP_1) | instid1(VALU_DEP_4)
	v_mul_f64_e32 v[9:10], v[18:19], v[9:10]
	s_wait_loadcnt 0x0
	v_mul_f64_e32 v[7:8], v[7:8], v[12:13]
	ds_store_2addr_stride64_b64 v11, v[1:2], v[3:4] offset1:4
	ds_store_2addr_stride64_b64 v11, v[9:10], v[7:8] offset0:8 offset1:12
.LBB94_80:
	s_or_b32 exec_lo, exec_lo, s0
	s_cmp_lt_i32 s26, 2
	s_mov_b32 s0, -1
	s_wait_storecnt 0x0
	s_wait_loadcnt_dscnt 0x0
	s_barrier_signal -1
	s_barrier_wait -1
	global_inv scope:SCOPE_SE
	s_cbranch_scc0 .LBB94_91
; %bb.81:
	v_add_co_u32 v7, s0, s20, v0
	s_wait_alu 0xf1fe
	v_add_co_ci_u32_e64 v8, null, s21, 0, s0
	s_mov_b32 s2, exec_lo
	v_cmpx_gt_i64_e64 s[22:23], v[7:8]
	s_cbranch_execz .LBB94_90
; %bb.82:
	s_lshl_b32 s0, s30, 3
	s_mov_b32 s3, 0
	s_wait_alu 0xfffe
	s_sub_co_i32 s4, 0, s0
	v_cmp_neq_f64_e32 vcc_lo, 0, v[5:6]
	s_branch .LBB94_84
.LBB94_83:                              ;   in Loop: Header=BB94_84 Depth=1
	s_wait_alu 0xfffe
	s_or_b32 exec_lo, exec_lo, s1
	v_add_co_u32 v7, s0, 0x100, v7
	s_wait_alu 0xf1ff
	v_add_co_ci_u32_e64 v8, null, 0, v8, s0
	v_add_co_u32 v9, s1, s24, v9
	s_wait_alu 0xf1ff
	v_add_co_ci_u32_e64 v10, null, s25, v10, s1
	s_delay_alu instid0(VALU_DEP_3)
	v_cmp_le_i64_e64 s0, s[22:23], v[7:8]
	global_store_b64 v[9:10], v[2:3], off
	s_or_b32 s3, s0, s3
	s_wait_alu 0xfffe
	s_and_not1_b32 exec_lo, exec_lo, s3
	s_cbranch_execz .LBB94_90
.LBB94_84:                              ; =>This Loop Header: Depth=1
                                        ;     Child Loop BB94_86 Depth 2
	v_lshlrev_b64_e32 v[9:10], 3, v[7:8]
	s_mov_b32 s1, exec_lo
	s_delay_alu instid0(VALU_DEP_1) | instskip(SKIP_1) | instid1(VALU_DEP_2)
	v_add_co_u32 v1, s0, s12, v9
	s_wait_alu 0xf1ff
	v_add_co_ci_u32_e64 v2, null, s13, v10, s0
	global_load_b128 v[1:4], v[1:2], off
	s_wait_loadcnt 0x0
	v_subrev_nc_u32_e32 v12, s30, v3
	v_mov_b32_e32 v2, 0
	v_subrev_nc_u32_e32 v4, s30, v1
	v_mov_b32_e32 v3, 0
	s_delay_alu instid0(VALU_DEP_2)
	v_cmpx_lt_i32_e64 v4, v12
	s_cbranch_execz .LBB94_88
; %bb.85:                               ;   in Loop: Header=BB94_84 Depth=1
	v_mov_b32_e32 v2, 0
	v_mov_b32_e32 v3, 0
	s_wait_alu 0xfffe
	v_lshl_add_u32 v1, v1, 3, s4
	s_mov_b32 s5, 0
.LBB94_86:                              ;   Parent Loop BB94_84 Depth=1
                                        ; =>  This Inner Loop Header: Depth=2
	ds_load_b64 v[13:14], v1
	v_add_nc_u32_e32 v4, 1, v4
	v_add_nc_u32_e32 v1, 8, v1
	s_delay_alu instid0(VALU_DEP_2)
	v_cmp_ge_i32_e64 s0, v4, v12
	s_wait_alu 0xfffe
	s_or_b32 s5, s0, s5
	s_wait_dscnt 0x0
	v_add_f64_e32 v[2:3], v[2:3], v[13:14]
	s_wait_alu 0xfffe
	s_and_not1_b32 exec_lo, exec_lo, s5
	s_cbranch_execnz .LBB94_86
; %bb.87:                               ;   in Loop: Header=BB94_84 Depth=1
	s_or_b32 exec_lo, exec_lo, s5
.LBB94_88:                              ;   in Loop: Header=BB94_84 Depth=1
	s_wait_alu 0xfffe
	s_or_b32 exec_lo, exec_lo, s1
	s_and_saveexec_b32 s1, vcc_lo
	s_cbranch_execz .LBB94_83
; %bb.89:                               ;   in Loop: Header=BB94_84 Depth=1
	v_add_co_u32 v12, s0, s24, v9
	s_wait_alu 0xf1ff
	v_add_co_ci_u32_e64 v13, null, s25, v10, s0
	global_load_b64 v[12:13], v[12:13], off
	s_wait_loadcnt 0x0
	v_fma_f64 v[2:3], v[5:6], v[12:13], v[2:3]
	s_branch .LBB94_83
.LBB94_90:
	s_wait_alu 0xfffe
	s_or_b32 exec_lo, exec_lo, s2
	s_mov_b32 s0, 0
.LBB94_91:
	s_wait_alu 0xfffe
	s_and_not1_b32 vcc_lo, exec_lo, s0
	s_wait_alu 0xfffe
	s_cbranch_vccnz .LBB94_116
; %bb.92:
	s_clz_i32_u32 s0, s26
	s_add_co_i32 s1, s26, -1
	s_wait_alu 0xfffe
	s_xor_b32 s0, s0, 31
	v_mov_b32_e32 v3, 0
	s_wait_alu 0xfffe
	v_lshrrev_b32_e32 v7, s0, v0
	v_mov_b32_e32 v4, 0
	v_and_b32_e32 v0, s1, v0
	s_mov_b32 s1, exec_lo
	s_delay_alu instid0(VALU_DEP_3) | instskip(SKIP_2) | instid1(VALU_DEP_1)
	v_add_co_u32 v1, s0, s20, v7
	s_wait_alu 0xf1ff
	v_add_co_ci_u32_e64 v2, null, s21, 0, s0
	v_cmp_le_i64_e32 vcc_lo, s[22:23], v[1:2]
	v_cmpx_gt_i64_e64 s[22:23], v[1:2]
	s_cbranch_execz .LBB94_98
; %bb.93:
	v_lshlrev_b32_e32 v3, 3, v7
	s_mov_b32 s2, exec_lo
	s_clause 0x1
	global_load_b32 v4, v3, s[28:29]
	global_load_b32 v3, v3, s[28:29] offset:8
	s_wait_loadcnt 0x1
	v_subrev_nc_u32_e32 v4, s30, v4
	s_wait_loadcnt 0x0
	v_subrev_nc_u32_e32 v7, s30, v3
	s_delay_alu instid0(VALU_DEP_2) | instskip(SKIP_1) | instid1(VALU_DEP_2)
	v_dual_mov_b32 v3, 0 :: v_dual_add_nc_u32 v8, v0, v4
	v_mov_b32_e32 v4, 0
	v_cmpx_lt_i32_e64 v8, v7
	s_cbranch_execz .LBB94_97
; %bb.94:
	v_mov_b32_e32 v3, 0
	v_dual_mov_b32 v4, 0 :: v_dual_lshlrev_b32 v9, 3, v8
	s_lshl_b32 s4, s26, 3
	s_mov_b32 s3, 0
.LBB94_95:                              ; =>This Inner Loop Header: Depth=1
	ds_load_b64 v[12:13], v9
	v_add_nc_u32_e32 v8, s26, v8
	s_wait_alu 0xfffe
	v_add_nc_u32_e32 v9, s4, v9
	s_delay_alu instid0(VALU_DEP_2)
	v_cmp_ge_i32_e64 s0, v8, v7
	s_or_b32 s3, s0, s3
	s_wait_dscnt 0x0
	v_add_f64_e32 v[3:4], v[3:4], v[12:13]
	s_wait_alu 0xfffe
	s_and_not1_b32 exec_lo, exec_lo, s3
	s_cbranch_execnz .LBB94_95
; %bb.96:
	s_or_b32 exec_lo, exec_lo, s3
.LBB94_97:
	s_wait_alu 0xfffe
	s_or_b32 exec_lo, exec_lo, s2
.LBB94_98:
	s_wait_alu 0xfffe
	s_or_b32 exec_lo, exec_lo, s1
	s_cmp_lt_u32 s26, 0x81
	s_wait_loadcnt 0x0
	s_wait_storecnt 0x0
	s_barrier_signal -1
	s_barrier_wait -1
	global_inv scope:SCOPE_SE
	ds_store_b64 v11, v[3:4]
	s_wait_loadcnt_dscnt 0x0
	s_barrier_signal -1
	s_barrier_wait -1
	global_inv scope:SCOPE_SE
	s_cbranch_scc1 .LBB94_100
; %bb.99:
	ds_load_b64 v[7:8], v11 offset:1024
	s_wait_loadcnt_dscnt 0x0
	s_barrier_signal -1
	s_barrier_wait -1
	global_inv scope:SCOPE_SE
	v_add_f64_e32 v[3:4], v[3:4], v[7:8]
	ds_store_b64 v11, v[3:4]
.LBB94_100:
	s_cmp_lt_u32 s26, 0x41
	s_wait_loadcnt_dscnt 0x0
	s_barrier_signal -1
	s_barrier_wait -1
	global_inv scope:SCOPE_SE
	s_cbranch_scc1 .LBB94_102
; %bb.101:
	ds_load_b64 v[7:8], v11 offset:512
	s_wait_loadcnt_dscnt 0x0
	s_barrier_signal -1
	s_barrier_wait -1
	global_inv scope:SCOPE_SE
	v_add_f64_e32 v[3:4], v[3:4], v[7:8]
	ds_store_b64 v11, v[3:4]
.LBB94_102:
	s_cmp_lt_u32 s26, 33
	;; [unrolled: 15-line block ×5, first 2 shown]
	s_wait_loadcnt_dscnt 0x0
	s_barrier_signal -1
	s_barrier_wait -1
	global_inv scope:SCOPE_SE
	s_cbranch_scc1 .LBB94_110
; %bb.109:
	ds_load_b64 v[7:8], v11 offset:32
	s_wait_loadcnt_dscnt 0x0
	s_barrier_signal -1
	s_barrier_wait -1
	global_inv scope:SCOPE_SE
	v_add_f64_e32 v[3:4], v[3:4], v[7:8]
	ds_store_b64 v11, v[3:4]
.LBB94_110:
	s_cmp_eq_u32 s26, 2
	s_wait_loadcnt_dscnt 0x0
	s_barrier_signal -1
	s_barrier_wait -1
	global_inv scope:SCOPE_SE
	s_cbranch_scc1 .LBB94_112
; %bb.111:
	ds_load_b64 v[7:8], v11 offset:16
	s_wait_loadcnt_dscnt 0x0
	s_barrier_signal -1
	s_barrier_wait -1
	global_inv scope:SCOPE_SE
	v_add_f64_e32 v[3:4], v[3:4], v[7:8]
	ds_store_b64 v11, v[3:4]
.LBB94_112:
	s_wait_loadcnt_dscnt 0x0
	s_barrier_signal -1
	s_barrier_wait -1
	global_inv scope:SCOPE_SE
	ds_load_b64 v[7:8], v11 offset:8
	v_cmp_eq_u32_e64 s0, 0, v0
	s_xor_b32 s1, vcc_lo, -1
	s_wait_loadcnt_dscnt 0x0
	s_barrier_signal -1
	s_barrier_wait -1
	s_wait_alu 0xfffe
	s_and_b32 s0, s0, s1
	global_inv scope:SCOPE_SE
	v_add_f64_e32 v[3:4], v[3:4], v[7:8]
	ds_store_b64 v11, v[3:4]
	s_wait_alu 0xfffe
	s_and_b32 exec_lo, exec_lo, s0
	s_cbranch_execz .LBB94_116
; %bb.113:
	v_lshlrev_b64_e32 v[0:1], 3, v[1:2]
	s_mov_b32 s0, exec_lo
	v_cmpx_neq_f64_e32 0, v[5:6]
	s_cbranch_execz .LBB94_115
; %bb.114:
	s_delay_alu instid0(VALU_DEP_2)
	v_add_co_u32 v7, vcc_lo, s24, v0
	s_wait_alu 0xfffd
	v_add_co_ci_u32_e64 v8, null, s25, v1, vcc_lo
	global_load_b64 v[7:8], v[7:8], off
	s_wait_loadcnt 0x0
	v_fma_f64 v[3:4], v[5:6], v[7:8], v[3:4]
.LBB94_115:
	s_wait_alu 0xfffe
	s_or_b32 exec_lo, exec_lo, s0
	v_add_co_u32 v0, vcc_lo, s24, v0
	s_wait_alu 0xfffd
	v_add_co_ci_u32_e64 v1, null, s25, v1, vcc_lo
	global_store_b64 v[0:1], v[3:4], off
.LBB94_116:
	s_endpgm
	.section	.rodata,"a",@progbits
	.p2align	6, 0x0
	.amdhsa_kernel _ZN9rocsparseL22csrmvn_adaptive_kernelIlifdddEEvbT_PKS1_PjPKT0_NS_24const_host_device_scalarIT4_EES3_S7_PKT1_PKT2_SA_PT3_21rocsparse_index_base_b
		.amdhsa_group_segment_fixed_size 8192
		.amdhsa_private_segment_fixed_size 0
		.amdhsa_kernarg_size 104
		.amdhsa_user_sgpr_count 2
		.amdhsa_user_sgpr_dispatch_ptr 0
		.amdhsa_user_sgpr_queue_ptr 0
		.amdhsa_user_sgpr_kernarg_segment_ptr 1
		.amdhsa_user_sgpr_dispatch_id 0
		.amdhsa_user_sgpr_private_segment_size 0
		.amdhsa_wavefront_size32 1
		.amdhsa_uses_dynamic_stack 0
		.amdhsa_enable_private_segment 0
		.amdhsa_system_sgpr_workgroup_id_x 1
		.amdhsa_system_sgpr_workgroup_id_y 0
		.amdhsa_system_sgpr_workgroup_id_z 0
		.amdhsa_system_sgpr_workgroup_info 0
		.amdhsa_system_vgpr_workitem_id 0
		.amdhsa_next_free_vgpr 22
		.amdhsa_next_free_sgpr 52
		.amdhsa_reserve_vcc 1
		.amdhsa_float_round_mode_32 0
		.amdhsa_float_round_mode_16_64 0
		.amdhsa_float_denorm_mode_32 3
		.amdhsa_float_denorm_mode_16_64 3
		.amdhsa_fp16_overflow 0
		.amdhsa_workgroup_processor_mode 1
		.amdhsa_memory_ordered 1
		.amdhsa_forward_progress 1
		.amdhsa_inst_pref_size 43
		.amdhsa_round_robin_scheduling 0
		.amdhsa_exception_fp_ieee_invalid_op 0
		.amdhsa_exception_fp_denorm_src 0
		.amdhsa_exception_fp_ieee_div_zero 0
		.amdhsa_exception_fp_ieee_overflow 0
		.amdhsa_exception_fp_ieee_underflow 0
		.amdhsa_exception_fp_ieee_inexact 0
		.amdhsa_exception_int_div_zero 0
	.end_amdhsa_kernel
	.section	.text._ZN9rocsparseL22csrmvn_adaptive_kernelIlifdddEEvbT_PKS1_PjPKT0_NS_24const_host_device_scalarIT4_EES3_S7_PKT1_PKT2_SA_PT3_21rocsparse_index_base_b,"axG",@progbits,_ZN9rocsparseL22csrmvn_adaptive_kernelIlifdddEEvbT_PKS1_PjPKT0_NS_24const_host_device_scalarIT4_EES3_S7_PKT1_PKT2_SA_PT3_21rocsparse_index_base_b,comdat
.Lfunc_end94:
	.size	_ZN9rocsparseL22csrmvn_adaptive_kernelIlifdddEEvbT_PKS1_PjPKT0_NS_24const_host_device_scalarIT4_EES3_S7_PKT1_PKT2_SA_PT3_21rocsparse_index_base_b, .Lfunc_end94-_ZN9rocsparseL22csrmvn_adaptive_kernelIlifdddEEvbT_PKS1_PjPKT0_NS_24const_host_device_scalarIT4_EES3_S7_PKT1_PKT2_SA_PT3_21rocsparse_index_base_b
                                        ; -- End function
	.set _ZN9rocsparseL22csrmvn_adaptive_kernelIlifdddEEvbT_PKS1_PjPKT0_NS_24const_host_device_scalarIT4_EES3_S7_PKT1_PKT2_SA_PT3_21rocsparse_index_base_b.num_vgpr, 22
	.set _ZN9rocsparseL22csrmvn_adaptive_kernelIlifdddEEvbT_PKS1_PjPKT0_NS_24const_host_device_scalarIT4_EES3_S7_PKT1_PKT2_SA_PT3_21rocsparse_index_base_b.num_agpr, 0
	.set _ZN9rocsparseL22csrmvn_adaptive_kernelIlifdddEEvbT_PKS1_PjPKT0_NS_24const_host_device_scalarIT4_EES3_S7_PKT1_PKT2_SA_PT3_21rocsparse_index_base_b.numbered_sgpr, 52
	.set _ZN9rocsparseL22csrmvn_adaptive_kernelIlifdddEEvbT_PKS1_PjPKT0_NS_24const_host_device_scalarIT4_EES3_S7_PKT1_PKT2_SA_PT3_21rocsparse_index_base_b.num_named_barrier, 0
	.set _ZN9rocsparseL22csrmvn_adaptive_kernelIlifdddEEvbT_PKS1_PjPKT0_NS_24const_host_device_scalarIT4_EES3_S7_PKT1_PKT2_SA_PT3_21rocsparse_index_base_b.private_seg_size, 0
	.set _ZN9rocsparseL22csrmvn_adaptive_kernelIlifdddEEvbT_PKS1_PjPKT0_NS_24const_host_device_scalarIT4_EES3_S7_PKT1_PKT2_SA_PT3_21rocsparse_index_base_b.uses_vcc, 1
	.set _ZN9rocsparseL22csrmvn_adaptive_kernelIlifdddEEvbT_PKS1_PjPKT0_NS_24const_host_device_scalarIT4_EES3_S7_PKT1_PKT2_SA_PT3_21rocsparse_index_base_b.uses_flat_scratch, 0
	.set _ZN9rocsparseL22csrmvn_adaptive_kernelIlifdddEEvbT_PKS1_PjPKT0_NS_24const_host_device_scalarIT4_EES3_S7_PKT1_PKT2_SA_PT3_21rocsparse_index_base_b.has_dyn_sized_stack, 0
	.set _ZN9rocsparseL22csrmvn_adaptive_kernelIlifdddEEvbT_PKS1_PjPKT0_NS_24const_host_device_scalarIT4_EES3_S7_PKT1_PKT2_SA_PT3_21rocsparse_index_base_b.has_recursion, 0
	.set _ZN9rocsparseL22csrmvn_adaptive_kernelIlifdddEEvbT_PKS1_PjPKT0_NS_24const_host_device_scalarIT4_EES3_S7_PKT1_PKT2_SA_PT3_21rocsparse_index_base_b.has_indirect_call, 0
	.section	.AMDGPU.csdata,"",@progbits
; Kernel info:
; codeLenInByte = 5428
; TotalNumSgprs: 54
; NumVgprs: 22
; ScratchSize: 0
; MemoryBound: 0
; FloatMode: 240
; IeeeMode: 1
; LDSByteSize: 8192 bytes/workgroup (compile time only)
; SGPRBlocks: 0
; VGPRBlocks: 2
; NumSGPRsForWavesPerEU: 54
; NumVGPRsForWavesPerEU: 22
; Occupancy: 16
; WaveLimiterHint : 1
; COMPUTE_PGM_RSRC2:SCRATCH_EN: 0
; COMPUTE_PGM_RSRC2:USER_SGPR: 2
; COMPUTE_PGM_RSRC2:TRAP_HANDLER: 0
; COMPUTE_PGM_RSRC2:TGID_X_EN: 1
; COMPUTE_PGM_RSRC2:TGID_Y_EN: 0
; COMPUTE_PGM_RSRC2:TGID_Z_EN: 0
; COMPUTE_PGM_RSRC2:TIDIG_COMP_CNT: 0
	.section	.text._ZN9rocsparseL27csrmvn_symm_adaptive_kernelIlifdddEEvbT_S1_PKS1_NS_24const_host_device_scalarIT4_EES3_PKT0_PKT1_PKT2_S6_PT3_21rocsparse_index_base_b,"axG",@progbits,_ZN9rocsparseL27csrmvn_symm_adaptive_kernelIlifdddEEvbT_S1_PKS1_NS_24const_host_device_scalarIT4_EES3_PKT0_PKT1_PKT2_S6_PT3_21rocsparse_index_base_b,comdat
	.globl	_ZN9rocsparseL27csrmvn_symm_adaptive_kernelIlifdddEEvbT_S1_PKS1_NS_24const_host_device_scalarIT4_EES3_PKT0_PKT1_PKT2_S6_PT3_21rocsparse_index_base_b ; -- Begin function _ZN9rocsparseL27csrmvn_symm_adaptive_kernelIlifdddEEvbT_S1_PKS1_NS_24const_host_device_scalarIT4_EES3_PKT0_PKT1_PKT2_S6_PT3_21rocsparse_index_base_b
	.p2align	8
	.type	_ZN9rocsparseL27csrmvn_symm_adaptive_kernelIlifdddEEvbT_S1_PKS1_NS_24const_host_device_scalarIT4_EES3_PKT0_PKT1_PKT2_S6_PT3_21rocsparse_index_base_b,@function
_ZN9rocsparseL27csrmvn_symm_adaptive_kernelIlifdddEEvbT_S1_PKS1_NS_24const_host_device_scalarIT4_EES3_PKT0_PKT1_PKT2_S6_PT3_21rocsparse_index_base_b: ; @_ZN9rocsparseL27csrmvn_symm_adaptive_kernelIlifdddEEvbT_S1_PKS1_NS_24const_host_device_scalarIT4_EES3_PKT0_PKT1_PKT2_S6_PT3_21rocsparse_index_base_b
; %bb.0:
	s_clause 0x2
	s_load_b64 s[24:25], s[0:1], 0x58
	s_load_b64 s[4:5], s[0:1], 0x20
	;; [unrolled: 1-line block ×3, first 2 shown]
	s_wait_kmcnt 0x0
	s_bitcmp1_b32 s25, 0
	v_dual_mov_b32 v11, s5 :: v_dual_mov_b32 v10, s4
	s_cselect_b32 s6, -1, 0
	s_delay_alu instid0(SALU_CYCLE_1)
	s_and_b32 vcc_lo, exec_lo, s6
	s_xor_b32 s6, s6, -1
	s_cbranch_vccnz .LBB95_2
; %bb.1:
	v_dual_mov_b32 v1, s4 :: v_dual_mov_b32 v2, s5
	flat_load_b64 v[10:11], v[1:2]
.LBB95_2:
	v_dual_mov_b32 v1, s2 :: v_dual_mov_b32 v2, s3
	s_and_not1_b32 vcc_lo, exec_lo, s6
	s_cbranch_vccnz .LBB95_4
; %bb.3:
	v_dual_mov_b32 v1, s2 :: v_dual_mov_b32 v2, s3
	flat_load_b64 v[1:2], v[1:2]
.LBB95_4:
	s_wait_loadcnt_dscnt 0x0
	v_cmp_neq_f64_e32 vcc_lo, 0, v[10:11]
	v_cmp_neq_f64_e64 s2, 1.0, v[1:2]
	s_or_b32 s2, vcc_lo, s2
	s_wait_alu 0xfffe
	s_and_saveexec_b32 s3, s2
	s_cbranch_execz .LBB95_167
; %bb.5:
	s_load_b64 s[4:5], s[0:1], 0x18
	s_mov_b32 s25, 0
	s_mov_b32 s2, ttmp9
	s_mov_b32 s6, s25
	s_mov_b32 s7, s25
	v_dual_mov_b32 v1, s6 :: v_dual_lshlrev_b32 v18, 3, v0
	s_ashr_i32 s3, ttmp9, 31
	v_mov_b32_e32 v2, s7
	s_wait_alu 0xfffe
	s_lshl_b64 s[2:3], s[2:3], 3
	ds_store_2addr_stride64_b64 v18, v[1:2], v[1:2] offset1:4
	ds_store_2addr_stride64_b64 v18, v[1:2], v[1:2] offset0:8 offset1:12
	s_wait_dscnt 0x0
	s_barrier_signal -1
	s_barrier_wait -1
	global_inv scope:SCOPE_SE
	s_wait_kmcnt 0x0
	s_wait_alu 0xfffe
	s_add_nc_u64 s[2:3], s[4:5], s[2:3]
	s_load_b128 s[16:19], s[2:3], 0x0
	s_clause 0x1
	s_load_b256 s[8:15], s[0:1], 0x28
	s_load_b64 s[20:21], s[0:1], 0x50
	s_wait_kmcnt 0x0
	s_sub_nc_u64 s[22:23], s[18:19], s[16:17]
	s_delay_alu instid0(SALU_CYCLE_1)
	v_cmp_gt_i64_e64 s2, s[22:23], 2
	s_and_b32 vcc_lo, exec_lo, s2
	s_mov_b32 s2, -1
	s_cbranch_vccnz .LBB95_41
; %bb.6:
	v_cmp_le_i64_e64 s2, s[18:19], s[16:17]
	v_sub_co_u32 v9, s3, v0, s24
	v_mov_b32_e32 v13, 0
	s_wait_alu 0xf1ff
	v_sub_co_ci_u32_e64 v12, null, 0, 0, s3
	s_wait_alu 0xfffe
	s_and_b32 vcc_lo, exec_lo, s2
	s_cbranch_vccnz .LBB95_30
; %bb.7:
	v_cmp_gt_u32_e64 s2, 0x100, v0
	v_cmp_gt_u32_e64 s3, 64, v0
	;; [unrolled: 1-line block ×4, first 2 shown]
	v_cmp_eq_u32_e64 s6, 0, v0
	s_mov_b64 s[26:27], s[16:17]
	s_branch .LBB95_9
.LBB95_8:                               ;   in Loop: Header=BB95_9 Depth=1
	s_wait_alu 0xfffe
	s_or_b32 exec_lo, exec_lo, s7
	s_add_nc_u64 s[26:27], s[26:27], 1
	s_wait_alu 0xfffe
	v_cmp_ge_i64_e64 s7, s[26:27], s[18:19]
	s_and_b32 vcc_lo, exec_lo, s7
	s_wait_alu 0xfffe
	s_cbranch_vccnz .LBB95_30
.LBB95_9:                               ; =>This Loop Header: Depth=1
                                        ;     Child Loop BB95_11 Depth 2
                                        ;     Child Loop BB95_25 Depth 2
	;; [unrolled: 1-line block ×3, first 2 shown]
	s_lshl_b64 s[28:29], s[26:27], 3
	v_mov_b32_e32 v3, 0
	s_add_nc_u64 s[30:31], s[8:9], s[28:29]
	v_mov_b32_e32 v4, 0
	s_load_b128 s[36:39], s[30:31], 0x0
	s_mov_b32 s33, exec_lo
	s_wait_kmcnt 0x0
	v_add_co_u32 v1, vcc_lo, s36, v9
	s_wait_alu 0xfffd
	v_add_co_ci_u32_e64 v2, null, s37, v12, vcc_lo
	s_sub_nc_u64 s[30:31], s[38:39], s[24:25]
	s_wait_alu 0xfffe
	v_cmpx_gt_i64_e64 s[30:31], v[1:2]
	s_cbranch_execz .LBB95_13
; %bb.10:                               ;   in Loop: Header=BB95_9 Depth=1
	v_lshlrev_b64_e32 v[7:8], 2, v[1:2]
	v_mov_b32_e32 v3, 0
	v_mov_b32_e32 v4, 0
	s_mov_b32 s34, 0
	s_delay_alu instid0(VALU_DEP_3)
	v_add_co_u32 v5, vcc_lo, s10, v7
	s_wait_alu 0xfffd
	v_add_co_ci_u32_e64 v6, null, s11, v8, vcc_lo
	v_add_co_u32 v7, vcc_lo, s12, v7
	s_wait_alu 0xfffd
	v_add_co_ci_u32_e64 v8, null, s13, v8, vcc_lo
.LBB95_11:                              ;   Parent Loop BB95_9 Depth=1
                                        ; =>  This Inner Loop Header: Depth=2
	global_load_b32 v14, v[5:6], off
	global_load_b32 v16, v[7:8], off
	v_add_co_u32 v7, s7, 0x400, v7
	s_wait_alu 0xf1ff
	v_add_co_ci_u32_e64 v8, null, 0, v8, s7
	s_wait_loadcnt 0x1
	v_subrev_nc_u32_e32 v14, s24, v14
	s_wait_loadcnt 0x0
	v_cvt_f64_f32_e32 v[16:17], v16
	s_delay_alu instid0(VALU_DEP_2) | instskip(NEXT) | instid1(VALU_DEP_1)
	v_ashrrev_i32_e32 v15, 31, v14
	v_lshlrev_b64_e32 v[14:15], 3, v[14:15]
	s_delay_alu instid0(VALU_DEP_1) | instskip(SKIP_1) | instid1(VALU_DEP_2)
	v_add_co_u32 v14, vcc_lo, s14, v14
	s_wait_alu 0xfffd
	v_add_co_ci_u32_e64 v15, null, s15, v15, vcc_lo
	v_add_co_u32 v1, vcc_lo, 0x100, v1
	s_wait_alu 0xfffd
	v_add_co_ci_u32_e64 v2, null, 0, v2, vcc_lo
	global_load_b64 v[14:15], v[14:15], off
	v_add_co_u32 v5, vcc_lo, 0x400, v5
	s_wait_alu 0xfffd
	v_add_co_ci_u32_e64 v6, null, 0, v6, vcc_lo
	v_cmp_le_i64_e32 vcc_lo, s[30:31], v[1:2]
	s_wait_alu 0xfffe
	s_or_b32 s34, vcc_lo, s34
	s_wait_loadcnt 0x0
	v_fma_f64 v[3:4], v[16:17], v[14:15], v[3:4]
	s_wait_alu 0xfffe
	s_and_not1_b32 exec_lo, exec_lo, s34
	s_cbranch_execnz .LBB95_11
; %bb.12:                               ;   in Loop: Header=BB95_9 Depth=1
	s_or_b32 exec_lo, exec_lo, s34
.LBB95_13:                              ;   in Loop: Header=BB95_9 Depth=1
	s_delay_alu instid0(SALU_CYCLE_1)
	s_or_b32 exec_lo, exec_lo, s33
	ds_store_b64 v18, v[3:4]
	s_wait_loadcnt_dscnt 0x0
	s_barrier_signal -1
	s_barrier_wait -1
	global_inv scope:SCOPE_SE
	s_and_saveexec_b32 s7, s2
	s_cbranch_execz .LBB95_15
; %bb.14:                               ;   in Loop: Header=BB95_9 Depth=1
	ds_load_2addr_stride64_b64 v[1:4], v18 offset1:4
	ds_load_2addr_stride64_b64 v[5:8], v18 offset0:8 offset1:12
	s_wait_dscnt 0x0
	v_add_f64_e32 v[3:4], v[3:4], v[5:6]
	s_delay_alu instid0(VALU_DEP_1) | instskip(NEXT) | instid1(VALU_DEP_1)
	v_add_f64_e32 v[3:4], v[3:4], v[7:8]
	v_add_f64_e32 v[1:2], v[1:2], v[3:4]
	ds_store_b64 v18, v[1:2]
.LBB95_15:                              ;   in Loop: Header=BB95_9 Depth=1
	s_wait_alu 0xfffe
	s_or_b32 exec_lo, exec_lo, s7
	s_wait_loadcnt_dscnt 0x0
	s_barrier_signal -1
	s_barrier_wait -1
	global_inv scope:SCOPE_SE
	s_and_saveexec_b32 s7, s3
	s_cbranch_execz .LBB95_17
; %bb.16:                               ;   in Loop: Header=BB95_9 Depth=1
	ds_load_2addr_stride64_b64 v[1:4], v18 offset1:1
	ds_load_2addr_stride64_b64 v[5:8], v18 offset0:2 offset1:3
	s_wait_dscnt 0x0
	v_add_f64_e32 v[3:4], v[3:4], v[5:6]
	s_delay_alu instid0(VALU_DEP_1) | instskip(NEXT) | instid1(VALU_DEP_1)
	v_add_f64_e32 v[3:4], v[3:4], v[7:8]
	v_add_f64_e32 v[1:2], v[1:2], v[3:4]
	ds_store_b64 v18, v[1:2]
.LBB95_17:                              ;   in Loop: Header=BB95_9 Depth=1
	s_wait_alu 0xfffe
	s_or_b32 exec_lo, exec_lo, s7
	s_wait_loadcnt_dscnt 0x0
	s_barrier_signal -1
	s_barrier_wait -1
	global_inv scope:SCOPE_SE
	s_and_saveexec_b32 s7, s4
	s_cbranch_execz .LBB95_19
; %bb.18:                               ;   in Loop: Header=BB95_9 Depth=1
	ds_load_2addr_b64 v[1:4], v18 offset1:16
	ds_load_2addr_b64 v[5:8], v18 offset0:32 offset1:48
	s_wait_dscnt 0x0
	v_add_f64_e32 v[3:4], v[3:4], v[5:6]
	s_delay_alu instid0(VALU_DEP_1) | instskip(NEXT) | instid1(VALU_DEP_1)
	v_add_f64_e32 v[3:4], v[3:4], v[7:8]
	v_add_f64_e32 v[1:2], v[1:2], v[3:4]
	ds_store_b64 v18, v[1:2]
.LBB95_19:                              ;   in Loop: Header=BB95_9 Depth=1
	s_wait_alu 0xfffe
	s_or_b32 exec_lo, exec_lo, s7
	s_wait_loadcnt_dscnt 0x0
	s_barrier_signal -1
	s_barrier_wait -1
	global_inv scope:SCOPE_SE
	s_and_saveexec_b32 s7, s5
	s_cbranch_execz .LBB95_21
; %bb.20:                               ;   in Loop: Header=BB95_9 Depth=1
	ds_load_2addr_b64 v[1:4], v18 offset1:4
	ds_load_2addr_b64 v[5:8], v18 offset0:8 offset1:12
	s_wait_dscnt 0x0
	v_add_f64_e32 v[3:4], v[3:4], v[5:6]
	s_delay_alu instid0(VALU_DEP_1) | instskip(NEXT) | instid1(VALU_DEP_1)
	v_add_f64_e32 v[3:4], v[3:4], v[7:8]
	v_add_f64_e32 v[1:2], v[1:2], v[3:4]
	ds_store_b64 v18, v[1:2]
.LBB95_21:                              ;   in Loop: Header=BB95_9 Depth=1
	s_wait_alu 0xfffe
	s_or_b32 exec_lo, exec_lo, s7
	s_wait_loadcnt_dscnt 0x0
	s_barrier_signal -1
	s_barrier_wait -1
	global_inv scope:SCOPE_SE
	s_and_saveexec_b32 s7, s6
	s_cbranch_execz .LBB95_23
; %bb.22:                               ;   in Loop: Header=BB95_9 Depth=1
	ds_load_2addr_b64 v[1:4], v13 offset0:1 offset1:2
	ds_load_b64 v[5:6], v18
	s_wait_dscnt 0x1
	v_add_f64_e32 v[1:2], v[1:2], v[3:4]
	ds_load_b64 v[3:4], v13 offset:24
	s_wait_dscnt 0x0
	v_add_f64_e32 v[1:2], v[1:2], v[3:4]
	s_delay_alu instid0(VALU_DEP_1)
	v_add_f64_e32 v[1:2], v[5:6], v[1:2]
	ds_store_b64 v18, v[1:2]
.LBB95_23:                              ;   in Loop: Header=BB95_9 Depth=1
	s_wait_alu 0xfffe
	s_or_b32 exec_lo, exec_lo, s7
	s_wait_loadcnt_dscnt 0x0
	s_barrier_signal -1
	s_barrier_wait -1
	global_inv scope:SCOPE_SE
	s_and_saveexec_b32 s7, s6
	s_cbranch_execz .LBB95_8
; %bb.24:                               ;   in Loop: Header=BB95_9 Depth=1
	ds_load_b64 v[1:2], v13
	v_mov_b32_e32 v5, 0
	v_bfrev_b32_e32 v6, 1
	s_mov_b32 s30, exec_lo
	s_wait_dscnt 0x0
	v_mul_f64_e32 v[1:2], v[10:11], v[1:2]
.LBB95_25:                              ;   Parent Loop BB95_9 Depth=1
                                        ; =>  This Inner Loop Header: Depth=2
	s_wait_alu 0xfffe
	s_ctz_i32_b32 s31, s30
	s_wait_alu 0xfffe
	s_delay_alu instid0(VALU_DEP_1) | instskip(NEXT) | instid1(VALU_DEP_2)
	v_readlane_b32 s35, v2, s31
	v_readlane_b32 s34, v1, s31
	s_lshl_b32 s31, 1, s31
	s_wait_alu 0xfffe
	s_and_not1_b32 s30, s30, s31
	v_add_f64_e32 v[5:6], s[34:35], v[5:6]
	s_wait_alu 0xfffe
	s_cmp_lg_u32 s30, 0
	s_cbranch_scc1 .LBB95_25
; %bb.26:                               ;   in Loop: Header=BB95_9 Depth=1
	v_mbcnt_lo_u32_b32 v1, exec_lo, 0
	s_mov_b32 s30, exec_lo
	s_delay_alu instid0(VALU_DEP_1)
	v_cmpx_eq_u32_e32 0, v1
	s_wait_alu 0xfffe
	s_xor_b32 s30, exec_lo, s30
	s_cbranch_execz .LBB95_8
; %bb.27:                               ;   in Loop: Header=BB95_9 Depth=1
	s_add_nc_u64 s[28:29], s[20:21], s[28:29]
	s_mov_b32 s30, 0
	global_load_b64 v[3:4], v13, s[28:29]
.LBB95_28:                              ;   Parent Loop BB95_9 Depth=1
                                        ; =>  This Inner Loop Header: Depth=2
	s_wait_loadcnt 0x0
	v_add_f64_e32 v[1:2], v[3:4], v[5:6]
	global_atomic_cmpswap_b64 v[1:2], v13, v[1:4], s[28:29] th:TH_ATOMIC_RETURN scope:SCOPE_DEV
	s_wait_loadcnt 0x0
	v_cmp_eq_u64_e32 vcc_lo, v[1:2], v[3:4]
	v_dual_mov_b32 v4, v2 :: v_dual_mov_b32 v3, v1
	s_wait_alu 0xfffe
	s_or_b32 s30, vcc_lo, s30
	s_wait_alu 0xfffe
	s_and_not1_b32 exec_lo, exec_lo, s30
	s_cbranch_execnz .LBB95_28
; %bb.29:                               ;   in Loop: Header=BB95_9 Depth=1
	s_or_b32 exec_lo, exec_lo, s30
	s_branch .LBB95_8
.LBB95_30:
	s_lshl_b64 s[2:3], s[16:17], 3
	s_lshl_b64 s[4:5], s[18:19], 3
	s_wait_alu 0xfffe
	s_add_nc_u64 s[2:3], s[8:9], s[2:3]
	s_add_nc_u64 s[4:5], s[8:9], s[4:5]
	s_clause 0x1
	s_load_b64 s[2:3], s[2:3], 0x0
	s_load_b64 s[4:5], s[4:5], 0x0
	s_wait_kmcnt 0x0
	v_add_co_u32 v5, vcc_lo, s2, v9
	s_wait_alu 0xfffd
	v_add_co_ci_u32_e64 v6, null, s3, v12, vcc_lo
	s_sub_nc_u64 s[4:5], s[4:5], s[24:25]
	s_mov_b32 s3, exec_lo
	s_wait_alu 0xfffe
	v_cmpx_gt_i64_e64 s[4:5], v[5:6]
	s_cbranch_execz .LBB95_40
; %bb.31:
	s_add_nc_u64 s[6:7], s[18:19], -1
	s_add_nc_u64 s[26:27], s[18:19], -2
	s_wait_alu 0xfffe
	v_cmp_lt_i64_e64 s2, s[16:17], s[6:7]
	s_cmp_lg_u64 s[16:17], s[26:27]
	s_mov_b32 s26, 0
	s_cselect_b32 s25, -1, 0
	s_wait_alu 0xfffe
	s_and_b32 s25, s2, s25
	s_branch .LBB95_33
.LBB95_32:                              ;   in Loop: Header=BB95_33 Depth=1
	s_wait_alu 0xfffe
	s_or_b32 exec_lo, exec_lo, s2
	v_add_co_u32 v5, vcc_lo, 0x100, v5
	s_wait_alu 0xfffd
	v_add_co_ci_u32_e64 v6, null, 0, v6, vcc_lo
	s_delay_alu instid0(VALU_DEP_1)
	v_cmp_le_i64_e32 vcc_lo, s[4:5], v[5:6]
	s_or_b32 s26, vcc_lo, s26
	s_wait_alu 0xfffe
	s_and_not1_b32 exec_lo, exec_lo, s26
	s_cbranch_execz .LBB95_40
.LBB95_33:                              ; =>This Loop Header: Depth=1
                                        ;     Child Loop BB95_35 Depth 2
                                        ;     Child Loop BB95_39 Depth 2
	v_dual_mov_b32 v1, s16 :: v_dual_mov_b32 v2, s17
	v_dual_mov_b32 v3, s6 :: v_dual_mov_b32 v4, s7
	s_wait_alu 0xfffe
	s_and_not1_b32 vcc_lo, exec_lo, s25
	s_wait_alu 0xfffe
	s_cbranch_vccnz .LBB95_37
; %bb.34:                               ;   in Loop: Header=BB95_33 Depth=1
	v_dual_mov_b32 v1, s16 :: v_dual_mov_b32 v2, s17
	v_dual_mov_b32 v3, s6 :: v_dual_mov_b32 v4, s7
	s_mov_b32 s27, 0
.LBB95_35:                              ;   Parent Loop BB95_33 Depth=1
                                        ; =>  This Inner Loop Header: Depth=2
	s_delay_alu instid0(VALU_DEP_1) | instskip(SKIP_1) | instid1(VALU_DEP_2)
	v_add_co_u32 v7, vcc_lo, v3, v1
	s_wait_alu 0xfffd
	v_add_co_ci_u32_e64 v8, null, v4, v2, vcc_lo
	s_delay_alu instid0(VALU_DEP_1) | instskip(NEXT) | instid1(VALU_DEP_1)
	v_lshrrev_b32_e32 v9, 31, v8
	v_add_co_u32 v7, vcc_lo, v7, v9
	s_wait_alu 0xfffd
	v_add_co_ci_u32_e64 v8, null, 0, v8, vcc_lo
	s_delay_alu instid0(VALU_DEP_1) | instskip(NEXT) | instid1(VALU_DEP_1)
	v_ashrrev_i64 v[7:8], 1, v[7:8]
	v_lshlrev_b64_e32 v[12:13], 3, v[7:8]
	s_delay_alu instid0(VALU_DEP_1) | instskip(SKIP_1) | instid1(VALU_DEP_2)
	v_add_co_u32 v12, vcc_lo, s8, v12
	s_wait_alu 0xfffd
	v_add_co_ci_u32_e64 v13, null, s9, v13, vcc_lo
	global_load_b64 v[12:13], v[12:13], off
	s_wait_loadcnt 0x0
	v_sub_co_u32 v12, vcc_lo, v12, s24
	s_wait_alu 0xfffd
	v_subrev_co_ci_u32_e64 v13, null, 0, v13, vcc_lo
	s_delay_alu instid0(VALU_DEP_1) | instskip(SKIP_3) | instid1(VALU_DEP_2)
	v_cmp_lt_i64_e32 vcc_lo, v[5:6], v[12:13]
	s_wait_alu 0xfffd
	v_dual_cndmask_b32 v4, v4, v8 :: v_dual_cndmask_b32 v3, v3, v7
	v_dual_cndmask_b32 v2, v8, v2 :: v_dual_cndmask_b32 v1, v7, v1
	v_add_co_u32 v7, vcc_lo, v3, -1
	s_wait_alu 0xfffd
	s_delay_alu instid0(VALU_DEP_3) | instskip(NEXT) | instid1(VALU_DEP_3)
	v_add_co_ci_u32_e64 v8, null, -1, v4, vcc_lo
	v_cmp_ge_i64_e32 vcc_lo, v[1:2], v[3:4]
	s_delay_alu instid0(VALU_DEP_2)
	v_cmp_eq_u64_e64 s2, v[1:2], v[7:8]
	s_or_b32 s2, vcc_lo, s2
	s_wait_alu 0xfffe
	s_and_b32 s2, exec_lo, s2
	s_wait_alu 0xfffe
	s_or_b32 s27, s2, s27
	s_wait_alu 0xfffe
	s_and_not1_b32 exec_lo, exec_lo, s27
	s_cbranch_execnz .LBB95_35
; %bb.36:                               ;   in Loop: Header=BB95_33 Depth=1
	s_or_b32 exec_lo, exec_lo, s27
.LBB95_37:                              ;   in Loop: Header=BB95_33 Depth=1
	v_lshlrev_b64_e32 v[7:8], 3, v[3:4]
	v_lshlrev_b64_e32 v[12:13], 2, v[5:6]
	s_mov_b32 s2, exec_lo
	s_delay_alu instid0(VALU_DEP_2) | instskip(SKIP_1) | instid1(VALU_DEP_3)
	v_add_co_u32 v7, vcc_lo, s8, v7
	s_wait_alu 0xfffd
	v_add_co_ci_u32_e64 v8, null, s9, v8, vcc_lo
	s_delay_alu instid0(VALU_DEP_3)
	v_add_co_u32 v14, vcc_lo, s10, v12
	s_wait_alu 0xfffd
	v_add_co_ci_u32_e64 v15, null, s11, v13, vcc_lo
	global_load_b64 v[7:8], v[7:8], off
	global_load_b32 v9, v[14:15], off
	s_wait_loadcnt 0x1
	v_sub_co_u32 v7, vcc_lo, v7, s24
	s_wait_alu 0xfffd
	v_subrev_co_ci_u32_e64 v8, null, 0, v8, vcc_lo
	s_delay_alu instid0(VALU_DEP_1) | instskip(SKIP_2) | instid1(VALU_DEP_1)
	v_cmp_lt_i64_e32 vcc_lo, v[5:6], v[7:8]
	s_wait_loadcnt 0x0
	v_subrev_nc_u32_e32 v7, s24, v9
	v_ashrrev_i32_e32 v8, 31, v7
	s_wait_alu 0xfffd
	v_dual_cndmask_b32 v2, v4, v2 :: v_dual_cndmask_b32 v1, v3, v1
	s_delay_alu instid0(VALU_DEP_1)
	v_cmpx_ne_u64_e64 v[1:2], v[7:8]
	s_cbranch_execz .LBB95_32
; %bb.38:                               ;   in Loop: Header=BB95_33 Depth=1
	v_add_co_u32 v3, vcc_lo, s12, v12
	s_wait_alu 0xfffd
	v_add_co_ci_u32_e64 v4, null, s13, v13, vcc_lo
	v_lshlrev_b64_e32 v[1:2], 3, v[1:2]
	s_mov_b32 s27, 0
	global_load_b32 v9, v[3:4], off
	v_lshlrev_b64_e32 v[3:4], 3, v[7:8]
	v_add_co_u32 v1, vcc_lo, s14, v1
	s_wait_alu 0xfffd
	v_add_co_ci_u32_e64 v2, null, s15, v2, vcc_lo
	s_delay_alu instid0(VALU_DEP_3)
	v_add_co_u32 v7, vcc_lo, s20, v3
	s_wait_alu 0xfffd
	v_add_co_ci_u32_e64 v8, null, s21, v4, vcc_lo
	global_load_b64 v[1:2], v[1:2], off
	global_load_b64 v[3:4], v[7:8], off
	s_wait_loadcnt 0x2
	v_cvt_f64_f32_e32 v[12:13], v9
	s_delay_alu instid0(VALU_DEP_1) | instskip(SKIP_1) | instid1(VALU_DEP_1)
	v_mul_f64_e32 v[12:13], v[10:11], v[12:13]
	s_wait_loadcnt 0x1
	v_mul_f64_e32 v[12:13], v[1:2], v[12:13]
.LBB95_39:                              ;   Parent Loop BB95_33 Depth=1
                                        ; =>  This Inner Loop Header: Depth=2
	s_wait_loadcnt 0x0
	s_delay_alu instid0(VALU_DEP_1)
	v_add_f64_e32 v[1:2], v[3:4], v[12:13]
	global_atomic_cmpswap_b64 v[1:2], v[7:8], v[1:4], off th:TH_ATOMIC_RETURN scope:SCOPE_DEV
	s_wait_loadcnt 0x0
	v_cmp_eq_u64_e32 vcc_lo, v[1:2], v[3:4]
	v_dual_mov_b32 v4, v2 :: v_dual_mov_b32 v3, v1
	s_wait_alu 0xfffe
	s_or_b32 s27, vcc_lo, s27
	s_wait_alu 0xfffe
	s_and_not1_b32 exec_lo, exec_lo, s27
	s_cbranch_execnz .LBB95_39
	s_branch .LBB95_32
.LBB95_40:
	s_or_b32 exec_lo, exec_lo, s3
	s_mov_b32 s2, 0
.LBB95_41:
	s_wait_alu 0xfffe
	s_and_b32 vcc_lo, exec_lo, s2
	s_wait_alu 0xfffe
	s_cbranch_vccz .LBB95_167
; %bb.42:
	s_load_b32 s2, s[0:1], 0x6c
	s_mov_b32 s25, 0
	s_mov_b64 s[28:29], 0
	s_wait_alu 0xfffe
	s_mov_b32 s7, s25
	s_wait_kmcnt 0x0
	s_and_b32 s6, s2, 0xffff
	s_wait_alu 0xfffe
	v_cmp_lt_u64_e64 s2, s[6:7], s[22:23]
	s_and_b32 vcc_lo, exec_lo, s2
	s_wait_alu 0xfffe
	s_cbranch_vccnz .LBB95_44
; %bb.43:
	v_cvt_f32_u32_e32 v1, s22
	s_sub_co_i32 s3, 0, s22
	s_delay_alu instid0(VALU_DEP_1) | instskip(NEXT) | instid1(TRANS32_DEP_1)
	v_rcp_iflag_f32_e32 v1, v1
	v_mul_f32_e32 v1, 0x4f7ffffe, v1
	s_delay_alu instid0(VALU_DEP_1) | instskip(NEXT) | instid1(VALU_DEP_1)
	v_cvt_u32_f32_e32 v1, v1
	v_readfirstlane_b32 s2, v1
	s_wait_alu 0xfffe
	s_mul_i32 s3, s3, s2
	s_wait_alu 0xfffe
	s_mul_hi_u32 s3, s2, s3
	s_wait_alu 0xfffe
	s_add_co_i32 s2, s2, s3
	s_wait_alu 0xfffe
	s_mul_hi_u32 s2, s6, s2
	s_wait_alu 0xfffe
	s_mul_i32 s3, s2, s22
	s_add_co_i32 s4, s2, 1
	s_wait_alu 0xfffe
	s_sub_co_i32 s3, s6, s3
	s_wait_alu 0xfffe
	s_sub_co_i32 s5, s3, s22
	s_cmp_ge_u32 s3, s22
	s_cselect_b32 s2, s4, s2
	s_wait_alu 0xfffe
	s_cselect_b32 s3, s5, s3
	s_add_co_i32 s4, s2, 1
	s_wait_alu 0xfffe
	s_cmp_ge_u32 s3, s22
	s_cselect_b32 s28, s4, s2
.LBB95_44:
	s_lshl_b64 s[2:3], s[16:17], 3
	v_sub_co_u32 v1, s7, v0, s24
	s_wait_alu 0xfffe
	s_add_nc_u64 s[26:27], s[8:9], s[2:3]
	s_load_b64 s[4:5], s[26:27], 0x0
	s_load_b128 s[0:3], s[0:1], 0x8
	v_sub_co_ci_u32_e64 v2, null, 0, 0, s7
	s_wait_kmcnt 0x0
	v_add_co_u32 v8, vcc_lo, s4, v1
	s_wait_alu 0xfffd
	s_delay_alu instid0(VALU_DEP_2) | instskip(SKIP_1) | instid1(VALU_DEP_3)
	v_add_co_ci_u32_e64 v9, null, s5, v2, vcc_lo
	v_mov_b32_e32 v1, 0
	v_add_co_u32 v6, vcc_lo, 0x300, v8
	s_wait_alu 0xfffd
	s_delay_alu instid0(VALU_DEP_3) | instskip(NEXT) | instid1(VALU_DEP_1)
	v_add_co_ci_u32_e64 v7, null, 0, v9, vcc_lo
	v_cmp_le_i64_e32 vcc_lo, s[0:1], v[6:7]
	s_and_saveexec_b32 s0, vcc_lo
	s_wait_alu 0xfffe
	s_xor_b32 s7, exec_lo, s0
	s_cbranch_execnz .LBB95_47
; %bb.45:
	s_wait_alu 0xfffe
	s_or_saveexec_b32 s1, s7
	v_lshlrev_b64_e32 v[2:3], 2, v[8:9]
	s_wait_alu 0xfffe
	s_xor_b32 exec_lo, exec_lo, s1
	s_cbranch_execnz .LBB95_51
.LBB95_46:
	s_or_b32 exec_lo, exec_lo, s1
	s_delay_alu instid0(SALU_CYCLE_1)
	s_mov_b32 s1, exec_lo
	v_cmpx_gt_i64_e64 s[2:3], v[0:1]
	s_cbranch_execnz .LBB95_52
	s_branch .LBB95_54
.LBB95_47:
	s_lshl_b64 s[0:1], s[18:19], 3
	s_mov_b32 s29, exec_lo
	s_wait_alu 0xfffe
	s_add_nc_u64 s[0:1], s[8:9], s[0:1]
	s_load_b64 s[0:1], s[0:1], 0x0
	s_wait_kmcnt 0x0
	s_sub_nc_u64 s[30:31], s[0:1], s[4:5]
	s_wait_alu 0xfffe
	v_cmpx_gt_i64_e64 s[30:31], v[0:1]
	s_cbranch_execz .LBB95_50
; %bb.48:
	v_lshlrev_b64_e32 v[2:3], 2, v[8:9]
	v_dual_mov_b32 v12, v18 :: v_dual_mov_b32 v5, v1
	v_mov_b32_e32 v4, v0
	s_mov_b32 s33, 0
	s_delay_alu instid0(VALU_DEP_3)
	v_add_co_u32 v2, s0, s12, v2
	s_wait_alu 0xf1ff
	v_add_co_ci_u32_e64 v3, null, s13, v3, s0
.LBB95_49:                              ; =>This Inner Loop Header: Depth=1
	global_load_b32 v13, v[2:3], off
	v_add_co_u32 v4, s0, 0x100, v4
	s_wait_alu 0xf1ff
	v_add_co_ci_u32_e64 v5, null, 0, v5, s0
	v_add_co_u32 v2, s0, 0x400, v2
	s_wait_alu 0xf1ff
	v_add_co_ci_u32_e64 v3, null, 0, v3, s0
	s_delay_alu instid0(VALU_DEP_3) | instskip(SKIP_3) | instid1(VALU_DEP_1)
	v_cmp_le_i64_e64 s1, s[30:31], v[4:5]
	s_or_b32 s33, s1, s33
	s_wait_loadcnt 0x0
	v_cvt_f64_f32_e32 v[13:14], v13
	v_mul_f64_e32 v[13:14], v[10:11], v[13:14]
	ds_store_b64 v12, v[13:14]
	v_add_nc_u32_e32 v12, 0x800, v12
	s_and_not1_b32 exec_lo, exec_lo, s33
	s_cbranch_execnz .LBB95_49
.LBB95_50:
	s_or_b32 exec_lo, exec_lo, s29
                                        ; implicit-def: $vgpr10_vgpr11
	s_or_saveexec_b32 s1, s7
	v_lshlrev_b64_e32 v[2:3], 2, v[8:9]
	s_wait_alu 0xfffe
	s_xor_b32 exec_lo, exec_lo, s1
	s_cbranch_execz .LBB95_46
.LBB95_51:
	s_delay_alu instid0(VALU_DEP_1)
	v_add_co_u32 v4, s0, s12, v2
	s_wait_alu 0xf1ff
	v_add_co_ci_u32_e64 v5, null, s13, v3, s0
	s_clause 0x3
	global_load_b32 v12, v[4:5], off
	global_load_b32 v13, v[4:5], off offset:1024
	global_load_b32 v14, v[4:5], off offset:2048
	;; [unrolled: 1-line block ×3, first 2 shown]
	s_wait_loadcnt 0x3
	v_cvt_f64_f32_e32 v[4:5], v12
	s_wait_loadcnt 0x2
	v_cvt_f64_f32_e32 v[12:13], v13
	;; [unrolled: 2-line block ×4, first 2 shown]
	s_delay_alu instid0(VALU_DEP_4) | instskip(NEXT) | instid1(VALU_DEP_4)
	v_mul_f64_e32 v[4:5], v[10:11], v[4:5]
	v_mul_f64_e32 v[12:13], v[10:11], v[12:13]
	s_delay_alu instid0(VALU_DEP_4) | instskip(NEXT) | instid1(VALU_DEP_4)
	v_mul_f64_e32 v[14:15], v[10:11], v[14:15]
	v_mul_f64_e32 v[10:11], v[10:11], v[16:17]
	ds_store_2addr_stride64_b64 v18, v[4:5], v[12:13] offset1:4
	ds_store_2addr_stride64_b64 v18, v[14:15], v[10:11] offset0:8 offset1:12
	s_or_b32 exec_lo, exec_lo, s1
	s_delay_alu instid0(SALU_CYCLE_1)
	s_mov_b32 s1, exec_lo
	v_cmpx_gt_i64_e64 s[2:3], v[0:1]
	s_cbranch_execz .LBB95_54
.LBB95_52:
	v_dual_mov_b32 v4, 0 :: v_dual_mov_b32 v11, v1
	v_lshl_add_u32 v12, v0, 3, 0x2000
	s_mov_b32 s7, 0
	s_delay_alu instid0(VALU_DEP_2)
	v_dual_mov_b32 v10, v0 :: v_dual_mov_b32 v5, v4
.LBB95_53:                              ; =>This Inner Loop Header: Depth=1
	s_delay_alu instid0(VALU_DEP_1)
	v_add_co_u32 v10, s0, 0x100, v10
	s_wait_alu 0xf1ff
	v_add_co_ci_u32_e64 v11, null, 0, v11, s0
	ds_store_b64 v12, v[4:5]
	v_add_nc_u32_e32 v12, 0x800, v12
	v_cmp_le_i64_e64 s0, s[2:3], v[10:11]
	s_wait_alu 0xfffe
	s_or_b32 s7, s0, s7
	s_wait_alu 0xfffe
	s_and_not1_b32 exec_lo, exec_lo, s7
	s_cbranch_execnz .LBB95_53
.LBB95_54:
	s_wait_alu 0xfffe
	s_or_b32 exec_lo, exec_lo, s1
	v_cmp_ge_i64_e64 s7, s[18:19], s[2:3]
	s_sub_nc_u64 s[0:1], s[18:19], s[2:3]
	s_wait_loadcnt_dscnt 0x0
	s_barrier_signal -1
	s_barrier_wait -1
	global_inv scope:SCOPE_SE
	s_and_b32 s7, s7, exec_lo
	s_wait_alu 0xfffe
	s_cselect_b32 s13, s1, 0
	s_cselect_b32 s12, s0, 0
	s_and_saveexec_b32 s0, vcc_lo
	s_wait_alu 0xfffe
	s_xor_b32 s7, exec_lo, s0
	s_cbranch_execz .LBB95_75
; %bb.55:
	s_lshl_b64 s[0:1], s[18:19], 3
	s_mov_b32 s29, exec_lo
	s_wait_alu 0xfffe
	s_add_nc_u64 s[0:1], s[8:9], s[0:1]
	s_load_b64 s[0:1], s[0:1], 0x0
	s_wait_kmcnt 0x0
	s_sub_nc_u64 s[30:31], s[0:1], s[4:5]
	s_wait_alu 0xfffe
	v_cmpx_gt_i64_e64 s[30:31], v[0:1]
	s_cbranch_execz .LBB95_74
; %bb.56:
	s_add_nc_u64 s[34:35], s[18:19], -2
	s_sub_nc_u64 s[36:37], s[0:1], s[24:25]
	s_wait_alu 0xfffe
	s_cmp_lg_u64 s[16:17], s[34:35]
	s_add_nc_u64 s[34:35], s[18:19], -1
	s_cselect_b32 s33, -1, 0
	s_mov_b64 s[38:39], 0
	s_mov_b32 s1, 0
	s_branch .LBB95_59
.LBB95_57:                              ;   in Loop: Header=BB95_59 Depth=1
	s_wait_alu 0xfffe
	s_or_b32 exec_lo, exec_lo, s0
.LBB95_58:                              ;   in Loop: Header=BB95_59 Depth=1
	s_delay_alu instid0(SALU_CYCLE_1)
	s_or_b32 exec_lo, exec_lo, s40
	v_lshlrev_b64_e32 v[2:3], 3, v[6:7]
	s_add_nc_u64 s[38:39], s[38:39], 0x100
	s_wait_alu 0xfffe
	v_add_co_u32 v4, s0, s38, v0
	s_wait_alu 0xf1ff
	v_add_co_ci_u32_e64 v5, null, s39, 0, s0
	v_add_co_u32 v2, vcc_lo, s14, v2
	s_wait_alu 0xfffd
	v_add_co_ci_u32_e64 v3, null, s15, v3, vcc_lo
	s_delay_alu instid0(VALU_DEP_3)
	v_cmp_le_i64_e32 vcc_lo, s[30:31], v[4:5]
	v_lshlrev_b32_e32 v4, 3, v16
	global_load_b64 v[2:3], v[2:3], off
	s_or_b32 s1, vcc_lo, s1
	s_wait_loadcnt_dscnt 0x0
	v_mul_f64_e32 v[2:3], v[2:3], v[10:11]
	ds_store_b64 v4, v[2:3]
	s_wait_alu 0xfffe
	s_and_not1_b32 exec_lo, exec_lo, s1
	s_cbranch_execz .LBB95_74
.LBB95_59:                              ; =>This Loop Header: Depth=1
                                        ;     Child Loop BB95_61 Depth 2
                                        ;     Child Loop BB95_68 Depth 2
	;; [unrolled: 1-line block ×3, first 2 shown]
	v_add_co_u32 v2, vcc_lo, s38, v8
	s_wait_alu 0xfffd
	v_add_co_ci_u32_e64 v3, null, s39, v9, vcc_lo
	v_dual_mov_b32 v4, s16 :: v_dual_mov_b32 v5, s17
	s_wait_alu 0xfffe
	v_dual_mov_b32 v10, s34 :: v_dual_mov_b32 v11, s35
	s_and_not1_b32 vcc_lo, exec_lo, s33
	s_wait_alu 0xfffe
	s_cbranch_vccnz .LBB95_63
; %bb.60:                               ;   in Loop: Header=BB95_59 Depth=1
	v_dual_mov_b32 v4, s16 :: v_dual_mov_b32 v5, s17
	v_dual_mov_b32 v10, s34 :: v_dual_mov_b32 v11, s35
	s_mov_b32 s40, 0
.LBB95_61:                              ;   Parent Loop BB95_59 Depth=1
                                        ; =>  This Inner Loop Header: Depth=2
	s_delay_alu instid0(VALU_DEP_1) | instskip(SKIP_1) | instid1(VALU_DEP_2)
	v_add_co_u32 v6, vcc_lo, v10, v4
	s_wait_alu 0xfffd
	v_add_co_ci_u32_e64 v7, null, v11, v5, vcc_lo
	s_delay_alu instid0(VALU_DEP_1) | instskip(NEXT) | instid1(VALU_DEP_1)
	v_lshrrev_b32_e32 v12, 31, v7
	v_add_co_u32 v6, vcc_lo, v6, v12
	s_wait_alu 0xfffd
	v_add_co_ci_u32_e64 v7, null, 0, v7, vcc_lo
	s_delay_alu instid0(VALU_DEP_1) | instskip(NEXT) | instid1(VALU_DEP_1)
	v_ashrrev_i64 v[6:7], 1, v[6:7]
	v_lshlrev_b64_e32 v[12:13], 3, v[6:7]
	s_delay_alu instid0(VALU_DEP_1) | instskip(SKIP_1) | instid1(VALU_DEP_2)
	v_add_co_u32 v12, vcc_lo, s8, v12
	s_wait_alu 0xfffd
	v_add_co_ci_u32_e64 v13, null, s9, v13, vcc_lo
	global_load_b64 v[12:13], v[12:13], off
	s_wait_loadcnt 0x0
	v_sub_co_u32 v12, vcc_lo, v12, s24
	s_wait_alu 0xfffd
	v_subrev_co_ci_u32_e64 v13, null, 0, v13, vcc_lo
	s_delay_alu instid0(VALU_DEP_1) | instskip(SKIP_3) | instid1(VALU_DEP_2)
	v_cmp_lt_i64_e32 vcc_lo, v[2:3], v[12:13]
	s_wait_alu 0xfffd
	v_dual_cndmask_b32 v11, v11, v7 :: v_dual_cndmask_b32 v10, v10, v6
	v_dual_cndmask_b32 v5, v7, v5 :: v_dual_cndmask_b32 v4, v6, v4
	v_add_co_u32 v6, vcc_lo, v10, -1
	s_wait_alu 0xfffd
	s_delay_alu instid0(VALU_DEP_3) | instskip(NEXT) | instid1(VALU_DEP_3)
	v_add_co_ci_u32_e64 v7, null, -1, v11, vcc_lo
	v_cmp_ge_i64_e32 vcc_lo, v[4:5], v[10:11]
	s_delay_alu instid0(VALU_DEP_2)
	v_cmp_eq_u64_e64 s0, v[4:5], v[6:7]
	s_or_b32 s0, vcc_lo, s0
	s_wait_alu 0xfffe
	s_and_b32 s0, exec_lo, s0
	s_wait_alu 0xfffe
	s_or_b32 s40, s0, s40
	s_delay_alu instid0(SALU_CYCLE_1)
	s_and_not1_b32 exec_lo, exec_lo, s40
	s_cbranch_execnz .LBB95_61
; %bb.62:                               ;   in Loop: Header=BB95_59 Depth=1
	s_or_b32 exec_lo, exec_lo, s40
.LBB95_63:                              ;   in Loop: Header=BB95_59 Depth=1
	s_delay_alu instid0(VALU_DEP_1) | instskip(SKIP_3) | instid1(VALU_DEP_4)
	v_lshlrev_b64_e32 v[6:7], 3, v[10:11]
	v_lshlrev_b64_e32 v[12:13], 2, v[2:3]
	v_add_co_u32 v16, null, s38, v0
	v_cmp_le_i64_e64 s0, s[36:37], v[2:3]
	v_add_co_u32 v6, vcc_lo, s8, v6
	s_wait_alu 0xfffd
	v_add_co_ci_u32_e64 v7, null, s9, v7, vcc_lo
	v_add_co_u32 v12, vcc_lo, s10, v12
	s_wait_alu 0xfffd
	v_add_co_ci_u32_e64 v13, null, s11, v13, vcc_lo
	global_load_b64 v[6:7], v[6:7], off
	global_load_b32 v14, v[12:13], off
	s_wait_loadcnt 0x1
	v_sub_co_u32 v12, vcc_lo, v6, s24
	s_wait_alu 0xfffd
	v_subrev_co_ci_u32_e64 v13, null, 0, v7, vcc_lo
	s_wait_loadcnt 0x0
	v_subrev_nc_u32_e32 v6, s24, v14
	v_lshlrev_b32_e32 v14, 3, v16
	s_delay_alu instid0(VALU_DEP_3) | instskip(NEXT) | instid1(VALU_DEP_3)
	v_cmp_lt_i64_e32 vcc_lo, v[2:3], v[12:13]
	v_ashrrev_i32_e32 v7, 31, v6
	s_wait_alu 0xfffd
	v_dual_cndmask_b32 v5, v11, v5 :: v_dual_cndmask_b32 v4, v10, v4
                                        ; implicit-def: $vgpr10_vgpr11
	s_delay_alu instid0(VALU_DEP_1) | instskip(SKIP_3) | instid1(SALU_CYCLE_1)
	v_cmp_eq_u64_e32 vcc_lo, v[4:5], v[6:7]
	s_or_b32 s0, vcc_lo, s0
	s_wait_alu 0xfffe
	s_and_saveexec_b32 s40, s0
	s_xor_b32 s0, exec_lo, s40
; %bb.64:                               ;   in Loop: Header=BB95_59 Depth=1
	ds_load_b64 v[10:11], v14
                                        ; implicit-def: $vgpr4_vgpr5
                                        ; implicit-def: $vgpr14
; %bb.65:                               ;   in Loop: Header=BB95_59 Depth=1
	s_wait_alu 0xfffe
	s_and_not1_saveexec_b32 s40, s0
	s_cbranch_execz .LBB95_58
; %bb.66:                               ;   in Loop: Header=BB95_59 Depth=1
	v_cmp_gt_i64_e32 vcc_lo, s[12:13], v[6:7]
	v_cmp_le_i64_e64 s0, s[18:19], v[6:7]
	v_lshlrev_b64_e32 v[2:3], 3, v[4:5]
                                        ; implicit-def: $vgpr10_vgpr11
	s_or_b32 s0, vcc_lo, s0
	s_wait_alu 0xfffe
	s_and_saveexec_b32 s41, s0
	s_delay_alu instid0(SALU_CYCLE_1)
	s_xor_b32 s0, exec_lo, s41
	s_cbranch_execz .LBB95_70
; %bb.67:                               ;   in Loop: Header=BB95_59 Depth=1
	v_add_co_u32 v2, vcc_lo, s14, v2
	s_wait_alu 0xfffd
	v_add_co_ci_u32_e64 v3, null, s15, v3, vcc_lo
	v_lshlrev_b64_e32 v[4:5], 3, v[6:7]
	s_wait_dscnt 0x0
	ds_load_b64 v[10:11], v14
	s_mov_b32 s41, 0
	global_load_b64 v[2:3], v[2:3], off
	v_add_co_u32 v12, vcc_lo, s20, v4
	s_wait_alu 0xfffd
	v_add_co_ci_u32_e64 v13, null, s21, v5, vcc_lo
	global_load_b64 v[4:5], v[12:13], off
	s_wait_loadcnt_dscnt 0x100
	v_mul_f64_e32 v[14:15], v[10:11], v[2:3]
.LBB95_68:                              ;   Parent Loop BB95_59 Depth=1
                                        ; =>  This Inner Loop Header: Depth=2
	s_wait_loadcnt 0x0
	s_delay_alu instid0(VALU_DEP_1)
	v_add_f64_e32 v[2:3], v[4:5], v[14:15]
	global_atomic_cmpswap_b64 v[2:3], v[12:13], v[2:5], off th:TH_ATOMIC_RETURN scope:SCOPE_DEV
	s_wait_loadcnt 0x0
	v_cmp_eq_u64_e32 vcc_lo, v[2:3], v[4:5]
	v_dual_mov_b32 v5, v3 :: v_dual_mov_b32 v4, v2
	s_or_b32 s41, vcc_lo, s41
	s_delay_alu instid0(SALU_CYCLE_1)
	s_and_not1_b32 exec_lo, exec_lo, s41
	s_cbranch_execnz .LBB95_68
; %bb.69:                               ;   in Loop: Header=BB95_59 Depth=1
	s_or_b32 exec_lo, exec_lo, s41
                                        ; implicit-def: $vgpr14
                                        ; implicit-def: $vgpr2_vgpr3
.LBB95_70:                              ;   in Loop: Header=BB95_59 Depth=1
	s_wait_alu 0xfffe
	s_and_not1_saveexec_b32 s0, s0
	s_cbranch_execz .LBB95_57
; %bb.71:                               ;   in Loop: Header=BB95_59 Depth=1
	v_add_co_u32 v2, vcc_lo, s14, v2
	s_wait_alu 0xfffd
	v_add_co_ci_u32_e64 v3, null, s15, v3, vcc_lo
	s_wait_dscnt 0x0
	ds_load_b64 v[10:11], v14
	v_subrev_nc_u32_e32 v4, s12, v6
	s_mov_b32 s41, 0
	global_load_b64 v[2:3], v[2:3], off
	v_lshl_add_u32 v12, v4, 3, 0x2000
	ds_load_b64 v[4:5], v12
	s_wait_loadcnt_dscnt 0x1
	v_mul_f64_e32 v[2:3], v[10:11], v[2:3]
.LBB95_72:                              ;   Parent Loop BB95_59 Depth=1
                                        ; =>  This Inner Loop Header: Depth=2
	s_wait_dscnt 0x0
	s_delay_alu instid0(VALU_DEP_1)
	v_add_f64_e32 v[13:14], v[4:5], v[2:3]
	ds_cmpstore_rtn_b64 v[13:14], v12, v[13:14], v[4:5]
	s_wait_dscnt 0x0
	v_cmp_eq_u64_e32 vcc_lo, v[13:14], v[4:5]
	v_dual_mov_b32 v4, v13 :: v_dual_mov_b32 v5, v14
	s_or_b32 s41, vcc_lo, s41
	s_delay_alu instid0(SALU_CYCLE_1)
	s_and_not1_b32 exec_lo, exec_lo, s41
	s_cbranch_execnz .LBB95_72
; %bb.73:                               ;   in Loop: Header=BB95_59 Depth=1
	s_or_b32 exec_lo, exec_lo, s41
	s_branch .LBB95_57
.LBB95_74:
	s_or_b32 exec_lo, exec_lo, s29
                                        ; implicit-def: $vgpr6_vgpr7
                                        ; implicit-def: $vgpr8
                                        ; implicit-def: $vgpr2_vgpr3
.LBB95_75:
	s_wait_alu 0xfffe
	s_and_not1_saveexec_b32 s1, s7
	s_cbranch_execz .LBB95_133
; %bb.76:
	s_add_nc_u64 s[30:31], s[18:19], -1
	s_add_nc_u64 s[34:35], s[18:19], -2
	v_dual_mov_b32 v4, s16 :: v_dual_mov_b32 v5, s17
	s_wait_alu 0xfffe
	v_dual_mov_b32 v13, s30 :: v_dual_mov_b32 v14, s31
	s_cmp_lg_u64 s[16:17], s[34:35]
	s_cselect_b32 s7, -1, 0
	s_cmp_eq_u64 s[16:17], s[34:35]
	s_cbranch_scc1 .LBB95_80
; %bb.77:
	v_dual_mov_b32 v4, s16 :: v_dual_mov_b32 v5, s17
	v_dual_mov_b32 v13, s30 :: v_dual_mov_b32 v14, s31
	s_mov_b32 s29, 0
.LBB95_78:                              ; =>This Inner Loop Header: Depth=1
	s_delay_alu instid0(VALU_DEP_1) | instskip(SKIP_1) | instid1(VALU_DEP_2)
	v_add_co_u32 v10, vcc_lo, v13, v4
	s_wait_alu 0xfffd
	v_add_co_ci_u32_e64 v11, null, v14, v5, vcc_lo
	s_delay_alu instid0(VALU_DEP_1) | instskip(NEXT) | instid1(VALU_DEP_1)
	v_lshrrev_b32_e32 v12, 31, v11
	v_add_co_u32 v10, vcc_lo, v10, v12
	s_wait_alu 0xfffd
	v_add_co_ci_u32_e64 v11, null, 0, v11, vcc_lo
	s_delay_alu instid0(VALU_DEP_1) | instskip(NEXT) | instid1(VALU_DEP_1)
	v_ashrrev_i64 v[10:11], 1, v[10:11]
	v_lshlrev_b64_e32 v[15:16], 3, v[10:11]
	s_delay_alu instid0(VALU_DEP_1) | instskip(SKIP_1) | instid1(VALU_DEP_2)
	v_add_co_u32 v15, vcc_lo, s8, v15
	s_wait_alu 0xfffd
	v_add_co_ci_u32_e64 v16, null, s9, v16, vcc_lo
	global_load_b64 v[15:16], v[15:16], off
	s_wait_loadcnt 0x0
	v_sub_co_u32 v15, vcc_lo, v15, s24
	s_wait_alu 0xfffd
	v_subrev_co_ci_u32_e64 v16, null, 0, v16, vcc_lo
	s_delay_alu instid0(VALU_DEP_1) | instskip(SKIP_3) | instid1(VALU_DEP_2)
	v_cmp_lt_i64_e32 vcc_lo, v[8:9], v[15:16]
	s_wait_alu 0xfffd
	v_dual_cndmask_b32 v14, v14, v11 :: v_dual_cndmask_b32 v13, v13, v10
	v_dual_cndmask_b32 v5, v11, v5 :: v_dual_cndmask_b32 v4, v10, v4
	v_add_co_u32 v10, vcc_lo, v13, -1
	s_wait_alu 0xfffd
	s_delay_alu instid0(VALU_DEP_3) | instskip(NEXT) | instid1(VALU_DEP_3)
	v_add_co_ci_u32_e64 v11, null, -1, v14, vcc_lo
	v_cmp_ge_i64_e32 vcc_lo, v[4:5], v[13:14]
	s_delay_alu instid0(VALU_DEP_2)
	v_cmp_eq_u64_e64 s0, v[4:5], v[10:11]
	s_or_b32 s0, vcc_lo, s0
	s_wait_alu 0xfffe
	s_and_b32 s0, exec_lo, s0
	s_wait_alu 0xfffe
	s_or_b32 s29, s0, s29
	s_delay_alu instid0(SALU_CYCLE_1)
	s_and_not1_b32 exec_lo, exec_lo, s29
	s_cbranch_execnz .LBB95_78
; %bb.79:
	s_or_b32 exec_lo, exec_lo, s29
.LBB95_80:
	v_lshlrev_b64_e32 v[10:11], 3, v[13:14]
	s_mov_b32 s29, exec_lo
	s_delay_alu instid0(VALU_DEP_1) | instskip(SKIP_1) | instid1(VALU_DEP_2)
	v_add_co_u32 v10, vcc_lo, s8, v10
	s_wait_alu 0xfffd
	v_add_co_ci_u32_e64 v11, null, s9, v11, vcc_lo
	global_load_b64 v[15:16], v[10:11], off
	v_add_co_u32 v10, vcc_lo, s10, v2
	s_wait_alu 0xfffd
	v_add_co_ci_u32_e64 v11, null, s11, v3, vcc_lo
	s_lshl_b64 s[10:11], s[18:19], 3
	s_wait_alu 0xfffe
	s_add_nc_u64 s[10:11], s[8:9], s[10:11]
	global_load_b32 v12, v[10:11], off
	s_wait_loadcnt 0x1
	v_sub_co_u32 v2, vcc_lo, v15, s24
	s_wait_alu 0xfffd
	v_subrev_co_ci_u32_e64 v3, null, 0, v16, vcc_lo
	s_delay_alu instid0(VALU_DEP_1) | instskip(SKIP_4) | instid1(VALU_DEP_2)
	v_cmp_lt_i64_e32 vcc_lo, v[8:9], v[2:3]
	s_wait_loadcnt 0x0
	v_subrev_nc_u32_e32 v12, s24, v12
	s_wait_alu 0xfffd
	v_dual_cndmask_b32 v3, v14, v5 :: v_dual_cndmask_b32 v2, v13, v4
	v_ashrrev_i32_e32 v13, 31, v12
	s_delay_alu instid0(VALU_DEP_1)
	v_cmpx_ne_u64_e64 v[2:3], v[12:13]
	s_cbranch_execz .LBB95_90
; %bb.81:
	s_load_b64 s[34:35], s[10:11], 0x0
	s_wait_kmcnt 0x0
	s_sub_nc_u64 s[34:35], s[34:35], s[24:25]
	s_wait_alu 0xfffe
	v_cmp_gt_i64_e32 vcc_lo, s[34:35], v[8:9]
	s_and_b32 exec_lo, exec_lo, vcc_lo
	s_cbranch_execz .LBB95_90
; %bb.82:
	v_cmp_gt_i64_e32 vcc_lo, s[12:13], v[12:13]
	v_cmp_le_i64_e64 s0, s[18:19], v[12:13]
	v_lshlrev_b64_e32 v[2:3], 3, v[2:3]
	s_or_b32 s0, vcc_lo, s0
	s_wait_alu 0xfffe
	s_and_saveexec_b32 s33, s0
	s_delay_alu instid0(SALU_CYCLE_1)
	s_xor_b32 s0, exec_lo, s33
	s_cbranch_execz .LBB95_86
; %bb.83:
	v_add_co_u32 v2, vcc_lo, s14, v2
	s_wait_alu 0xfffd
	v_add_co_ci_u32_e64 v3, null, s15, v3, vcc_lo
	v_lshlrev_b64_e32 v[4:5], 3, v[12:13]
	ds_load_b64 v[16:17], v18
	s_mov_b32 s33, 0
	global_load_b64 v[2:3], v[2:3], off
	v_add_co_u32 v14, vcc_lo, s20, v4
	s_wait_alu 0xfffd
	v_add_co_ci_u32_e64 v15, null, s21, v5, vcc_lo
	global_load_b64 v[4:5], v[14:15], off
	s_wait_loadcnt_dscnt 0x100
	v_mul_f64_e32 v[16:17], v[16:17], v[2:3]
.LBB95_84:                              ; =>This Inner Loop Header: Depth=1
	s_wait_loadcnt 0x0
	s_delay_alu instid0(VALU_DEP_1)
	v_add_f64_e32 v[2:3], v[4:5], v[16:17]
	global_atomic_cmpswap_b64 v[2:3], v[14:15], v[2:5], off th:TH_ATOMIC_RETURN scope:SCOPE_DEV
	s_wait_loadcnt 0x0
	v_cmp_eq_u64_e32 vcc_lo, v[2:3], v[4:5]
	v_dual_mov_b32 v5, v3 :: v_dual_mov_b32 v4, v2
	s_or_b32 s33, vcc_lo, s33
	s_delay_alu instid0(SALU_CYCLE_1)
	s_and_not1_b32 exec_lo, exec_lo, s33
	s_cbranch_execnz .LBB95_84
; %bb.85:
	s_or_b32 exec_lo, exec_lo, s33
                                        ; implicit-def: $vgpr2_vgpr3
.LBB95_86:
	s_wait_alu 0xfffe
	s_and_not1_saveexec_b32 s0, s0
	s_cbranch_execz .LBB95_90
; %bb.87:
	v_add_co_u32 v2, vcc_lo, s14, v2
	s_wait_alu 0xfffd
	v_add_co_ci_u32_e64 v3, null, s15, v3, vcc_lo
	ds_load_b64 v[4:5], v18
	s_mov_b32 s0, 0
	global_load_b64 v[2:3], v[2:3], off
	s_wait_loadcnt_dscnt 0x0
	v_mul_f64_e32 v[2:3], v[4:5], v[2:3]
	v_subrev_nc_u32_e32 v4, s12, v12
	s_delay_alu instid0(VALU_DEP_1)
	v_lshl_add_u32 v14, v4, 3, 0x2000
	ds_load_b64 v[4:5], v14
.LBB95_88:                              ; =>This Inner Loop Header: Depth=1
	s_wait_dscnt 0x0
	v_add_f64_e32 v[15:16], v[4:5], v[2:3]
	ds_cmpstore_rtn_b64 v[15:16], v14, v[15:16], v[4:5]
	s_wait_dscnt 0x0
	v_cmp_eq_u64_e32 vcc_lo, v[15:16], v[4:5]
	v_dual_mov_b32 v4, v15 :: v_dual_mov_b32 v5, v16
	s_wait_alu 0xfffe
	s_or_b32 s0, vcc_lo, s0
	s_wait_alu 0xfffe
	s_and_not1_b32 exec_lo, exec_lo, s0
	s_cbranch_execnz .LBB95_88
; %bb.89:
	s_or_b32 exec_lo, exec_lo, s0
.LBB95_90:
	s_delay_alu instid0(SALU_CYCLE_1)
	s_or_b32 exec_lo, exec_lo, s29
	v_lshlrev_b64_e32 v[2:3], 3, v[12:13]
	ds_load_b64 v[4:5], v18
	v_cndmask_b32_e64 v19, 0, 1, s7
	v_dual_mov_b32 v13, s30 :: v_dual_mov_b32 v14, s31
	v_add_co_u32 v2, vcc_lo, s14, v2
	s_wait_alu 0xfffd
	v_add_co_ci_u32_e64 v3, null, s15, v3, vcc_lo
	global_load_b64 v[2:3], v[2:3], off
	s_wait_loadcnt_dscnt 0x0
	v_mul_f64_e32 v[15:16], v[2:3], v[4:5]
	v_add_co_u32 v2, vcc_lo, 0x100, v8
	s_wait_alu 0xfffd
	v_add_co_ci_u32_e64 v3, null, 0, v9, vcc_lo
	v_dual_mov_b32 v4, s16 :: v_dual_mov_b32 v5, s17
	s_and_not1_b32 vcc_lo, exec_lo, s7
	ds_store_b64 v18, v[15:16]
	s_wait_alu 0xfffe
	s_cbranch_vccnz .LBB95_94
; %bb.91:
	v_dual_mov_b32 v4, s16 :: v_dual_mov_b32 v5, s17
	v_dual_mov_b32 v13, s30 :: v_dual_mov_b32 v14, s31
	s_mov_b32 s7, 0
.LBB95_92:                              ; =>This Inner Loop Header: Depth=1
	s_delay_alu instid0(VALU_DEP_1) | instskip(SKIP_1) | instid1(VALU_DEP_2)
	v_add_co_u32 v12, vcc_lo, v13, v4
	s_wait_alu 0xfffd
	v_add_co_ci_u32_e64 v16, null, v14, v5, vcc_lo
	s_delay_alu instid0(VALU_DEP_1) | instskip(NEXT) | instid1(VALU_DEP_1)
	v_lshrrev_b32_e32 v15, 31, v16
	v_add_co_u32 v15, vcc_lo, v12, v15
	s_wait_alu 0xfffd
	v_add_co_ci_u32_e64 v16, null, 0, v16, vcc_lo
	s_delay_alu instid0(VALU_DEP_1) | instskip(NEXT) | instid1(VALU_DEP_1)
	v_ashrrev_i64 v[15:16], 1, v[15:16]
	v_lshlrev_b64_e32 v[20:21], 3, v[15:16]
	s_delay_alu instid0(VALU_DEP_1) | instskip(SKIP_1) | instid1(VALU_DEP_2)
	v_add_co_u32 v20, vcc_lo, s8, v20
	s_wait_alu 0xfffd
	v_add_co_ci_u32_e64 v21, null, s9, v21, vcc_lo
	global_load_b64 v[20:21], v[20:21], off
	s_wait_loadcnt 0x0
	v_sub_co_u32 v20, vcc_lo, v20, s24
	s_wait_alu 0xfffd
	v_subrev_co_ci_u32_e64 v21, null, 0, v21, vcc_lo
	s_delay_alu instid0(VALU_DEP_1) | instskip(SKIP_3) | instid1(VALU_DEP_2)
	v_cmp_lt_i64_e32 vcc_lo, v[2:3], v[20:21]
	s_wait_alu 0xfffd
	v_dual_cndmask_b32 v14, v14, v16 :: v_dual_cndmask_b32 v13, v13, v15
	v_dual_cndmask_b32 v5, v16, v5 :: v_dual_cndmask_b32 v4, v15, v4
	v_add_co_u32 v15, vcc_lo, v13, -1
	s_wait_alu 0xfffd
	s_delay_alu instid0(VALU_DEP_3) | instskip(NEXT) | instid1(VALU_DEP_3)
	v_add_co_ci_u32_e64 v16, null, -1, v14, vcc_lo
	v_cmp_ge_i64_e32 vcc_lo, v[4:5], v[13:14]
	s_delay_alu instid0(VALU_DEP_2)
	v_cmp_eq_u64_e64 s0, v[4:5], v[15:16]
	s_or_b32 s0, vcc_lo, s0
	s_wait_alu 0xfffe
	s_and_b32 s0, exec_lo, s0
	s_wait_alu 0xfffe
	s_or_b32 s7, s0, s7
	s_wait_alu 0xfffe
	s_and_not1_b32 exec_lo, exec_lo, s7
	s_cbranch_execnz .LBB95_92
; %bb.93:
	s_or_b32 exec_lo, exec_lo, s7
.LBB95_94:
	v_lshlrev_b64_e32 v[15:16], 3, v[13:14]
	s_mov_b32 s7, exec_lo
	s_delay_alu instid0(VALU_DEP_1) | instskip(SKIP_1) | instid1(VALU_DEP_2)
	v_add_co_u32 v15, vcc_lo, s8, v15
	s_wait_alu 0xfffd
	v_add_co_ci_u32_e64 v16, null, s9, v16, vcc_lo
	global_load_b64 v[15:16], v[15:16], off
	global_load_b32 v12, v[10:11], off offset:1024
	s_wait_loadcnt 0x1
	v_sub_co_u32 v15, vcc_lo, v15, s24
	s_wait_alu 0xfffd
	v_subrev_co_ci_u32_e64 v16, null, 0, v16, vcc_lo
	s_wait_loadcnt 0x0
	v_subrev_nc_u32_e32 v12, s24, v12
	s_delay_alu instid0(VALU_DEP_2) | instskip(SKIP_2) | instid1(VALU_DEP_3)
	v_cmp_lt_i64_e32 vcc_lo, v[2:3], v[15:16]
	s_wait_alu 0xfffd
	v_dual_cndmask_b32 v5, v14, v5 :: v_dual_cndmask_b32 v4, v13, v4
	v_ashrrev_i32_e32 v13, 31, v12
	s_delay_alu instid0(VALU_DEP_1)
	v_cmpx_ne_u64_e64 v[4:5], v[12:13]
	s_cbranch_execz .LBB95_104
; %bb.95:
	s_load_b64 s[34:35], s[10:11], 0x0
	s_wait_kmcnt 0x0
	s_sub_nc_u64 s[34:35], s[34:35], s[24:25]
	s_wait_alu 0xfffe
	v_cmp_gt_i64_e32 vcc_lo, s[34:35], v[2:3]
	s_and_b32 exec_lo, exec_lo, vcc_lo
	s_cbranch_execz .LBB95_104
; %bb.96:
	v_cmp_gt_i64_e32 vcc_lo, s[12:13], v[12:13]
	v_cmp_le_i64_e64 s0, s[18:19], v[12:13]
	v_lshlrev_b64_e32 v[2:3], 3, v[4:5]
	s_or_b32 s0, vcc_lo, s0
	s_wait_alu 0xfffe
	s_and_saveexec_b32 s29, s0
	s_delay_alu instid0(SALU_CYCLE_1)
	s_xor_b32 s0, exec_lo, s29
	s_cbranch_execz .LBB95_100
; %bb.97:
	v_add_co_u32 v2, vcc_lo, s14, v2
	s_wait_alu 0xfffd
	v_add_co_ci_u32_e64 v3, null, s15, v3, vcc_lo
	v_lshlrev_b64_e32 v[4:5], 3, v[12:13]
	ds_load_b64 v[16:17], v18 offset:2048
	s_mov_b32 s29, 0
	global_load_b64 v[2:3], v[2:3], off
	v_add_co_u32 v14, vcc_lo, s20, v4
	s_wait_alu 0xfffd
	v_add_co_ci_u32_e64 v15, null, s21, v5, vcc_lo
	global_load_b64 v[4:5], v[14:15], off
	s_wait_loadcnt_dscnt 0x100
	v_mul_f64_e32 v[16:17], v[16:17], v[2:3]
.LBB95_98:                              ; =>This Inner Loop Header: Depth=1
	s_wait_loadcnt 0x0
	s_delay_alu instid0(VALU_DEP_1)
	v_add_f64_e32 v[2:3], v[4:5], v[16:17]
	global_atomic_cmpswap_b64 v[2:3], v[14:15], v[2:5], off th:TH_ATOMIC_RETURN scope:SCOPE_DEV
	s_wait_loadcnt 0x0
	v_cmp_eq_u64_e32 vcc_lo, v[2:3], v[4:5]
	v_dual_mov_b32 v5, v3 :: v_dual_mov_b32 v4, v2
	s_or_b32 s29, vcc_lo, s29
	s_delay_alu instid0(SALU_CYCLE_1)
	s_and_not1_b32 exec_lo, exec_lo, s29
	s_cbranch_execnz .LBB95_98
; %bb.99:
	s_or_b32 exec_lo, exec_lo, s29
                                        ; implicit-def: $vgpr2_vgpr3
.LBB95_100:
	s_wait_alu 0xfffe
	s_and_not1_saveexec_b32 s0, s0
	s_cbranch_execz .LBB95_104
; %bb.101:
	v_add_co_u32 v2, vcc_lo, s14, v2
	s_wait_alu 0xfffd
	v_add_co_ci_u32_e64 v3, null, s15, v3, vcc_lo
	ds_load_b64 v[4:5], v18 offset:2048
	s_mov_b32 s0, 0
	global_load_b64 v[2:3], v[2:3], off
	s_wait_loadcnt_dscnt 0x0
	v_mul_f64_e32 v[2:3], v[4:5], v[2:3]
	v_subrev_nc_u32_e32 v4, s12, v12
	s_delay_alu instid0(VALU_DEP_1)
	v_lshl_add_u32 v14, v4, 3, 0x2000
	ds_load_b64 v[4:5], v14
.LBB95_102:                             ; =>This Inner Loop Header: Depth=1
	s_wait_dscnt 0x0
	v_add_f64_e32 v[15:16], v[4:5], v[2:3]
	ds_cmpstore_rtn_b64 v[15:16], v14, v[15:16], v[4:5]
	s_wait_dscnt 0x0
	v_cmp_eq_u64_e32 vcc_lo, v[15:16], v[4:5]
	v_dual_mov_b32 v4, v15 :: v_dual_mov_b32 v5, v16
	s_wait_alu 0xfffe
	s_or_b32 s0, vcc_lo, s0
	s_wait_alu 0xfffe
	s_and_not1_b32 exec_lo, exec_lo, s0
	s_cbranch_execnz .LBB95_102
; %bb.103:
	s_or_b32 exec_lo, exec_lo, s0
.LBB95_104:
	s_wait_alu 0xfffe
	s_or_b32 exec_lo, exec_lo, s7
	v_lshlrev_b64_e32 v[2:3], 3, v[12:13]
	ds_load_b64 v[4:5], v18 offset:2048
	v_dual_mov_b32 v12, s30 :: v_dual_mov_b32 v13, s31
	v_add_co_u32 v2, vcc_lo, s14, v2
	s_wait_alu 0xfffd
	v_add_co_ci_u32_e64 v3, null, s15, v3, vcc_lo
	v_cmp_ne_u32_e32 vcc_lo, 1, v19
	global_load_b64 v[2:3], v[2:3], off
	s_and_b32 vcc_lo, exec_lo, vcc_lo
	s_wait_loadcnt_dscnt 0x0
	v_mul_f64_e32 v[14:15], v[2:3], v[4:5]
	v_add_co_u32 v2, s0, 0x200, v8
	s_wait_alu 0xf1ff
	v_add_co_ci_u32_e64 v3, null, 0, v9, s0
	v_dual_mov_b32 v4, s16 :: v_dual_mov_b32 v5, s17
	ds_store_b64 v18, v[14:15] offset:2048
	s_wait_alu 0xfffe
	s_cbranch_vccnz .LBB95_108
; %bb.105:
	v_dual_mov_b32 v4, s16 :: v_dual_mov_b32 v5, s17
	v_dual_mov_b32 v12, s30 :: v_dual_mov_b32 v13, s31
	s_mov_b32 s7, 0
.LBB95_106:                             ; =>This Inner Loop Header: Depth=1
	s_delay_alu instid0(VALU_DEP_1) | instskip(SKIP_1) | instid1(VALU_DEP_2)
	v_add_co_u32 v8, vcc_lo, v12, v4
	s_wait_alu 0xfffd
	v_add_co_ci_u32_e64 v9, null, v13, v5, vcc_lo
	s_delay_alu instid0(VALU_DEP_1) | instskip(NEXT) | instid1(VALU_DEP_1)
	v_lshrrev_b32_e32 v14, 31, v9
	v_add_co_u32 v8, vcc_lo, v8, v14
	s_wait_alu 0xfffd
	v_add_co_ci_u32_e64 v9, null, 0, v9, vcc_lo
	s_delay_alu instid0(VALU_DEP_1) | instskip(NEXT) | instid1(VALU_DEP_1)
	v_ashrrev_i64 v[8:9], 1, v[8:9]
	v_lshlrev_b64_e32 v[14:15], 3, v[8:9]
	s_delay_alu instid0(VALU_DEP_1) | instskip(SKIP_1) | instid1(VALU_DEP_2)
	v_add_co_u32 v14, vcc_lo, s8, v14
	s_wait_alu 0xfffd
	v_add_co_ci_u32_e64 v15, null, s9, v15, vcc_lo
	global_load_b64 v[14:15], v[14:15], off
	s_wait_loadcnt 0x0
	v_sub_co_u32 v14, vcc_lo, v14, s24
	s_wait_alu 0xfffd
	v_subrev_co_ci_u32_e64 v15, null, 0, v15, vcc_lo
	s_delay_alu instid0(VALU_DEP_1) | instskip(SKIP_3) | instid1(VALU_DEP_2)
	v_cmp_lt_i64_e32 vcc_lo, v[2:3], v[14:15]
	s_wait_alu 0xfffd
	v_dual_cndmask_b32 v13, v13, v9 :: v_dual_cndmask_b32 v12, v12, v8
	v_dual_cndmask_b32 v5, v9, v5 :: v_dual_cndmask_b32 v4, v8, v4
	v_add_co_u32 v8, vcc_lo, v12, -1
	s_wait_alu 0xfffd
	s_delay_alu instid0(VALU_DEP_3) | instskip(NEXT) | instid1(VALU_DEP_3)
	v_add_co_ci_u32_e64 v9, null, -1, v13, vcc_lo
	v_cmp_ge_i64_e32 vcc_lo, v[4:5], v[12:13]
	s_delay_alu instid0(VALU_DEP_2)
	v_cmp_eq_u64_e64 s0, v[4:5], v[8:9]
	s_or_b32 s0, vcc_lo, s0
	s_wait_alu 0xfffe
	s_and_b32 s0, exec_lo, s0
	s_wait_alu 0xfffe
	s_or_b32 s7, s0, s7
	s_wait_alu 0xfffe
	s_and_not1_b32 exec_lo, exec_lo, s7
	s_cbranch_execnz .LBB95_106
; %bb.107:
	s_or_b32 exec_lo, exec_lo, s7
.LBB95_108:
	v_lshlrev_b64_e32 v[8:9], 3, v[12:13]
	s_mov_b32 s7, exec_lo
	s_delay_alu instid0(VALU_DEP_1) | instskip(SKIP_1) | instid1(VALU_DEP_2)
	v_add_co_u32 v8, vcc_lo, s8, v8
	s_wait_alu 0xfffd
	v_add_co_ci_u32_e64 v9, null, s9, v9, vcc_lo
	global_load_b64 v[8:9], v[8:9], off
	global_load_b32 v14, v[10:11], off offset:2048
	s_wait_loadcnt 0x1
	v_sub_co_u32 v8, vcc_lo, v8, s24
	s_wait_alu 0xfffd
	v_subrev_co_ci_u32_e64 v9, null, 0, v9, vcc_lo
	s_delay_alu instid0(VALU_DEP_1) | instskip(SKIP_2) | instid1(VALU_DEP_1)
	v_cmp_lt_i64_e32 vcc_lo, v[2:3], v[8:9]
	s_wait_loadcnt 0x0
	v_subrev_nc_u32_e32 v8, s24, v14
	v_ashrrev_i32_e32 v9, 31, v8
	s_wait_alu 0xfffd
	v_dual_cndmask_b32 v5, v13, v5 :: v_dual_cndmask_b32 v4, v12, v4
	s_delay_alu instid0(VALU_DEP_1)
	v_cmpx_ne_u64_e64 v[4:5], v[8:9]
	s_cbranch_execz .LBB95_118
; %bb.109:
	s_load_b64 s[34:35], s[10:11], 0x0
	s_wait_kmcnt 0x0
	s_sub_nc_u64 s[34:35], s[34:35], s[24:25]
	s_wait_alu 0xfffe
	v_cmp_gt_i64_e32 vcc_lo, s[34:35], v[2:3]
	s_and_b32 exec_lo, exec_lo, vcc_lo
	s_cbranch_execz .LBB95_118
; %bb.110:
	v_cmp_gt_i64_e32 vcc_lo, s[12:13], v[8:9]
	v_cmp_le_i64_e64 s0, s[18:19], v[8:9]
	v_lshlrev_b64_e32 v[2:3], 3, v[4:5]
	s_or_b32 s0, vcc_lo, s0
	s_wait_alu 0xfffe
	s_and_saveexec_b32 s29, s0
	s_delay_alu instid0(SALU_CYCLE_1)
	s_xor_b32 s0, exec_lo, s29
	s_cbranch_execz .LBB95_114
; %bb.111:
	v_add_co_u32 v2, vcc_lo, s14, v2
	s_wait_alu 0xfffd
	v_add_co_ci_u32_e64 v3, null, s15, v3, vcc_lo
	v_lshlrev_b64_e32 v[4:5], 3, v[8:9]
	ds_load_b64 v[14:15], v18 offset:4096
	s_mov_b32 s29, 0
	global_load_b64 v[2:3], v[2:3], off
	v_add_co_u32 v12, vcc_lo, s20, v4
	s_wait_alu 0xfffd
	v_add_co_ci_u32_e64 v13, null, s21, v5, vcc_lo
	global_load_b64 v[4:5], v[12:13], off
	s_wait_loadcnt_dscnt 0x100
	v_mul_f64_e32 v[14:15], v[14:15], v[2:3]
.LBB95_112:                             ; =>This Inner Loop Header: Depth=1
	s_wait_loadcnt 0x0
	s_delay_alu instid0(VALU_DEP_1)
	v_add_f64_e32 v[2:3], v[4:5], v[14:15]
	global_atomic_cmpswap_b64 v[2:3], v[12:13], v[2:5], off th:TH_ATOMIC_RETURN scope:SCOPE_DEV
	s_wait_loadcnt 0x0
	v_cmp_eq_u64_e32 vcc_lo, v[2:3], v[4:5]
	v_dual_mov_b32 v5, v3 :: v_dual_mov_b32 v4, v2
	s_or_b32 s29, vcc_lo, s29
	s_delay_alu instid0(SALU_CYCLE_1)
	s_and_not1_b32 exec_lo, exec_lo, s29
	s_cbranch_execnz .LBB95_112
; %bb.113:
	s_or_b32 exec_lo, exec_lo, s29
                                        ; implicit-def: $vgpr2_vgpr3
.LBB95_114:
	s_wait_alu 0xfffe
	s_and_not1_saveexec_b32 s0, s0
	s_cbranch_execz .LBB95_118
; %bb.115:
	v_add_co_u32 v2, vcc_lo, s14, v2
	s_wait_alu 0xfffd
	v_add_co_ci_u32_e64 v3, null, s15, v3, vcc_lo
	ds_load_b64 v[4:5], v18 offset:4096
	s_mov_b32 s0, 0
	global_load_b64 v[2:3], v[2:3], off
	s_wait_loadcnt_dscnt 0x0
	v_mul_f64_e32 v[2:3], v[4:5], v[2:3]
	v_subrev_nc_u32_e32 v4, s12, v8
	s_delay_alu instid0(VALU_DEP_1)
	v_lshl_add_u32 v12, v4, 3, 0x2000
	ds_load_b64 v[4:5], v12
.LBB95_116:                             ; =>This Inner Loop Header: Depth=1
	s_wait_dscnt 0x0
	v_add_f64_e32 v[13:14], v[4:5], v[2:3]
	ds_cmpstore_rtn_b64 v[13:14], v12, v[13:14], v[4:5]
	s_wait_dscnt 0x0
	v_cmp_eq_u64_e32 vcc_lo, v[13:14], v[4:5]
	v_dual_mov_b32 v4, v13 :: v_dual_mov_b32 v5, v14
	s_wait_alu 0xfffe
	s_or_b32 s0, vcc_lo, s0
	s_wait_alu 0xfffe
	s_and_not1_b32 exec_lo, exec_lo, s0
	s_cbranch_execnz .LBB95_116
; %bb.117:
	s_or_b32 exec_lo, exec_lo, s0
.LBB95_118:
	s_wait_alu 0xfffe
	s_or_b32 exec_lo, exec_lo, s7
	v_lshlrev_b64_e32 v[2:3], 3, v[8:9]
	ds_load_b64 v[4:5], v18 offset:4096
	v_add_co_u32 v2, vcc_lo, s14, v2
	s_wait_alu 0xfffd
	v_add_co_ci_u32_e64 v3, null, s15, v3, vcc_lo
	v_cmp_ne_u32_e32 vcc_lo, 1, v19
	global_load_b64 v[2:3], v[2:3], off
	s_and_b32 vcc_lo, exec_lo, vcc_lo
	s_wait_loadcnt_dscnt 0x0
	v_mul_f64_e32 v[8:9], v[2:3], v[4:5]
	v_dual_mov_b32 v2, s16 :: v_dual_mov_b32 v3, s17
	v_dual_mov_b32 v4, s30 :: v_dual_mov_b32 v5, s31
	ds_store_b64 v18, v[8:9] offset:4096
	s_wait_alu 0xfffe
	s_cbranch_vccnz .LBB95_122
; %bb.119:
	v_dual_mov_b32 v2, s16 :: v_dual_mov_b32 v3, s17
	v_dual_mov_b32 v4, s30 :: v_dual_mov_b32 v5, s31
	s_mov_b32 s7, 0
.LBB95_120:                             ; =>This Inner Loop Header: Depth=1
	s_delay_alu instid0(VALU_DEP_1) | instskip(SKIP_1) | instid1(VALU_DEP_2)
	v_add_co_u32 v8, vcc_lo, v4, v2
	s_wait_alu 0xfffd
	v_add_co_ci_u32_e64 v9, null, v5, v3, vcc_lo
	s_delay_alu instid0(VALU_DEP_1) | instskip(NEXT) | instid1(VALU_DEP_1)
	v_lshrrev_b32_e32 v12, 31, v9
	v_add_co_u32 v8, vcc_lo, v8, v12
	s_wait_alu 0xfffd
	v_add_co_ci_u32_e64 v9, null, 0, v9, vcc_lo
	s_delay_alu instid0(VALU_DEP_1) | instskip(NEXT) | instid1(VALU_DEP_1)
	v_ashrrev_i64 v[8:9], 1, v[8:9]
	v_lshlrev_b64_e32 v[12:13], 3, v[8:9]
	s_delay_alu instid0(VALU_DEP_1) | instskip(SKIP_1) | instid1(VALU_DEP_2)
	v_add_co_u32 v12, vcc_lo, s8, v12
	s_wait_alu 0xfffd
	v_add_co_ci_u32_e64 v13, null, s9, v13, vcc_lo
	global_load_b64 v[12:13], v[12:13], off
	s_wait_loadcnt 0x0
	v_sub_co_u32 v12, vcc_lo, v12, s24
	s_wait_alu 0xfffd
	v_subrev_co_ci_u32_e64 v13, null, 0, v13, vcc_lo
	s_delay_alu instid0(VALU_DEP_1) | instskip(SKIP_3) | instid1(VALU_DEP_2)
	v_cmp_lt_i64_e32 vcc_lo, v[6:7], v[12:13]
	s_wait_alu 0xfffd
	v_dual_cndmask_b32 v5, v5, v9 :: v_dual_cndmask_b32 v4, v4, v8
	v_dual_cndmask_b32 v3, v9, v3 :: v_dual_cndmask_b32 v2, v8, v2
	v_add_co_u32 v8, vcc_lo, v4, -1
	s_wait_alu 0xfffd
	s_delay_alu instid0(VALU_DEP_3) | instskip(NEXT) | instid1(VALU_DEP_3)
	v_add_co_ci_u32_e64 v9, null, -1, v5, vcc_lo
	v_cmp_ge_i64_e32 vcc_lo, v[2:3], v[4:5]
	s_delay_alu instid0(VALU_DEP_2)
	v_cmp_eq_u64_e64 s0, v[2:3], v[8:9]
	s_or_b32 s0, vcc_lo, s0
	s_wait_alu 0xfffe
	s_and_b32 s0, exec_lo, s0
	s_wait_alu 0xfffe
	s_or_b32 s7, s0, s7
	s_wait_alu 0xfffe
	s_and_not1_b32 exec_lo, exec_lo, s7
	s_cbranch_execnz .LBB95_120
; %bb.121:
	s_or_b32 exec_lo, exec_lo, s7
.LBB95_122:
	v_lshlrev_b64_e32 v[8:9], 3, v[4:5]
	s_mov_b32 s7, exec_lo
	s_delay_alu instid0(VALU_DEP_1) | instskip(SKIP_1) | instid1(VALU_DEP_2)
	v_add_co_u32 v8, vcc_lo, s8, v8
	s_wait_alu 0xfffd
	v_add_co_ci_u32_e64 v9, null, s9, v9, vcc_lo
	global_load_b64 v[8:9], v[8:9], off
	global_load_b32 v10, v[10:11], off offset:3072
	s_wait_loadcnt 0x1
	v_sub_co_u32 v8, vcc_lo, v8, s24
	s_wait_alu 0xfffd
	v_subrev_co_ci_u32_e64 v9, null, 0, v9, vcc_lo
	s_delay_alu instid0(VALU_DEP_1) | instskip(SKIP_2) | instid1(VALU_DEP_1)
	v_cmp_lt_i64_e32 vcc_lo, v[6:7], v[8:9]
	s_wait_loadcnt 0x0
	v_subrev_nc_u32_e32 v8, s24, v10
	v_ashrrev_i32_e32 v9, 31, v8
	s_wait_alu 0xfffd
	v_dual_cndmask_b32 v3, v5, v3 :: v_dual_cndmask_b32 v2, v4, v2
	s_delay_alu instid0(VALU_DEP_1)
	v_cmpx_ne_u64_e64 v[2:3], v[8:9]
	s_cbranch_execz .LBB95_132
; %bb.123:
	s_load_b64 s[10:11], s[10:11], 0x0
	s_wait_kmcnt 0x0
	s_sub_nc_u64 s[10:11], s[10:11], s[24:25]
	s_wait_alu 0xfffe
	v_cmp_gt_i64_e32 vcc_lo, s[10:11], v[6:7]
	s_and_b32 exec_lo, exec_lo, vcc_lo
	s_cbranch_execz .LBB95_132
; %bb.124:
	v_cmp_gt_i64_e32 vcc_lo, s[12:13], v[8:9]
	v_cmp_le_i64_e64 s0, s[18:19], v[8:9]
	v_lshlrev_b64_e32 v[2:3], 3, v[2:3]
	s_or_b32 s0, vcc_lo, s0
	s_wait_alu 0xfffe
	s_and_saveexec_b32 s10, s0
	s_wait_alu 0xfffe
	s_xor_b32 s0, exec_lo, s10
	s_cbranch_execz .LBB95_128
; %bb.125:
	v_add_co_u32 v2, vcc_lo, s14, v2
	s_wait_alu 0xfffd
	v_add_co_ci_u32_e64 v3, null, s15, v3, vcc_lo
	v_lshlrev_b64_e32 v[4:5], 3, v[8:9]
	ds_load_b64 v[10:11], v18 offset:6144
	s_mov_b32 s10, 0
	global_load_b64 v[2:3], v[2:3], off
	v_add_co_u32 v6, vcc_lo, s20, v4
	s_wait_alu 0xfffd
	v_add_co_ci_u32_e64 v7, null, s21, v5, vcc_lo
	global_load_b64 v[4:5], v[6:7], off
	s_wait_loadcnt_dscnt 0x100
	v_mul_f64_e32 v[10:11], v[10:11], v[2:3]
.LBB95_126:                             ; =>This Inner Loop Header: Depth=1
	s_wait_loadcnt 0x0
	s_delay_alu instid0(VALU_DEP_1)
	v_add_f64_e32 v[2:3], v[4:5], v[10:11]
	global_atomic_cmpswap_b64 v[2:3], v[6:7], v[2:5], off th:TH_ATOMIC_RETURN scope:SCOPE_DEV
	s_wait_loadcnt 0x0
	v_cmp_eq_u64_e32 vcc_lo, v[2:3], v[4:5]
	v_dual_mov_b32 v5, v3 :: v_dual_mov_b32 v4, v2
	s_wait_alu 0xfffe
	s_or_b32 s10, vcc_lo, s10
	s_wait_alu 0xfffe
	s_and_not1_b32 exec_lo, exec_lo, s10
	s_cbranch_execnz .LBB95_126
; %bb.127:
	s_or_b32 exec_lo, exec_lo, s10
                                        ; implicit-def: $vgpr2_vgpr3
.LBB95_128:
	s_wait_alu 0xfffe
	s_and_not1_saveexec_b32 s0, s0
	s_cbranch_execz .LBB95_132
; %bb.129:
	v_add_co_u32 v2, vcc_lo, s14, v2
	s_wait_alu 0xfffd
	v_add_co_ci_u32_e64 v3, null, s15, v3, vcc_lo
	ds_load_b64 v[4:5], v18 offset:6144
	s_mov_b32 s0, 0
	global_load_b64 v[2:3], v[2:3], off
	s_wait_loadcnt_dscnt 0x0
	v_mul_f64_e32 v[2:3], v[4:5], v[2:3]
	v_subrev_nc_u32_e32 v4, s12, v8
	s_delay_alu instid0(VALU_DEP_1)
	v_lshl_add_u32 v6, v4, 3, 0x2000
	ds_load_b64 v[4:5], v6
.LBB95_130:                             ; =>This Inner Loop Header: Depth=1
	s_wait_dscnt 0x0
	v_add_f64_e32 v[10:11], v[4:5], v[2:3]
	ds_cmpstore_rtn_b64 v[10:11], v6, v[10:11], v[4:5]
	s_wait_dscnt 0x0
	v_cmp_eq_u64_e32 vcc_lo, v[10:11], v[4:5]
	v_dual_mov_b32 v4, v10 :: v_dual_mov_b32 v5, v11
	s_wait_alu 0xfffe
	s_or_b32 s0, vcc_lo, s0
	s_wait_alu 0xfffe
	s_and_not1_b32 exec_lo, exec_lo, s0
	s_cbranch_execnz .LBB95_130
; %bb.131:
	s_or_b32 exec_lo, exec_lo, s0
.LBB95_132:
	s_wait_alu 0xfffe
	s_or_b32 exec_lo, exec_lo, s7
	v_lshlrev_b64_e32 v[2:3], 3, v[8:9]
	ds_load_b64 v[4:5], v18 offset:6144
	v_add_co_u32 v2, vcc_lo, s14, v2
	s_wait_alu 0xfffd
	v_add_co_ci_u32_e64 v3, null, s15, v3, vcc_lo
	global_load_b64 v[2:3], v[2:3], off
	s_wait_loadcnt_dscnt 0x0
	v_mul_f64_e32 v[2:3], v[2:3], v[4:5]
	ds_store_b64 v18, v[2:3] offset:6144
.LBB95_133:
	s_wait_alu 0xfffe
	s_or_b32 exec_lo, exec_lo, s1
	v_cmp_lt_i64_e64 s0, s[18:19], s[2:3]
	s_wait_loadcnt_dscnt 0x0
	s_barrier_signal -1
	s_barrier_wait -1
	global_inv scope:SCOPE_SE
	s_and_b32 s0, s0, exec_lo
	s_cselect_b32 s1, s19, s3
	s_cselect_b32 s0, s18, s2
	s_wait_alu 0xfffe
	s_sub_nc_u64 s[2:3], s[0:1], s[22:23]
	s_mov_b32 s1, exec_lo
	s_wait_alu 0xfffe
	v_cmpx_gt_i64_e64 s[2:3], v[0:1]
	s_cbranch_execz .LBB95_138
; %bb.134:
	v_dual_mov_b32 v7, v1 :: v_dual_mov_b32 v6, v0
	s_lshl_b64 s[10:11], s[12:13], 3
	s_mov_b32 s7, 0
	s_wait_alu 0xfffe
	s_add_nc_u64 s[10:11], s[20:21], s[10:11]
.LBB95_135:                             ; =>This Loop Header: Depth=1
                                        ;     Child Loop BB95_136 Depth 2
	v_lshlrev_b64_e32 v[2:3], 3, v[6:7]
	s_mov_b32 s12, 0
	s_wait_alu 0xfffe
	s_delay_alu instid0(VALU_DEP_1) | instskip(SKIP_1) | instid1(VALU_DEP_2)
	v_add_co_u32 v8, vcc_lo, s10, v2
	s_wait_alu 0xfffd
	v_add_co_ci_u32_e64 v9, null, s11, v3, vcc_lo
	v_lshl_add_u32 v2, v6, 3, 0x2000
	global_load_b64 v[4:5], v[8:9], off
	ds_load_b64 v[10:11], v2
.LBB95_136:                             ;   Parent Loop BB95_135 Depth=1
                                        ; =>  This Inner Loop Header: Depth=2
	s_wait_loadcnt_dscnt 0x0
	v_add_f64_e32 v[2:3], v[4:5], v[10:11]
	global_atomic_cmpswap_b64 v[2:3], v[8:9], v[2:5], off th:TH_ATOMIC_RETURN scope:SCOPE_DEV
	s_wait_loadcnt 0x0
	v_cmp_eq_u64_e32 vcc_lo, v[2:3], v[4:5]
	v_dual_mov_b32 v5, v3 :: v_dual_mov_b32 v4, v2
	s_or_b32 s12, vcc_lo, s12
	s_wait_alu 0xfffe
	s_and_not1_b32 exec_lo, exec_lo, s12
	s_cbranch_execnz .LBB95_136
; %bb.137:                              ;   in Loop: Header=BB95_135 Depth=1
	s_or_b32 exec_lo, exec_lo, s12
	v_add_co_u32 v6, vcc_lo, 0x100, v6
	s_wait_alu 0xfffd
	v_add_co_ci_u32_e64 v7, null, 0, v7, vcc_lo
	s_delay_alu instid0(VALU_DEP_1)
	v_cmp_le_i64_e32 vcc_lo, s[2:3], v[6:7]
	s_or_b32 s7, vcc_lo, s7
	s_wait_alu 0xfffe
	s_and_not1_b32 exec_lo, exec_lo, s7
	s_cbranch_execnz .LBB95_135
.LBB95_138:
	s_or_b32 exec_lo, exec_lo, s1
	s_add_co_i32 s1, s28, -1
	v_add_co_u32 v6, s7, s16, v0
	s_wait_alu 0xfffe
	s_ashr_i32 s3, s1, 1
	v_add_co_ci_u32_e64 v7, null, s17, 0, s7
	s_wait_alu 0xfffe
	s_or_b32 s1, s3, s1
	s_wait_loadcnt 0x0
	s_wait_alu 0xfffe
	s_ashr_i32 s3, s1, 2
	s_barrier_signal -1
	s_wait_alu 0xfffe
	s_or_b32 s1, s3, s1
	s_barrier_wait -1
	s_wait_alu 0xfffe
	s_ashr_i32 s3, s1, 4
	global_inv scope:SCOPE_SE
	s_wait_alu 0xfffe
	s_or_b32 s1, s3, s1
	s_wait_alu 0xfffe
	s_ashr_i32 s3, s1, 8
	s_wait_alu 0xfffe
	s_or_b32 s1, s3, s1
	s_wait_alu 0xfffe
	s_ashr_i32 s3, s1, 16
	s_wait_alu 0xfffe
	s_or_b32 s3, s3, s1
	s_mov_b32 s1, -1
	s_wait_alu 0xfffe
	s_add_co_i32 s3, s3, 1
	s_wait_alu 0xfffe
	s_ashr_i32 s10, s3, 1
	s_wait_alu 0xfffe
	s_cmp_gt_i32 s10, 1
	s_cbranch_scc1 .LBB95_149
; %bb.139:
	s_mov_b32 s1, exec_lo
	v_cmpx_gt_i64_e64 s[18:19], v[6:7]
	s_cbranch_execz .LBB95_148
; %bb.140:
	s_sub_co_i32 s0, s0, s18
	v_dual_mov_b32 v9, v7 :: v_dual_mov_b32 v8, v6
	s_lshl_b32 s7, s4, 3
	s_wait_alu 0xfffe
	s_lshl_b32 s0, s0, 3
	s_mov_b32 s3, 0
	s_wait_alu 0xfffe
	s_addk_co_i32 s0, 0x2000
	s_sub_co_i32 s7, 0, s7
.LBB95_141:                             ; =>This Loop Header: Depth=1
                                        ;     Child Loop BB95_143 Depth 2
                                        ;     Child Loop BB95_146 Depth 2
	v_lshlrev_b64_e32 v[10:11], 3, v[8:9]
	v_mov_b32_e32 v12, 0
	v_mov_b32_e32 v13, 0
	s_mov_b32 s11, exec_lo
	s_delay_alu instid0(VALU_DEP_3)
	v_add_co_u32 v2, vcc_lo, s8, v10
	s_wait_alu 0xfffd
	v_add_co_ci_u32_e64 v3, null, s9, v11, vcc_lo
	global_load_b128 v[2:5], v[2:3], off
	s_wait_loadcnt 0x0
	v_cmpx_lt_i64_e64 v[2:3], v[4:5]
	s_cbranch_execz .LBB95_145
; %bb.142:                              ;   in Loop: Header=BB95_141 Depth=1
	v_sub_co_u32 v4, vcc_lo, v4, s4
	s_wait_alu 0xfffd
	v_subrev_co_ci_u32_e64 v5, null, s5, v5, vcc_lo
	v_sub_co_u32 v14, vcc_lo, v2, s4
	v_mov_b32_e32 v12, 0
	s_wait_alu 0xfffd
	v_subrev_co_ci_u32_e64 v15, null, s5, v3, vcc_lo
	v_mov_b32_e32 v13, 0
	s_wait_alu 0xfffe
	v_lshl_add_u32 v2, v2, 3, s7
	s_mov_b32 s12, 0
.LBB95_143:                             ;   Parent Loop BB95_141 Depth=1
                                        ; =>  This Inner Loop Header: Depth=2
	ds_load_b64 v[16:17], v2
	v_add_co_u32 v14, vcc_lo, v14, 1
	s_wait_alu 0xfffd
	v_add_co_ci_u32_e64 v15, null, 0, v15, vcc_lo
	v_add_nc_u32_e32 v2, 8, v2
	s_delay_alu instid0(VALU_DEP_2)
	v_cmp_ge_i64_e32 vcc_lo, v[14:15], v[4:5]
	s_wait_alu 0xfffe
	s_or_b32 s12, vcc_lo, s12
	s_wait_dscnt 0x0
	v_add_f64_e32 v[12:13], v[12:13], v[16:17]
	s_wait_alu 0xfffe
	s_and_not1_b32 exec_lo, exec_lo, s12
	s_cbranch_execnz .LBB95_143
; %bb.144:                              ;   in Loop: Header=BB95_141 Depth=1
	s_or_b32 exec_lo, exec_lo, s12
.LBB95_145:                             ;   in Loop: Header=BB95_141 Depth=1
	s_wait_alu 0xfffe
	s_or_b32 exec_lo, exec_lo, s11
	v_add_co_u32 v10, vcc_lo, s20, v10
	s_wait_alu 0xfffd
	v_add_co_ci_u32_e64 v11, null, s21, v11, vcc_lo
	v_lshl_add_u32 v2, v8, 3, s0
	s_mov_b32 s11, 0
	global_load_b64 v[4:5], v[10:11], off
	ds_load_b64 v[2:3], v2
	s_wait_dscnt 0x0
	v_add_f64_e32 v[12:13], v[12:13], v[2:3]
.LBB95_146:                             ;   Parent Loop BB95_141 Depth=1
                                        ; =>  This Inner Loop Header: Depth=2
	s_wait_loadcnt 0x0
	s_delay_alu instid0(VALU_DEP_1)
	v_add_f64_e32 v[2:3], v[4:5], v[12:13]
	global_atomic_cmpswap_b64 v[2:3], v[10:11], v[2:5], off th:TH_ATOMIC_RETURN scope:SCOPE_DEV
	s_wait_loadcnt 0x0
	v_cmp_eq_u64_e32 vcc_lo, v[2:3], v[4:5]
	v_dual_mov_b32 v5, v3 :: v_dual_mov_b32 v4, v2
	s_wait_alu 0xfffe
	s_or_b32 s11, vcc_lo, s11
	s_wait_alu 0xfffe
	s_and_not1_b32 exec_lo, exec_lo, s11
	s_cbranch_execnz .LBB95_146
; %bb.147:                              ;   in Loop: Header=BB95_141 Depth=1
	s_or_b32 exec_lo, exec_lo, s11
	v_add_co_u32 v8, vcc_lo, v8, s6
	s_wait_alu 0xfffd
	v_add_co_ci_u32_e64 v9, null, 0, v9, vcc_lo
	s_delay_alu instid0(VALU_DEP_1)
	v_cmp_le_i64_e32 vcc_lo, s[18:19], v[8:9]
	s_or_b32 s3, vcc_lo, s3
	s_wait_alu 0xfffe
	s_and_not1_b32 exec_lo, exec_lo, s3
	s_cbranch_execnz .LBB95_141
.LBB95_148:
	s_wait_alu 0xfffe
	s_or_b32 exec_lo, exec_lo, s1
	s_mov_b32 s1, 0
.LBB95_149:
	s_wait_alu 0xfffe
	s_and_not1_b32 vcc_lo, exec_lo, s1
	s_wait_alu 0xfffe
	s_cbranch_vccnz .LBB95_167
; %bb.150:
	s_cvt_f32_u32 s0, s10
	s_sub_co_i32 s1, 0, s10
	s_mov_b32 s11, 0
	s_wait_alu 0xfffe
	v_rcp_iflag_f32_e32 v2, s0
	s_delay_alu instid0(TRANS32_DEP_1) | instskip(SKIP_2) | instid1(SALU_CYCLE_2)
	v_readfirstlane_b32 s0, v2
	s_mul_f32 s0, s0, 0x4f7ffffe
	s_wait_alu 0xfffe
	s_cvt_u32_f32 s0, s0
	s_wait_alu 0xfffe
	s_delay_alu instid0(SALU_CYCLE_2)
	s_mul_i32 s3, s1, s0
	s_wait_alu 0xfffe
	s_mul_hi_u32 s3, s0, s3
	s_wait_alu 0xfffe
	s_add_co_i32 s0, s0, s3
	s_wait_alu 0xfffe
	v_mul_hi_u32 v2, v0, s0
	s_mov_b32 s0, exec_lo
	s_delay_alu instid0(VALU_DEP_1) | instskip(NEXT) | instid1(VALU_DEP_1)
	v_mul_lo_u32 v3, v2, s10
	v_sub_nc_u32_e32 v3, v0, v3
	s_delay_alu instid0(VALU_DEP_1) | instskip(SKIP_2) | instid1(VALU_DEP_2)
	v_subrev_nc_u32_e32 v5, s10, v3
	v_cmp_le_u32_e32 vcc_lo, s10, v3
	s_wait_alu 0xfffd
	v_dual_cndmask_b32 v3, v3, v5 :: v_dual_add_nc_u32 v4, 1, v2
	s_delay_alu instid0(VALU_DEP_1) | instskip(NEXT) | instid1(VALU_DEP_2)
	v_dual_cndmask_b32 v2, v2, v4 :: v_dual_mov_b32 v5, 0
	v_cmp_le_u32_e32 vcc_lo, s10, v3
	s_delay_alu instid0(VALU_DEP_2) | instskip(SKIP_1) | instid1(VALU_DEP_1)
	v_add_nc_u32_e32 v4, 1, v2
	s_wait_alu 0xfffd
	v_cndmask_b32_e32 v4, v2, v4, vcc_lo
	s_delay_alu instid0(VALU_DEP_1) | instskip(NEXT) | instid1(VALU_DEP_1)
	v_lshlrev_b64_e32 v[2:3], 3, v[4:5]
	v_add_co_u32 v2, vcc_lo, s26, v2
	s_wait_alu 0xfffd
	s_delay_alu instid0(VALU_DEP_2)
	v_add_co_ci_u32_e64 v3, null, s27, v3, vcc_lo
	global_load_b128 v[8:11], v[2:3], off
	s_wait_loadcnt 0x0
	v_sub_co_u32 v2, vcc_lo, v8, s4
	s_wait_alu 0xfffd
	v_subrev_co_ci_u32_e64 v3, null, s5, v9, vcc_lo
	v_sub_co_u32 v14, vcc_lo, v10, s4
	s_wait_alu 0xfffd
	v_subrev_co_ci_u32_e64 v15, null, s5, v11, vcc_lo
	v_mov_b32_e32 v8, v5
	s_delay_alu instid0(VALU_DEP_3) | instskip(SKIP_1) | instid1(VALU_DEP_3)
	v_sub_co_u32 v12, vcc_lo, v14, v2
	s_wait_alu 0xfffd
	v_sub_co_ci_u32_e64 v9, null, v15, v3, vcc_lo
                                        ; implicit-def: $vgpr10_vgpr11
	s_delay_alu instid0(VALU_DEP_1)
	v_cmpx_ne_u64_e32 0, v[8:9]
	s_wait_alu 0xfffe
	s_xor_b32 s3, exec_lo, s0
	s_cbranch_execz .LBB95_152
; %bb.151:
	s_add_nc_u64 s[4:5], s[10:11], 0
	s_mov_b32 s13, s11
	s_wait_alu 0xfffe
	s_xor_b64 s[4:5], s[4:5], 0
	s_mov_b32 s17, s11
	s_wait_alu 0xfffe
	s_cvt_f32_u32 s0, s4
	s_cvt_f32_u32 s6, s5
	s_sub_nc_u64 s[8:9], 0, s[4:5]
	v_ashrrev_i32_e32 v16, 31, v9
	s_wait_alu 0xfffe
	s_fmamk_f32 s0, s6, 0x4f800000, s0
	s_delay_alu instid0(VALU_DEP_1) | instskip(SKIP_1) | instid1(SALU_CYCLE_1)
	v_add_co_u32 v8, vcc_lo, v12, v16
	s_wait_alu 0xfffe
	v_s_rcp_f32 s0, s0
	s_wait_alu 0xfffd
	v_add_co_ci_u32_e64 v9, null, v9, v16, vcc_lo
	v_xor_b32_e32 v17, v8, v16
	s_delay_alu instid0(VALU_DEP_2) | instskip(NEXT) | instid1(TRANS32_DEP_1)
	v_xor_b32_e32 v19, v9, v16
	s_mul_f32 s0, s0, 0x5f7ffffc
	s_wait_alu 0xfffe
	s_delay_alu instid0(SALU_CYCLE_2) | instskip(SKIP_1) | instid1(SALU_CYCLE_2)
	s_mul_f32 s6, s0, 0x2f800000
	s_wait_alu 0xfffe
	s_trunc_f32 s6, s6
	s_wait_alu 0xfffe
	s_delay_alu instid0(SALU_CYCLE_2) | instskip(SKIP_2) | instid1(SALU_CYCLE_1)
	s_fmamk_f32 s0, s6, 0xcf800000, s0
	s_cvt_u32_f32 s7, s6
	s_wait_alu 0xfffe
	s_cvt_u32_f32 s6, s0
	s_wait_alu 0xfffe
	s_delay_alu instid0(SALU_CYCLE_2)
	s_mul_u64 s[14:15], s[8:9], s[6:7]
	s_wait_alu 0xfffe
	s_mul_hi_u32 s19, s6, s15
	s_mul_i32 s18, s6, s15
	s_mul_hi_u32 s12, s6, s14
	s_mul_i32 s16, s7, s14
	s_wait_alu 0xfffe
	s_add_nc_u64 s[12:13], s[12:13], s[18:19]
	s_mul_hi_u32 s0, s7, s14
	s_mul_hi_u32 s24, s7, s15
	s_wait_alu 0xfffe
	s_add_co_u32 s12, s12, s16
	s_add_co_ci_u32 s16, s13, s0
	s_mul_i32 s14, s7, s15
	s_add_co_ci_u32 s15, s24, 0
	s_wait_alu 0xfffe
	s_add_nc_u64 s[12:13], s[16:17], s[14:15]
	s_mov_b32 s15, s11
	s_wait_alu 0xfffe
	s_add_co_u32 s6, s6, s12
	s_cselect_b32 s0, -1, 0
	s_wait_alu 0xfffe
	s_cmp_lg_u32 s0, 0
	s_add_co_ci_u32 s7, s7, s13
	s_mov_b32 s13, s11
	s_wait_alu 0xfffe
	s_mul_u64 s[8:9], s[8:9], s[6:7]
	s_wait_alu 0xfffe
	s_mul_hi_u32 s17, s6, s9
	s_mul_i32 s16, s6, s9
	s_mul_hi_u32 s14, s6, s8
	s_mul_i32 s11, s7, s8
	s_wait_alu 0xfffe
	s_add_nc_u64 s[14:15], s[14:15], s[16:17]
	s_mul_hi_u32 s0, s7, s8
	s_mul_hi_u32 s18, s7, s9
	s_mul_i32 s8, s7, s9
	s_wait_alu 0xfffe
	s_add_co_u32 s9, s14, s11
	s_add_co_ci_u32 s12, s15, s0
	s_add_co_ci_u32 s9, s18, 0
	s_wait_alu 0xfffe
	s_add_nc_u64 s[8:9], s[12:13], s[8:9]
	s_wait_alu 0xfffe
	s_add_co_u32 s0, s6, s8
	s_cselect_b32 s6, -1, 0
	s_wait_alu 0xfffe
	v_mul_hi_u32 v20, v17, s0
	s_cmp_lg_u32 s6, 0
	v_mad_co_u64_u32 v[10:11], null, v19, s0, 0
	s_add_co_ci_u32 s6, s7, s9
	s_wait_alu 0xfffe
	v_mad_co_u64_u32 v[8:9], null, v17, s6, 0
	v_mad_co_u64_u32 v[12:13], null, v19, s6, 0
	s_delay_alu instid0(VALU_DEP_2) | instskip(SKIP_1) | instid1(VALU_DEP_3)
	v_add_co_u32 v8, vcc_lo, v20, v8
	s_wait_alu 0xfffd
	v_add_co_ci_u32_e64 v9, null, 0, v9, vcc_lo
	s_delay_alu instid0(VALU_DEP_2) | instskip(SKIP_1) | instid1(VALU_DEP_2)
	v_add_co_u32 v8, vcc_lo, v8, v10
	s_wait_alu 0xfffd
	v_add_co_ci_u32_e32 v8, vcc_lo, v9, v11, vcc_lo
	s_wait_alu 0xfffd
	v_add_co_ci_u32_e32 v9, vcc_lo, 0, v13, vcc_lo
	s_delay_alu instid0(VALU_DEP_2) | instskip(SKIP_1) | instid1(VALU_DEP_2)
	v_add_co_u32 v10, vcc_lo, v8, v12
	s_wait_alu 0xfffd
	v_add_co_ci_u32_e64 v11, null, 0, v9, vcc_lo
	s_delay_alu instid0(VALU_DEP_2) | instskip(SKIP_1) | instid1(VALU_DEP_3)
	v_mul_lo_u32 v12, s5, v10
	v_mad_co_u64_u32 v[8:9], null, s4, v10, 0
	v_mul_lo_u32 v13, s4, v11
	s_delay_alu instid0(VALU_DEP_2) | instskip(NEXT) | instid1(VALU_DEP_2)
	v_sub_co_u32 v8, vcc_lo, v17, v8
	v_add3_u32 v9, v9, v13, v12
	v_add_co_u32 v13, s0, v10, 2
	s_wait_alu 0xf1ff
	v_add_co_ci_u32_e64 v17, null, 0, v11, s0
	s_delay_alu instid0(VALU_DEP_3) | instskip(SKIP_3) | instid1(VALU_DEP_3)
	v_sub_nc_u32_e32 v12, v19, v9
	v_sub_co_u32 v20, s0, v8, s4
	s_wait_alu 0xfffd
	v_sub_co_ci_u32_e64 v9, null, v19, v9, vcc_lo
	v_subrev_co_ci_u32_e64 v12, null, s5, v12, vcc_lo
	s_delay_alu instid0(VALU_DEP_3) | instskip(SKIP_1) | instid1(VALU_DEP_2)
	v_cmp_le_u32_e32 vcc_lo, s4, v20
	s_wait_alu 0xf1ff
	v_subrev_co_ci_u32_e64 v12, null, 0, v12, s0
	s_wait_alu 0xfffd
	v_cndmask_b32_e64 v19, 0, -1, vcc_lo
	v_cmp_eq_u32_e64 s0, s5, v9
	s_delay_alu instid0(VALU_DEP_3)
	v_cmp_le_u32_e32 vcc_lo, s5, v12
	s_wait_alu 0xfffd
	v_cndmask_b32_e64 v20, 0, -1, vcc_lo
	v_cmp_le_u32_e32 vcc_lo, s4, v8
	s_wait_alu 0xfffd
	v_cndmask_b32_e64 v8, 0, -1, vcc_lo
	;; [unrolled: 3-line block ×3, first 2 shown]
	v_cmp_eq_u32_e32 vcc_lo, s5, v12
	s_wait_alu 0xf1ff
	s_delay_alu instid0(VALU_DEP_2)
	v_cndmask_b32_e64 v8, v21, v8, s0
	s_wait_alu 0xfffd
	v_cndmask_b32_e32 v12, v20, v19, vcc_lo
	v_add_co_u32 v19, vcc_lo, v10, 1
	s_wait_alu 0xfffd
	v_add_co_ci_u32_e64 v20, null, 0, v11, vcc_lo
	s_delay_alu instid0(VALU_DEP_3) | instskip(SKIP_1) | instid1(VALU_DEP_2)
	v_cmp_ne_u32_e32 vcc_lo, 0, v12
	s_wait_alu 0xfffd
	v_cndmask_b32_e32 v9, v20, v17, vcc_lo
	v_cndmask_b32_e32 v12, v19, v13, vcc_lo
	v_cmp_ne_u32_e32 vcc_lo, 0, v8
	s_wait_alu 0xfffd
	s_delay_alu instid0(VALU_DEP_2) | instskip(NEXT) | instid1(VALU_DEP_1)
	v_dual_cndmask_b32 v8, v11, v9 :: v_dual_cndmask_b32 v9, v10, v12
                                        ; implicit-def: $vgpr12
	v_xor_b32_e32 v8, v8, v16
	s_delay_alu instid0(VALU_DEP_2) | instskip(NEXT) | instid1(VALU_DEP_1)
	v_xor_b32_e32 v9, v9, v16
	v_sub_co_u32 v10, vcc_lo, v9, v16
	s_wait_alu 0xfffd
	s_delay_alu instid0(VALU_DEP_3)
	v_sub_co_ci_u32_e64 v11, null, v8, v16, vcc_lo
.LBB95_152:
	s_wait_alu 0xfffe
	s_and_not1_saveexec_b32 s0, s3
	s_cbranch_execz .LBB95_154
; %bb.153:
	v_cvt_f32_u32_e32 v8, s10
	s_delay_alu instid0(VALU_DEP_1) | instskip(NEXT) | instid1(TRANS32_DEP_1)
	v_rcp_iflag_f32_e32 v8, v8
	v_mul_f32_e32 v8, 0x4f7ffffe, v8
	s_delay_alu instid0(VALU_DEP_1) | instskip(NEXT) | instid1(VALU_DEP_1)
	v_cvt_u32_f32_e32 v8, v8
	v_mul_lo_u32 v9, s1, v8
	s_delay_alu instid0(VALU_DEP_1) | instskip(NEXT) | instid1(VALU_DEP_1)
	v_mul_hi_u32 v9, v8, v9
	v_add_nc_u32_e32 v8, v8, v9
	s_delay_alu instid0(VALU_DEP_1) | instskip(NEXT) | instid1(VALU_DEP_1)
	v_mul_hi_u32 v8, v12, v8
	v_mul_lo_u32 v9, v8, s10
	v_add_nc_u32_e32 v10, 1, v8
	s_delay_alu instid0(VALU_DEP_2) | instskip(NEXT) | instid1(VALU_DEP_1)
	v_sub_nc_u32_e32 v9, v12, v9
	v_subrev_nc_u32_e32 v11, s10, v9
	v_cmp_le_u32_e32 vcc_lo, s10, v9
	s_wait_alu 0xfffd
	s_delay_alu instid0(VALU_DEP_2) | instskip(SKIP_1) | instid1(VALU_DEP_2)
	v_dual_cndmask_b32 v9, v9, v11 :: v_dual_cndmask_b32 v8, v8, v10
	v_mov_b32_e32 v11, 0
	v_cmp_le_u32_e32 vcc_lo, s10, v9
	s_delay_alu instid0(VALU_DEP_3) | instskip(SKIP_1) | instid1(VALU_DEP_1)
	v_add_nc_u32_e32 v10, 1, v8
	s_wait_alu 0xfffd
	v_cndmask_b32_e32 v10, v8, v10, vcc_lo
.LBB95_154:
	s_wait_alu 0xfffe
	s_or_b32 exec_lo, exec_lo, s0
	v_cmp_gt_i64_e32 vcc_lo, s[22:23], v[4:5]
	v_mov_b32_e32 v4, 0
	v_mov_b32_e32 v5, 0
	s_and_saveexec_b32 s0, vcc_lo
	s_cbranch_execz .LBB95_162
; %bb.155:
	s_add_co_i32 s1, s10, -1
	v_mov_b32_e32 v4, 0
	s_wait_alu 0xfffe
	v_dual_mov_b32 v5, 0 :: v_dual_and_b32 v8, s1, v0
	s_mov_b32 s1, exec_lo
	s_delay_alu instid0(VALU_DEP_1)
	v_lshlrev_b32_e32 v16, 3, v8
	v_cmpx_lt_i64_e32 0, v[10:11]
	s_cbranch_execz .LBB95_159
; %bb.156:
	v_dual_mov_b32 v4, 0 :: v_dual_mov_b32 v13, v11
	s_delay_alu instid0(VALU_DEP_3)
	v_lshl_add_u32 v9, v2, 3, v16
	v_dual_mov_b32 v5, 0 :: v_dual_mov_b32 v12, v10
	s_lshl_b32 s4, s10, 3
	s_mov_b32 s3, 0
.LBB95_157:                             ; =>This Inner Loop Header: Depth=1
	ds_load_b64 v[19:20], v9
	v_add_co_u32 v12, vcc_lo, v12, -1
	s_wait_alu 0xfffd
	v_add_co_ci_u32_e64 v13, null, -1, v13, vcc_lo
	s_wait_alu 0xfffe
	v_add_nc_u32_e32 v9, s4, v9
	s_delay_alu instid0(VALU_DEP_2)
	v_cmp_eq_u64_e32 vcc_lo, 0, v[12:13]
	s_or_b32 s3, vcc_lo, s3
	s_wait_dscnt 0x0
	v_add_f64_e32 v[4:5], v[4:5], v[19:20]
	s_wait_alu 0xfffe
	s_and_not1_b32 exec_lo, exec_lo, s3
	s_cbranch_execnz .LBB95_157
; %bb.158:
	s_or_b32 exec_lo, exec_lo, s3
.LBB95_159:
	s_wait_alu 0xfffe
	s_or_b32 exec_lo, exec_lo, s1
	v_mad_co_u64_u32 v[2:3], null, v10, s10, v[2:3]
	v_mov_b32_e32 v9, 0
	s_mov_b32 s1, exec_lo
	s_delay_alu instid0(VALU_DEP_2) | instskip(NEXT) | instid1(VALU_DEP_3)
	v_mad_co_u64_u32 v[10:11], null, v11, s10, v[3:4]
	v_sub_co_u32 v11, vcc_lo, v14, v2
	s_wait_alu 0xfffd
	s_delay_alu instid0(VALU_DEP_2) | instskip(NEXT) | instid1(VALU_DEP_1)
	v_sub_co_ci_u32_e64 v12, null, v15, v10, vcc_lo
	v_cmpx_gt_i64_e64 v[11:12], v[8:9]
	s_cbranch_execz .LBB95_161
; %bb.160:
	v_lshl_add_u32 v2, v2, 3, v16
	ds_load_b64 v[2:3], v2
	s_wait_dscnt 0x0
	v_add_f64_e32 v[4:5], v[4:5], v[2:3]
.LBB95_161:
	s_wait_alu 0xfffe
	s_or_b32 exec_lo, exec_lo, s1
.LBB95_162:
	s_wait_alu 0xfffe
	s_or_b32 exec_lo, exec_lo, s0
	v_cmp_gt_i64_e32 vcc_lo, s[22:23], v[0:1]
	s_barrier_signal -1
	s_barrier_wait -1
	global_inv scope:SCOPE_SE
	ds_store_b64 v18, v[4:5]
	s_wait_loadcnt_dscnt 0x0
	s_barrier_signal -1
	s_barrier_wait -1
	global_inv scope:SCOPE_SE
	s_and_b32 exec_lo, exec_lo, vcc_lo
	s_cbranch_execz .LBB95_167
; %bb.163:
	v_mul_lo_u32 v1, s10, v0
	v_mov_b32_e32 v4, 0
	v_mov_b32_e32 v5, 0
	s_delay_alu instid0(VALU_DEP_3)
	v_lshlrev_b32_e32 v1, 3, v1
.LBB95_164:                             ; =>This Inner Loop Header: Depth=1
	ds_load_b64 v[2:3], v1
	v_add_nc_u32_e32 v1, 8, v1
	s_add_co_i32 s10, s10, -1
	s_wait_alu 0xfffe
	s_cmp_eq_u32 s10, 0
	s_wait_dscnt 0x0
	v_add_f64_e32 v[4:5], v[4:5], v[2:3]
	s_cbranch_scc0 .LBB95_164
; %bb.165:
	v_lshlrev_b64_e32 v[1:2], 3, v[6:7]
	v_lshlrev_b32_e32 v0, 3, v0
	s_lshl_b32 s0, s2, 3
	s_wait_alu 0xfffe
	s_delay_alu instid0(VALU_DEP_1) | instskip(NEXT) | instid1(VALU_DEP_3)
	v_add3_u32 v0, 0x2000, s0, v0
	v_add_co_u32 v6, vcc_lo, s20, v1
	s_wait_alu 0xfffd
	v_add_co_ci_u32_e64 v7, null, s21, v2, vcc_lo
	ds_load_b64 v[0:1], v0
	s_mov_b32 s0, 0
	global_load_b64 v[2:3], v[6:7], off
	s_wait_dscnt 0x0
	v_add_f64_e32 v[4:5], v[4:5], v[0:1]
.LBB95_166:                             ; =>This Inner Loop Header: Depth=1
	s_wait_loadcnt 0x0
	s_delay_alu instid0(VALU_DEP_1)
	v_add_f64_e32 v[0:1], v[2:3], v[4:5]
	global_atomic_cmpswap_b64 v[0:1], v[6:7], v[0:3], off th:TH_ATOMIC_RETURN scope:SCOPE_DEV
	s_wait_loadcnt 0x0
	v_cmp_eq_u64_e32 vcc_lo, v[0:1], v[2:3]
	v_dual_mov_b32 v3, v1 :: v_dual_mov_b32 v2, v0
	s_wait_alu 0xfffe
	s_or_b32 s0, vcc_lo, s0
	s_wait_alu 0xfffe
	s_and_not1_b32 exec_lo, exec_lo, s0
	s_cbranch_execnz .LBB95_166
.LBB95_167:
	s_endpgm
	.section	.rodata,"a",@progbits
	.p2align	6, 0x0
	.amdhsa_kernel _ZN9rocsparseL27csrmvn_symm_adaptive_kernelIlifdddEEvbT_S1_PKS1_NS_24const_host_device_scalarIT4_EES3_PKT0_PKT1_PKT2_S6_PT3_21rocsparse_index_base_b
		.amdhsa_group_segment_fixed_size 8192
		.amdhsa_private_segment_fixed_size 0
		.amdhsa_kernarg_size 352
		.amdhsa_user_sgpr_count 2
		.amdhsa_user_sgpr_dispatch_ptr 0
		.amdhsa_user_sgpr_queue_ptr 0
		.amdhsa_user_sgpr_kernarg_segment_ptr 1
		.amdhsa_user_sgpr_dispatch_id 0
		.amdhsa_user_sgpr_private_segment_size 0
		.amdhsa_wavefront_size32 1
		.amdhsa_uses_dynamic_stack 0
		.amdhsa_enable_private_segment 0
		.amdhsa_system_sgpr_workgroup_id_x 1
		.amdhsa_system_sgpr_workgroup_id_y 0
		.amdhsa_system_sgpr_workgroup_id_z 0
		.amdhsa_system_sgpr_workgroup_info 0
		.amdhsa_system_vgpr_workitem_id 0
		.amdhsa_next_free_vgpr 22
		.amdhsa_next_free_sgpr 42
		.amdhsa_reserve_vcc 1
		.amdhsa_float_round_mode_32 0
		.amdhsa_float_round_mode_16_64 0
		.amdhsa_float_denorm_mode_32 3
		.amdhsa_float_denorm_mode_16_64 3
		.amdhsa_fp16_overflow 0
		.amdhsa_workgroup_processor_mode 1
		.amdhsa_memory_ordered 1
		.amdhsa_forward_progress 1
		.amdhsa_inst_pref_size 83
		.amdhsa_round_robin_scheduling 0
		.amdhsa_exception_fp_ieee_invalid_op 0
		.amdhsa_exception_fp_denorm_src 0
		.amdhsa_exception_fp_ieee_div_zero 0
		.amdhsa_exception_fp_ieee_overflow 0
		.amdhsa_exception_fp_ieee_underflow 0
		.amdhsa_exception_fp_ieee_inexact 0
		.amdhsa_exception_int_div_zero 0
	.end_amdhsa_kernel
	.section	.text._ZN9rocsparseL27csrmvn_symm_adaptive_kernelIlifdddEEvbT_S1_PKS1_NS_24const_host_device_scalarIT4_EES3_PKT0_PKT1_PKT2_S6_PT3_21rocsparse_index_base_b,"axG",@progbits,_ZN9rocsparseL27csrmvn_symm_adaptive_kernelIlifdddEEvbT_S1_PKS1_NS_24const_host_device_scalarIT4_EES3_PKT0_PKT1_PKT2_S6_PT3_21rocsparse_index_base_b,comdat
.Lfunc_end95:
	.size	_ZN9rocsparseL27csrmvn_symm_adaptive_kernelIlifdddEEvbT_S1_PKS1_NS_24const_host_device_scalarIT4_EES3_PKT0_PKT1_PKT2_S6_PT3_21rocsparse_index_base_b, .Lfunc_end95-_ZN9rocsparseL27csrmvn_symm_adaptive_kernelIlifdddEEvbT_S1_PKS1_NS_24const_host_device_scalarIT4_EES3_PKT0_PKT1_PKT2_S6_PT3_21rocsparse_index_base_b
                                        ; -- End function
	.set _ZN9rocsparseL27csrmvn_symm_adaptive_kernelIlifdddEEvbT_S1_PKS1_NS_24const_host_device_scalarIT4_EES3_PKT0_PKT1_PKT2_S6_PT3_21rocsparse_index_base_b.num_vgpr, 22
	.set _ZN9rocsparseL27csrmvn_symm_adaptive_kernelIlifdddEEvbT_S1_PKS1_NS_24const_host_device_scalarIT4_EES3_PKT0_PKT1_PKT2_S6_PT3_21rocsparse_index_base_b.num_agpr, 0
	.set _ZN9rocsparseL27csrmvn_symm_adaptive_kernelIlifdddEEvbT_S1_PKS1_NS_24const_host_device_scalarIT4_EES3_PKT0_PKT1_PKT2_S6_PT3_21rocsparse_index_base_b.numbered_sgpr, 42
	.set _ZN9rocsparseL27csrmvn_symm_adaptive_kernelIlifdddEEvbT_S1_PKS1_NS_24const_host_device_scalarIT4_EES3_PKT0_PKT1_PKT2_S6_PT3_21rocsparse_index_base_b.num_named_barrier, 0
	.set _ZN9rocsparseL27csrmvn_symm_adaptive_kernelIlifdddEEvbT_S1_PKS1_NS_24const_host_device_scalarIT4_EES3_PKT0_PKT1_PKT2_S6_PT3_21rocsparse_index_base_b.private_seg_size, 0
	.set _ZN9rocsparseL27csrmvn_symm_adaptive_kernelIlifdddEEvbT_S1_PKS1_NS_24const_host_device_scalarIT4_EES3_PKT0_PKT1_PKT2_S6_PT3_21rocsparse_index_base_b.uses_vcc, 1
	.set _ZN9rocsparseL27csrmvn_symm_adaptive_kernelIlifdddEEvbT_S1_PKS1_NS_24const_host_device_scalarIT4_EES3_PKT0_PKT1_PKT2_S6_PT3_21rocsparse_index_base_b.uses_flat_scratch, 0
	.set _ZN9rocsparseL27csrmvn_symm_adaptive_kernelIlifdddEEvbT_S1_PKS1_NS_24const_host_device_scalarIT4_EES3_PKT0_PKT1_PKT2_S6_PT3_21rocsparse_index_base_b.has_dyn_sized_stack, 0
	.set _ZN9rocsparseL27csrmvn_symm_adaptive_kernelIlifdddEEvbT_S1_PKS1_NS_24const_host_device_scalarIT4_EES3_PKT0_PKT1_PKT2_S6_PT3_21rocsparse_index_base_b.has_recursion, 0
	.set _ZN9rocsparseL27csrmvn_symm_adaptive_kernelIlifdddEEvbT_S1_PKS1_NS_24const_host_device_scalarIT4_EES3_PKT0_PKT1_PKT2_S6_PT3_21rocsparse_index_base_b.has_indirect_call, 0
	.section	.AMDGPU.csdata,"",@progbits
; Kernel info:
; codeLenInByte = 10520
; TotalNumSgprs: 44
; NumVgprs: 22
; ScratchSize: 0
; MemoryBound: 0
; FloatMode: 240
; IeeeMode: 1
; LDSByteSize: 8192 bytes/workgroup (compile time only)
; SGPRBlocks: 0
; VGPRBlocks: 2
; NumSGPRsForWavesPerEU: 44
; NumVGPRsForWavesPerEU: 22
; Occupancy: 16
; WaveLimiterHint : 1
; COMPUTE_PGM_RSRC2:SCRATCH_EN: 0
; COMPUTE_PGM_RSRC2:USER_SGPR: 2
; COMPUTE_PGM_RSRC2:TRAP_HANDLER: 0
; COMPUTE_PGM_RSRC2:TGID_X_EN: 1
; COMPUTE_PGM_RSRC2:TGID_Y_EN: 0
; COMPUTE_PGM_RSRC2:TGID_Z_EN: 0
; COMPUTE_PGM_RSRC2:TIDIG_COMP_CNT: 0
	.section	.text._ZL33csrmvn_symm_large_adaptive_kernelIlifdddEvbT_PKS0_N9rocsparse24const_host_device_scalarIT4_EES2_PKT0_PKT1_PKT2_S6_PT3_21rocsparse_index_base_b,"axG",@progbits,_ZL33csrmvn_symm_large_adaptive_kernelIlifdddEvbT_PKS0_N9rocsparse24const_host_device_scalarIT4_EES2_PKT0_PKT1_PKT2_S6_PT3_21rocsparse_index_base_b,comdat
	.globl	_ZL33csrmvn_symm_large_adaptive_kernelIlifdddEvbT_PKS0_N9rocsparse24const_host_device_scalarIT4_EES2_PKT0_PKT1_PKT2_S6_PT3_21rocsparse_index_base_b ; -- Begin function _ZL33csrmvn_symm_large_adaptive_kernelIlifdddEvbT_PKS0_N9rocsparse24const_host_device_scalarIT4_EES2_PKT0_PKT1_PKT2_S6_PT3_21rocsparse_index_base_b
	.p2align	8
	.type	_ZL33csrmvn_symm_large_adaptive_kernelIlifdddEvbT_PKS0_N9rocsparse24const_host_device_scalarIT4_EES2_PKT0_PKT1_PKT2_S6_PT3_21rocsparse_index_base_b,@function
_ZL33csrmvn_symm_large_adaptive_kernelIlifdddEvbT_PKS0_N9rocsparse24const_host_device_scalarIT4_EES2_PKT0_PKT1_PKT2_S6_PT3_21rocsparse_index_base_b: ; @_ZL33csrmvn_symm_large_adaptive_kernelIlifdddEvbT_PKS0_N9rocsparse24const_host_device_scalarIT4_EES2_PKT0_PKT1_PKT2_S6_PT3_21rocsparse_index_base_b
; %bb.0:
	s_clause 0x2
	s_load_b64 s[6:7], s[0:1], 0x50
	s_load_b64 s[4:5], s[0:1], 0x18
	;; [unrolled: 1-line block ×3, first 2 shown]
	s_wait_kmcnt 0x0
	s_bitcmp1_b32 s7, 0
	v_dual_mov_b32 v4, s4 :: v_dual_mov_b32 v5, s5
	s_cselect_b32 s7, -1, 0
	s_delay_alu instid0(SALU_CYCLE_1)
	s_and_b32 vcc_lo, exec_lo, s7
	s_xor_b32 s7, s7, -1
	s_cbranch_vccnz .LBB96_2
; %bb.1:
	v_dual_mov_b32 v1, s4 :: v_dual_mov_b32 v2, s5
	flat_load_b64 v[4:5], v[1:2]
.LBB96_2:
	v_dual_mov_b32 v1, s2 :: v_dual_mov_b32 v2, s3
	s_and_not1_b32 vcc_lo, exec_lo, s7
	s_cbranch_vccnz .LBB96_4
; %bb.3:
	v_dual_mov_b32 v1, s2 :: v_dual_mov_b32 v2, s3
	flat_load_b64 v[1:2], v[1:2]
.LBB96_4:
	s_wait_loadcnt_dscnt 0x0
	v_cmp_neq_f64_e32 vcc_lo, 0, v[4:5]
	v_cmp_neq_f64_e64 s2, 1.0, v[1:2]
	s_or_b32 s2, vcc_lo, s2
	s_wait_alu 0xfffe
	s_and_saveexec_b32 s3, s2
	s_cbranch_execz .LBB96_37
; %bb.5:
	s_load_b64 s[4:5], s[0:1], 0x10
	s_mov_b32 s22, 0
	s_mov_b32 s2, ttmp9
	s_mov_b32 s23, s22
	v_dual_mov_b32 v1, s22 :: v_dual_lshlrev_b32 v10, 3, v0
	s_ashr_i32 s3, ttmp9, 31
	v_dual_mov_b32 v2, s23 :: v_dual_mov_b32 v13, 0
	s_wait_alu 0xfffe
	s_lshl_b64 s[2:3], s[2:3], 3
	ds_store_2addr_stride64_b64 v10, v[1:2], v[1:2] offset1:4
	ds_store_2addr_stride64_b64 v10, v[1:2], v[1:2] offset0:8 offset1:12
	s_wait_dscnt 0x0
	s_barrier_signal -1
	s_barrier_wait -1
	global_inv scope:SCOPE_SE
	s_mov_b32 s7, s22
	s_wait_kmcnt 0x0
	s_wait_alu 0xfffe
	s_add_nc_u64 s[2:3], s[4:5], s[2:3]
	s_load_b128 s[16:19], s[2:3], 0x0
	s_clause 0x1
	s_load_b256 s[8:15], s[0:1], 0x20
	s_load_b64 s[20:21], s[0:1], 0x48
	v_sub_co_u32 v11, s1, v0, s6
	s_delay_alu instid0(VALU_DEP_1)
	v_sub_co_ci_u32_e64 v12, null, 0, 0, s1
	s_wait_kmcnt 0x0
	v_cmp_ge_i64_e64 s0, s[16:17], s[18:19]
	s_and_b32 vcc_lo, exec_lo, s0
	s_cbranch_vccnz .LBB96_27
; %bb.6:
	v_cmp_gt_u32_e64 s0, 64, v0
	v_cmp_gt_u32_e64 s1, 16, v0
	;; [unrolled: 1-line block ×3, first 2 shown]
	v_cmp_eq_u32_e64 s3, 0, v0
	s_mov_b64 s[22:23], s[16:17]
	s_branch .LBB96_8
.LBB96_7:                               ;   in Loop: Header=BB96_8 Depth=1
	s_wait_alu 0xfffe
	s_or_b32 exec_lo, exec_lo, s26
	s_add_nc_u64 s[22:23], s[22:23], 1
	s_wait_alu 0xfffe
	v_cmp_ge_i64_e64 s4, s[22:23], s[18:19]
	s_and_b32 vcc_lo, exec_lo, s4
	s_wait_alu 0xfffe
	s_cbranch_vccnz .LBB96_27
.LBB96_8:                               ; =>This Loop Header: Depth=1
                                        ;     Child Loop BB96_10 Depth 2
                                        ;     Child Loop BB96_22 Depth 2
	;; [unrolled: 1-line block ×3, first 2 shown]
	s_wait_alu 0xfffe
	s_lshl_b64 s[24:25], s[22:23], 3
	v_mov_b32_e32 v2, 0
	s_add_nc_u64 s[4:5], s[8:9], s[24:25]
	v_mov_b32_e32 v3, 0
	s_load_b128 s[28:31], s[4:5], 0x0
	s_mov_b32 s5, exec_lo
	s_wait_kmcnt 0x0
	v_add_co_u32 v0, vcc_lo, s28, v11
	s_wait_alu 0xfffd
	v_add_co_ci_u32_e64 v1, null, s29, v12, vcc_lo
	s_sub_nc_u64 s[26:27], s[30:31], s[6:7]
	s_wait_alu 0xfffe
	v_cmpx_gt_i64_e64 s[26:27], v[0:1]
	s_cbranch_execz .LBB96_12
; %bb.9:                                ;   in Loop: Header=BB96_8 Depth=1
	v_lshlrev_b64_e32 v[8:9], 2, v[0:1]
	v_mov_b32_e32 v2, 0
	v_mov_b32_e32 v3, 0
	s_mov_b32 s28, 0
	s_delay_alu instid0(VALU_DEP_3)
	v_add_co_u32 v6, vcc_lo, s10, v8
	s_wait_alu 0xfffd
	v_add_co_ci_u32_e64 v7, null, s11, v9, vcc_lo
	v_add_co_u32 v8, vcc_lo, s12, v8
	s_wait_alu 0xfffd
	v_add_co_ci_u32_e64 v9, null, s13, v9, vcc_lo
.LBB96_10:                              ;   Parent Loop BB96_8 Depth=1
                                        ; =>  This Inner Loop Header: Depth=2
	global_load_b32 v14, v[6:7], off
	global_load_b32 v16, v[8:9], off
	v_add_co_u32 v8, s4, 0x400, v8
	s_wait_alu 0xf1ff
	v_add_co_ci_u32_e64 v9, null, 0, v9, s4
	s_wait_loadcnt 0x1
	v_subrev_nc_u32_e32 v14, s6, v14
	s_wait_loadcnt 0x0
	v_cvt_f64_f32_e32 v[16:17], v16
	s_delay_alu instid0(VALU_DEP_2) | instskip(NEXT) | instid1(VALU_DEP_1)
	v_ashrrev_i32_e32 v15, 31, v14
	v_lshlrev_b64_e32 v[14:15], 3, v[14:15]
	s_delay_alu instid0(VALU_DEP_1) | instskip(SKIP_1) | instid1(VALU_DEP_2)
	v_add_co_u32 v14, vcc_lo, s14, v14
	s_wait_alu 0xfffd
	v_add_co_ci_u32_e64 v15, null, s15, v15, vcc_lo
	v_add_co_u32 v0, vcc_lo, 0x100, v0
	s_wait_alu 0xfffd
	v_add_co_ci_u32_e64 v1, null, 0, v1, vcc_lo
	global_load_b64 v[14:15], v[14:15], off
	v_add_co_u32 v6, vcc_lo, 0x400, v6
	s_wait_alu 0xfffd
	v_add_co_ci_u32_e64 v7, null, 0, v7, vcc_lo
	v_cmp_le_i64_e32 vcc_lo, s[26:27], v[0:1]
	s_wait_alu 0xfffe
	s_or_b32 s28, vcc_lo, s28
	s_wait_loadcnt 0x0
	v_fma_f64 v[2:3], v[16:17], v[14:15], v[2:3]
	s_wait_alu 0xfffe
	s_and_not1_b32 exec_lo, exec_lo, s28
	s_cbranch_execnz .LBB96_10
; %bb.11:                               ;   in Loop: Header=BB96_8 Depth=1
	s_or_b32 exec_lo, exec_lo, s28
.LBB96_12:                              ;   in Loop: Header=BB96_8 Depth=1
	s_wait_alu 0xfffe
	s_or_b32 exec_lo, exec_lo, s5
	ds_store_b64 v10, v[2:3]
	s_wait_loadcnt_dscnt 0x0
	s_barrier_signal -1
	s_barrier_wait -1
	global_inv scope:SCOPE_SE
	ds_load_2addr_stride64_b64 v[0:3], v10 offset1:4
	ds_load_2addr_stride64_b64 v[6:9], v10 offset0:8 offset1:12
	s_wait_dscnt 0x0
	v_add_f64_e32 v[2:3], v[2:3], v[6:7]
	s_delay_alu instid0(VALU_DEP_1) | instskip(NEXT) | instid1(VALU_DEP_1)
	v_add_f64_e32 v[2:3], v[2:3], v[8:9]
	v_add_f64_e32 v[0:1], v[0:1], v[2:3]
	ds_store_b64 v10, v[0:1]
	s_wait_loadcnt_dscnt 0x0
	s_barrier_signal -1
	s_barrier_wait -1
	global_inv scope:SCOPE_SE
	s_and_saveexec_b32 s4, s0
	s_cbranch_execz .LBB96_14
; %bb.13:                               ;   in Loop: Header=BB96_8 Depth=1
	ds_load_2addr_stride64_b64 v[0:3], v10 offset1:1
	ds_load_2addr_stride64_b64 v[6:9], v10 offset0:2 offset1:3
	s_wait_dscnt 0x0
	v_add_f64_e32 v[2:3], v[2:3], v[6:7]
	s_delay_alu instid0(VALU_DEP_1) | instskip(NEXT) | instid1(VALU_DEP_1)
	v_add_f64_e32 v[2:3], v[2:3], v[8:9]
	v_add_f64_e32 v[0:1], v[0:1], v[2:3]
	ds_store_b64 v10, v[0:1]
.LBB96_14:                              ;   in Loop: Header=BB96_8 Depth=1
	s_wait_alu 0xfffe
	s_or_b32 exec_lo, exec_lo, s4
	s_wait_loadcnt_dscnt 0x0
	s_barrier_signal -1
	s_barrier_wait -1
	global_inv scope:SCOPE_SE
	s_and_saveexec_b32 s4, s1
	s_cbranch_execz .LBB96_16
; %bb.15:                               ;   in Loop: Header=BB96_8 Depth=1
	ds_load_2addr_b64 v[0:3], v10 offset1:16
	ds_load_2addr_b64 v[6:9], v10 offset0:32 offset1:48
	s_wait_dscnt 0x0
	v_add_f64_e32 v[2:3], v[2:3], v[6:7]
	s_delay_alu instid0(VALU_DEP_1) | instskip(NEXT) | instid1(VALU_DEP_1)
	v_add_f64_e32 v[2:3], v[2:3], v[8:9]
	v_add_f64_e32 v[0:1], v[0:1], v[2:3]
	ds_store_b64 v10, v[0:1]
.LBB96_16:                              ;   in Loop: Header=BB96_8 Depth=1
	s_wait_alu 0xfffe
	s_or_b32 exec_lo, exec_lo, s4
	s_wait_loadcnt_dscnt 0x0
	s_barrier_signal -1
	s_barrier_wait -1
	global_inv scope:SCOPE_SE
	s_and_saveexec_b32 s4, s2
	s_cbranch_execz .LBB96_18
; %bb.17:                               ;   in Loop: Header=BB96_8 Depth=1
	ds_load_2addr_b64 v[0:3], v10 offset1:4
	ds_load_2addr_b64 v[6:9], v10 offset0:8 offset1:12
	s_wait_dscnt 0x0
	v_add_f64_e32 v[2:3], v[2:3], v[6:7]
	s_delay_alu instid0(VALU_DEP_1) | instskip(NEXT) | instid1(VALU_DEP_1)
	v_add_f64_e32 v[2:3], v[2:3], v[8:9]
	v_add_f64_e32 v[0:1], v[0:1], v[2:3]
	ds_store_b64 v10, v[0:1]
.LBB96_18:                              ;   in Loop: Header=BB96_8 Depth=1
	s_wait_alu 0xfffe
	s_or_b32 exec_lo, exec_lo, s4
	s_wait_loadcnt_dscnt 0x0
	s_barrier_signal -1
	s_barrier_wait -1
	global_inv scope:SCOPE_SE
	s_and_saveexec_b32 s4, s3
	s_cbranch_execz .LBB96_20
; %bb.19:                               ;   in Loop: Header=BB96_8 Depth=1
	ds_load_2addr_b64 v[0:3], v13 offset0:1 offset1:2
	ds_load_b64 v[6:7], v10
	s_wait_dscnt 0x1
	v_add_f64_e32 v[0:1], v[0:1], v[2:3]
	ds_load_b64 v[2:3], v13 offset:24
	s_wait_dscnt 0x0
	v_add_f64_e32 v[0:1], v[0:1], v[2:3]
	s_delay_alu instid0(VALU_DEP_1)
	v_add_f64_e32 v[0:1], v[6:7], v[0:1]
	ds_store_b64 v10, v[0:1]
.LBB96_20:                              ;   in Loop: Header=BB96_8 Depth=1
	s_wait_alu 0xfffe
	s_or_b32 exec_lo, exec_lo, s4
	s_wait_loadcnt_dscnt 0x0
	s_barrier_signal -1
	s_barrier_wait -1
	global_inv scope:SCOPE_SE
	s_and_saveexec_b32 s26, s3
	s_cbranch_execz .LBB96_7
; %bb.21:                               ;   in Loop: Header=BB96_8 Depth=1
	ds_load_b64 v[0:1], v13
	v_mov_b32_e32 v6, 0
	v_bfrev_b32_e32 v7, 1
	s_mov_b32 s4, exec_lo
	s_wait_dscnt 0x0
	v_mul_f64_e32 v[0:1], v[4:5], v[0:1]
.LBB96_22:                              ;   Parent Loop BB96_8 Depth=1
                                        ; =>  This Inner Loop Header: Depth=2
	s_wait_alu 0xfffe
	s_ctz_i32_b32 s5, s4
	s_wait_alu 0xfffe
	s_delay_alu instid0(VALU_DEP_1) | instskip(NEXT) | instid1(VALU_DEP_2)
	v_readlane_b32 s29, v1, s5
	v_readlane_b32 s28, v0, s5
	s_lshl_b32 s5, 1, s5
	s_wait_alu 0xfffe
	s_and_not1_b32 s4, s4, s5
	v_add_f64_e32 v[6:7], s[28:29], v[6:7]
	s_wait_alu 0xfffe
	s_cmp_lg_u32 s4, 0
	s_cbranch_scc1 .LBB96_22
; %bb.23:                               ;   in Loop: Header=BB96_8 Depth=1
	v_mbcnt_lo_u32_b32 v0, exec_lo, 0
	s_mov_b32 s4, exec_lo
	s_delay_alu instid0(VALU_DEP_1)
	v_cmpx_eq_u32_e32 0, v0
	s_wait_alu 0xfffe
	s_xor_b32 s4, exec_lo, s4
	s_cbranch_execz .LBB96_7
; %bb.24:                               ;   in Loop: Header=BB96_8 Depth=1
	s_add_nc_u64 s[4:5], s[20:21], s[24:25]
	s_mov_b32 s24, 0
	global_load_b64 v[2:3], v13, s[4:5]
.LBB96_25:                              ;   Parent Loop BB96_8 Depth=1
                                        ; =>  This Inner Loop Header: Depth=2
	s_wait_loadcnt 0x0
	v_add_f64_e32 v[0:1], v[2:3], v[6:7]
	global_atomic_cmpswap_b64 v[0:1], v13, v[0:3], s[4:5] th:TH_ATOMIC_RETURN scope:SCOPE_DEV
	s_wait_loadcnt 0x0
	v_cmp_eq_u64_e32 vcc_lo, v[0:1], v[2:3]
	v_dual_mov_b32 v3, v1 :: v_dual_mov_b32 v2, v0
	s_or_b32 s24, vcc_lo, s24
	s_delay_alu instid0(SALU_CYCLE_1)
	s_and_not1_b32 exec_lo, exec_lo, s24
	s_cbranch_execnz .LBB96_25
; %bb.26:                               ;   in Loop: Header=BB96_8 Depth=1
	s_or_b32 exec_lo, exec_lo, s24
	s_branch .LBB96_7
.LBB96_27:
	s_lshl_b64 s[0:1], s[16:17], 3
	s_lshl_b64 s[2:3], s[18:19], 3
	s_wait_alu 0xfffe
	s_add_nc_u64 s[0:1], s[8:9], s[0:1]
	s_add_nc_u64 s[2:3], s[8:9], s[2:3]
	s_clause 0x1
	s_load_b64 s[0:1], s[0:1], 0x0
	s_load_b64 s[2:3], s[2:3], 0x0
	s_wait_kmcnt 0x0
	v_add_co_u32 v6, vcc_lo, s0, v11
	s_wait_alu 0xfffd
	v_add_co_ci_u32_e64 v7, null, s1, v12, vcc_lo
	s_sub_nc_u64 s[2:3], s[2:3], s[6:7]
	s_wait_alu 0xfffe
	v_cmp_gt_i64_e32 vcc_lo, s[2:3], v[6:7]
	s_and_b32 exec_lo, exec_lo, vcc_lo
	s_cbranch_execz .LBB96_37
; %bb.28:
	s_add_nc_u64 s[4:5], s[18:19], -1
	s_add_nc_u64 s[0:1], s[18:19], -2
	s_wait_alu 0xfffe
	v_cmp_lt_i64_e64 s7, s[16:17], s[4:5]
	s_cmp_lg_u64 s[16:17], s[0:1]
	s_cselect_b32 s0, -1, 0
	s_wait_alu 0xfffe
	s_and_b32 s1, s7, s0
	s_mov_b32 s7, 0
	s_branch .LBB96_30
.LBB96_29:                              ;   in Loop: Header=BB96_30 Depth=1
	s_wait_alu 0xfffe
	s_or_b32 exec_lo, exec_lo, s0
	v_add_co_u32 v6, vcc_lo, 0x100, v6
	s_wait_alu 0xfffd
	v_add_co_ci_u32_e64 v7, null, 0, v7, vcc_lo
	s_delay_alu instid0(VALU_DEP_1)
	v_cmp_le_i64_e32 vcc_lo, s[2:3], v[6:7]
	s_or_b32 s7, vcc_lo, s7
	s_wait_alu 0xfffe
	s_and_not1_b32 exec_lo, exec_lo, s7
	s_cbranch_execz .LBB96_37
.LBB96_30:                              ; =>This Loop Header: Depth=1
                                        ;     Child Loop BB96_32 Depth 2
                                        ;     Child Loop BB96_36 Depth 2
	v_dual_mov_b32 v0, s16 :: v_dual_mov_b32 v1, s17
	v_dual_mov_b32 v2, s4 :: v_dual_mov_b32 v3, s5
	s_wait_alu 0xfffe
	s_and_not1_b32 vcc_lo, exec_lo, s1
	s_wait_alu 0xfffe
	s_cbranch_vccnz .LBB96_34
; %bb.31:                               ;   in Loop: Header=BB96_30 Depth=1
	v_dual_mov_b32 v0, s16 :: v_dual_mov_b32 v1, s17
	v_dual_mov_b32 v2, s4 :: v_dual_mov_b32 v3, s5
	s_mov_b32 s18, 0
.LBB96_32:                              ;   Parent Loop BB96_30 Depth=1
                                        ; =>  This Inner Loop Header: Depth=2
	s_delay_alu instid0(VALU_DEP_1) | instskip(SKIP_1) | instid1(VALU_DEP_2)
	v_add_co_u32 v8, vcc_lo, v2, v0
	s_wait_alu 0xfffd
	v_add_co_ci_u32_e64 v9, null, v3, v1, vcc_lo
	s_delay_alu instid0(VALU_DEP_1) | instskip(NEXT) | instid1(VALU_DEP_1)
	v_lshrrev_b32_e32 v10, 31, v9
	v_add_co_u32 v8, vcc_lo, v8, v10
	s_wait_alu 0xfffd
	v_add_co_ci_u32_e64 v9, null, 0, v9, vcc_lo
	s_delay_alu instid0(VALU_DEP_1) | instskip(NEXT) | instid1(VALU_DEP_1)
	v_ashrrev_i64 v[8:9], 1, v[8:9]
	v_lshlrev_b64_e32 v[10:11], 3, v[8:9]
	s_delay_alu instid0(VALU_DEP_1) | instskip(SKIP_1) | instid1(VALU_DEP_2)
	v_add_co_u32 v10, vcc_lo, s8, v10
	s_wait_alu 0xfffd
	v_add_co_ci_u32_e64 v11, null, s9, v11, vcc_lo
	global_load_b64 v[10:11], v[10:11], off
	s_wait_loadcnt 0x0
	v_sub_co_u32 v10, vcc_lo, v10, s6
	s_wait_alu 0xfffd
	v_subrev_co_ci_u32_e64 v11, null, 0, v11, vcc_lo
	s_delay_alu instid0(VALU_DEP_1) | instskip(SKIP_3) | instid1(VALU_DEP_2)
	v_cmp_lt_i64_e32 vcc_lo, v[6:7], v[10:11]
	s_wait_alu 0xfffd
	v_dual_cndmask_b32 v3, v3, v9 :: v_dual_cndmask_b32 v2, v2, v8
	v_dual_cndmask_b32 v1, v9, v1 :: v_dual_cndmask_b32 v0, v8, v0
	v_add_co_u32 v8, vcc_lo, v2, -1
	s_wait_alu 0xfffd
	s_delay_alu instid0(VALU_DEP_3) | instskip(NEXT) | instid1(VALU_DEP_3)
	v_add_co_ci_u32_e64 v9, null, -1, v3, vcc_lo
	v_cmp_ge_i64_e32 vcc_lo, v[0:1], v[2:3]
	s_delay_alu instid0(VALU_DEP_2)
	v_cmp_eq_u64_e64 s0, v[0:1], v[8:9]
	s_or_b32 s0, vcc_lo, s0
	s_wait_alu 0xfffe
	s_and_b32 s0, exec_lo, s0
	s_wait_alu 0xfffe
	s_or_b32 s18, s0, s18
	s_wait_alu 0xfffe
	s_and_not1_b32 exec_lo, exec_lo, s18
	s_cbranch_execnz .LBB96_32
; %bb.33:                               ;   in Loop: Header=BB96_30 Depth=1
	s_or_b32 exec_lo, exec_lo, s18
.LBB96_34:                              ;   in Loop: Header=BB96_30 Depth=1
	v_lshlrev_b64_e32 v[8:9], 3, v[2:3]
	v_lshlrev_b64_e32 v[10:11], 2, v[6:7]
	s_mov_b32 s0, exec_lo
	s_delay_alu instid0(VALU_DEP_2) | instskip(SKIP_1) | instid1(VALU_DEP_3)
	v_add_co_u32 v8, vcc_lo, s8, v8
	s_wait_alu 0xfffd
	v_add_co_ci_u32_e64 v9, null, s9, v9, vcc_lo
	s_delay_alu instid0(VALU_DEP_3)
	v_add_co_u32 v12, vcc_lo, s10, v10
	s_wait_alu 0xfffd
	v_add_co_ci_u32_e64 v13, null, s11, v11, vcc_lo
	global_load_b64 v[8:9], v[8:9], off
	global_load_b32 v12, v[12:13], off
	s_wait_loadcnt 0x1
	v_sub_co_u32 v8, vcc_lo, v8, s6
	s_wait_alu 0xfffd
	v_subrev_co_ci_u32_e64 v9, null, 0, v9, vcc_lo
	s_delay_alu instid0(VALU_DEP_1) | instskip(SKIP_2) | instid1(VALU_DEP_1)
	v_cmp_lt_i64_e32 vcc_lo, v[6:7], v[8:9]
	s_wait_loadcnt 0x0
	v_subrev_nc_u32_e32 v8, s6, v12
	v_ashrrev_i32_e32 v9, 31, v8
	s_wait_alu 0xfffd
	v_dual_cndmask_b32 v1, v3, v1 :: v_dual_cndmask_b32 v0, v2, v0
	s_delay_alu instid0(VALU_DEP_1)
	v_cmpx_ne_u64_e64 v[0:1], v[8:9]
	s_cbranch_execz .LBB96_29
; %bb.35:                               ;   in Loop: Header=BB96_30 Depth=1
	v_add_co_u32 v2, vcc_lo, s12, v10
	s_wait_alu 0xfffd
	v_add_co_ci_u32_e64 v3, null, s13, v11, vcc_lo
	v_lshlrev_b64_e32 v[0:1], 3, v[0:1]
	s_mov_b32 s18, 0
	global_load_b32 v10, v[2:3], off
	v_lshlrev_b64_e32 v[2:3], 3, v[8:9]
	v_add_co_u32 v0, vcc_lo, s14, v0
	s_wait_alu 0xfffd
	v_add_co_ci_u32_e64 v1, null, s15, v1, vcc_lo
	s_delay_alu instid0(VALU_DEP_3)
	v_add_co_u32 v8, vcc_lo, s20, v2
	s_wait_alu 0xfffd
	v_add_co_ci_u32_e64 v9, null, s21, v3, vcc_lo
	global_load_b64 v[0:1], v[0:1], off
	global_load_b64 v[2:3], v[8:9], off
	s_wait_loadcnt 0x2
	v_cvt_f64_f32_e32 v[10:11], v10
	s_delay_alu instid0(VALU_DEP_1) | instskip(SKIP_1) | instid1(VALU_DEP_1)
	v_mul_f64_e32 v[10:11], v[4:5], v[10:11]
	s_wait_loadcnt 0x1
	v_mul_f64_e32 v[10:11], v[0:1], v[10:11]
.LBB96_36:                              ;   Parent Loop BB96_30 Depth=1
                                        ; =>  This Inner Loop Header: Depth=2
	s_wait_loadcnt 0x0
	s_delay_alu instid0(VALU_DEP_1)
	v_add_f64_e32 v[0:1], v[2:3], v[10:11]
	global_atomic_cmpswap_b64 v[0:1], v[8:9], v[0:3], off th:TH_ATOMIC_RETURN scope:SCOPE_DEV
	s_wait_loadcnt 0x0
	v_cmp_eq_u64_e32 vcc_lo, v[0:1], v[2:3]
	v_dual_mov_b32 v3, v1 :: v_dual_mov_b32 v2, v0
	s_wait_alu 0xfffe
	s_or_b32 s18, vcc_lo, s18
	s_wait_alu 0xfffe
	s_and_not1_b32 exec_lo, exec_lo, s18
	s_cbranch_execnz .LBB96_36
	s_branch .LBB96_29
.LBB96_37:
	s_endpgm
	.section	.rodata,"a",@progbits
	.p2align	6, 0x0
	.amdhsa_kernel _ZL33csrmvn_symm_large_adaptive_kernelIlifdddEvbT_PKS0_N9rocsparse24const_host_device_scalarIT4_EES2_PKT0_PKT1_PKT2_S6_PT3_21rocsparse_index_base_b
		.amdhsa_group_segment_fixed_size 8192
		.amdhsa_private_segment_fixed_size 0
		.amdhsa_kernarg_size 88
		.amdhsa_user_sgpr_count 2
		.amdhsa_user_sgpr_dispatch_ptr 0
		.amdhsa_user_sgpr_queue_ptr 0
		.amdhsa_user_sgpr_kernarg_segment_ptr 1
		.amdhsa_user_sgpr_dispatch_id 0
		.amdhsa_user_sgpr_private_segment_size 0
		.amdhsa_wavefront_size32 1
		.amdhsa_uses_dynamic_stack 0
		.amdhsa_enable_private_segment 0
		.amdhsa_system_sgpr_workgroup_id_x 1
		.amdhsa_system_sgpr_workgroup_id_y 0
		.amdhsa_system_sgpr_workgroup_id_z 0
		.amdhsa_system_sgpr_workgroup_info 0
		.amdhsa_system_vgpr_workitem_id 0
		.amdhsa_next_free_vgpr 18
		.amdhsa_next_free_sgpr 32
		.amdhsa_reserve_vcc 1
		.amdhsa_float_round_mode_32 0
		.amdhsa_float_round_mode_16_64 0
		.amdhsa_float_denorm_mode_32 3
		.amdhsa_float_denorm_mode_16_64 3
		.amdhsa_fp16_overflow 0
		.amdhsa_workgroup_processor_mode 1
		.amdhsa_memory_ordered 1
		.amdhsa_forward_progress 1
		.amdhsa_inst_pref_size 18
		.amdhsa_round_robin_scheduling 0
		.amdhsa_exception_fp_ieee_invalid_op 0
		.amdhsa_exception_fp_denorm_src 0
		.amdhsa_exception_fp_ieee_div_zero 0
		.amdhsa_exception_fp_ieee_overflow 0
		.amdhsa_exception_fp_ieee_underflow 0
		.amdhsa_exception_fp_ieee_inexact 0
		.amdhsa_exception_int_div_zero 0
	.end_amdhsa_kernel
	.section	.text._ZL33csrmvn_symm_large_adaptive_kernelIlifdddEvbT_PKS0_N9rocsparse24const_host_device_scalarIT4_EES2_PKT0_PKT1_PKT2_S6_PT3_21rocsparse_index_base_b,"axG",@progbits,_ZL33csrmvn_symm_large_adaptive_kernelIlifdddEvbT_PKS0_N9rocsparse24const_host_device_scalarIT4_EES2_PKT0_PKT1_PKT2_S6_PT3_21rocsparse_index_base_b,comdat
.Lfunc_end96:
	.size	_ZL33csrmvn_symm_large_adaptive_kernelIlifdddEvbT_PKS0_N9rocsparse24const_host_device_scalarIT4_EES2_PKT0_PKT1_PKT2_S6_PT3_21rocsparse_index_base_b, .Lfunc_end96-_ZL33csrmvn_symm_large_adaptive_kernelIlifdddEvbT_PKS0_N9rocsparse24const_host_device_scalarIT4_EES2_PKT0_PKT1_PKT2_S6_PT3_21rocsparse_index_base_b
                                        ; -- End function
	.set _ZL33csrmvn_symm_large_adaptive_kernelIlifdddEvbT_PKS0_N9rocsparse24const_host_device_scalarIT4_EES2_PKT0_PKT1_PKT2_S6_PT3_21rocsparse_index_base_b.num_vgpr, 18
	.set _ZL33csrmvn_symm_large_adaptive_kernelIlifdddEvbT_PKS0_N9rocsparse24const_host_device_scalarIT4_EES2_PKT0_PKT1_PKT2_S6_PT3_21rocsparse_index_base_b.num_agpr, 0
	.set _ZL33csrmvn_symm_large_adaptive_kernelIlifdddEvbT_PKS0_N9rocsparse24const_host_device_scalarIT4_EES2_PKT0_PKT1_PKT2_S6_PT3_21rocsparse_index_base_b.numbered_sgpr, 32
	.set _ZL33csrmvn_symm_large_adaptive_kernelIlifdddEvbT_PKS0_N9rocsparse24const_host_device_scalarIT4_EES2_PKT0_PKT1_PKT2_S6_PT3_21rocsparse_index_base_b.num_named_barrier, 0
	.set _ZL33csrmvn_symm_large_adaptive_kernelIlifdddEvbT_PKS0_N9rocsparse24const_host_device_scalarIT4_EES2_PKT0_PKT1_PKT2_S6_PT3_21rocsparse_index_base_b.private_seg_size, 0
	.set _ZL33csrmvn_symm_large_adaptive_kernelIlifdddEvbT_PKS0_N9rocsparse24const_host_device_scalarIT4_EES2_PKT0_PKT1_PKT2_S6_PT3_21rocsparse_index_base_b.uses_vcc, 1
	.set _ZL33csrmvn_symm_large_adaptive_kernelIlifdddEvbT_PKS0_N9rocsparse24const_host_device_scalarIT4_EES2_PKT0_PKT1_PKT2_S6_PT3_21rocsparse_index_base_b.uses_flat_scratch, 0
	.set _ZL33csrmvn_symm_large_adaptive_kernelIlifdddEvbT_PKS0_N9rocsparse24const_host_device_scalarIT4_EES2_PKT0_PKT1_PKT2_S6_PT3_21rocsparse_index_base_b.has_dyn_sized_stack, 0
	.set _ZL33csrmvn_symm_large_adaptive_kernelIlifdddEvbT_PKS0_N9rocsparse24const_host_device_scalarIT4_EES2_PKT0_PKT1_PKT2_S6_PT3_21rocsparse_index_base_b.has_recursion, 0
	.set _ZL33csrmvn_symm_large_adaptive_kernelIlifdddEvbT_PKS0_N9rocsparse24const_host_device_scalarIT4_EES2_PKT0_PKT1_PKT2_S6_PT3_21rocsparse_index_base_b.has_indirect_call, 0
	.section	.AMDGPU.csdata,"",@progbits
; Kernel info:
; codeLenInByte = 2228
; TotalNumSgprs: 34
; NumVgprs: 18
; ScratchSize: 0
; MemoryBound: 0
; FloatMode: 240
; IeeeMode: 1
; LDSByteSize: 8192 bytes/workgroup (compile time only)
; SGPRBlocks: 0
; VGPRBlocks: 2
; NumSGPRsForWavesPerEU: 34
; NumVGPRsForWavesPerEU: 18
; Occupancy: 16
; WaveLimiterHint : 1
; COMPUTE_PGM_RSRC2:SCRATCH_EN: 0
; COMPUTE_PGM_RSRC2:USER_SGPR: 2
; COMPUTE_PGM_RSRC2:TRAP_HANDLER: 0
; COMPUTE_PGM_RSRC2:TGID_X_EN: 1
; COMPUTE_PGM_RSRC2:TGID_Y_EN: 0
; COMPUTE_PGM_RSRC2:TGID_Z_EN: 0
; COMPUTE_PGM_RSRC2:TIDIG_COMP_CNT: 0
	.section	.text._ZN9rocsparseL22csrmvn_adaptive_kernelIllfdddEEvbT_PKS1_PjPKT0_NS_24const_host_device_scalarIT4_EES3_S7_PKT1_PKT2_SA_PT3_21rocsparse_index_base_b,"axG",@progbits,_ZN9rocsparseL22csrmvn_adaptive_kernelIllfdddEEvbT_PKS1_PjPKT0_NS_24const_host_device_scalarIT4_EES3_S7_PKT1_PKT2_SA_PT3_21rocsparse_index_base_b,comdat
	.globl	_ZN9rocsparseL22csrmvn_adaptive_kernelIllfdddEEvbT_PKS1_PjPKT0_NS_24const_host_device_scalarIT4_EES3_S7_PKT1_PKT2_SA_PT3_21rocsparse_index_base_b ; -- Begin function _ZN9rocsparseL22csrmvn_adaptive_kernelIllfdddEEvbT_PKS1_PjPKT0_NS_24const_host_device_scalarIT4_EES3_S7_PKT1_PKT2_SA_PT3_21rocsparse_index_base_b
	.p2align	8
	.type	_ZN9rocsparseL22csrmvn_adaptive_kernelIllfdddEEvbT_PKS1_PjPKT0_NS_24const_host_device_scalarIT4_EES3_S7_PKT1_PKT2_SA_PT3_21rocsparse_index_base_b,@function
_ZN9rocsparseL22csrmvn_adaptive_kernelIllfdddEEvbT_PKS1_PjPKT0_NS_24const_host_device_scalarIT4_EES3_S7_PKT1_PKT2_SA_PT3_21rocsparse_index_base_b: ; @_ZN9rocsparseL22csrmvn_adaptive_kernelIllfdddEEvbT_PKS1_PjPKT0_NS_24const_host_device_scalarIT4_EES3_S7_PKT1_PKT2_SA_PT3_21rocsparse_index_base_b
; %bb.0:
	s_clause 0x2
	s_load_b64 s[34:35], s[0:1], 0x60
	s_load_b64 s[4:5], s[0:1], 0x28
	;; [unrolled: 1-line block ×3, first 2 shown]
	s_wait_kmcnt 0x0
	s_bitcmp1_b32 s35, 0
	v_dual_mov_b32 v8, s5 :: v_dual_mov_b32 v7, s4
	s_cselect_b32 s6, -1, 0
	s_delay_alu instid0(SALU_CYCLE_1)
	s_and_b32 vcc_lo, exec_lo, s6
	s_xor_b32 s6, s6, -1
	s_cbranch_vccnz .LBB97_2
; %bb.1:
	v_dual_mov_b32 v1, s4 :: v_dual_mov_b32 v2, s5
	flat_load_b64 v[7:8], v[1:2]
.LBB97_2:
	v_dual_mov_b32 v6, s3 :: v_dual_mov_b32 v5, s2
	s_and_not1_b32 vcc_lo, exec_lo, s6
	s_cbranch_vccnz .LBB97_4
; %bb.3:
	v_dual_mov_b32 v1, s2 :: v_dual_mov_b32 v2, s3
	flat_load_b64 v[5:6], v[1:2]
.LBB97_4:
	s_wait_loadcnt_dscnt 0x0
	v_cmp_neq_f64_e32 vcc_lo, 0, v[7:8]
	v_cmp_neq_f64_e64 s2, 1.0, v[5:6]
	s_or_b32 s2, vcc_lo, s2
	s_wait_alu 0xfffe
	s_and_saveexec_b32 s3, s2
	s_cbranch_execz .LBB97_115
; %bb.5:
	s_clause 0x1
	s_load_b64 s[2:3], s[0:1], 0x10
	s_load_b64 s[6:7], s[0:1], 0x20
	s_mov_b32 s38, ttmp9
	s_ashr_i32 s39, ttmp9, 31
	s_delay_alu instid0(SALU_CYCLE_1)
	s_lshl_b64 s[4:5], s[38:39], 3
	s_wait_kmcnt 0x0
	s_wait_alu 0xfffe
	s_add_nc_u64 s[2:3], s[2:3], s[4:5]
	s_load_b128 s[20:23], s[2:3], 0x0
	s_clause 0x1
	s_load_b256 s[12:19], s[0:1], 0x30
	s_load_b64 s[24:25], s[0:1], 0x58
	s_add_nc_u64 s[2:3], s[6:7], s[4:5]
	s_wait_kmcnt 0x0
	s_lshl_b64 s[36:37], s[20:21], 3
	s_delay_alu instid0(SALU_CYCLE_1)
	s_add_nc_u64 s[30:31], s[12:13], s[36:37]
	s_load_b64 s[26:27], s[2:3], 0x0
	s_load_b64 s[28:29], s[30:31], 0x0
	s_sub_nc_u64 s[2:3], s[22:23], s[20:21]
	s_wait_alu 0xfffe
	v_cmp_lt_i64_e64 s4, s[2:3], 2
	s_and_b32 vcc_lo, exec_lo, s4
	s_mov_b32 s4, -1
	s_cbranch_vccz .LBB97_71
; %bb.6:
	s_cmp_lg_u64 s[2:3], 1
	v_cmp_gt_u32_e64 s2, 0x80, v0
	s_cselect_b32 s4, -1, 0
	s_wait_kmcnt 0x0
	s_cmp_lg_u64 s[26:27], 0
	v_cmp_gt_u32_e64 s3, 64, v0
	s_cselect_b32 s5, -1, 0
	v_cmp_gt_u32_e64 s6, 8, v0
	s_wait_alu 0xfffe
	s_or_b32 s5, s4, s5
	v_cmp_gt_u32_e64 s4, 32, v0
	s_wait_alu 0xfffe
	s_and_b32 vcc_lo, exec_lo, s5
	v_cmp_gt_u32_e64 s5, 16, v0
	v_cmp_gt_u32_e64 s7, 4, v0
	;; [unrolled: 1-line block ×3, first 2 shown]
	v_cmp_eq_u32_e64 s9, 0, v0
	s_mov_b32 s10, -1
	s_cbranch_vccnz .LBB97_34
; %bb.7:
	v_cmp_neq_f64_e64 s10, 0, v[5:6]
	v_sub_co_u32 v14, s11, v0, s34
	v_dual_mov_b32 v13, 0 :: v_dual_lshlrev_b32 v16, 3, v0
	v_sub_co_ci_u32_e64 v15, null, 0, 0, s11
	s_mov_b32 s35, 0
	s_mov_b64 s[40:41], s[20:21]
	s_branch .LBB97_10
.LBB97_8:                               ;   in Loop: Header=BB97_10 Depth=1
	s_or_b32 exec_lo, exec_lo, s33
	s_wait_dscnt 0x0
	global_store_b64 v13, v[1:2], s[42:43]
.LBB97_9:                               ;   in Loop: Header=BB97_10 Depth=1
	s_wait_alu 0xfffe
	s_or_b32 exec_lo, exec_lo, s11
	s_add_nc_u64 s[40:41], s[40:41], 1
	s_wait_alu 0xfffe
	v_cmp_ge_i64_e64 s11, s[40:41], s[22:23]
	s_and_b32 vcc_lo, exec_lo, s11
	s_wait_alu 0xfffe
	s_cbranch_vccnz .LBB97_33
.LBB97_10:                              ; =>This Loop Header: Depth=1
                                        ;     Child Loop BB97_12 Depth 2
	s_lshl_b64 s[42:43], s[40:41], 3
	v_mov_b32_e32 v3, 0
	s_add_nc_u64 s[44:45], s[12:13], s[42:43]
	v_mov_b32_e32 v4, 0
	s_load_b128 s[44:47], s[44:45], 0x0
	s_mov_b32 s33, exec_lo
	s_wait_kmcnt 0x0
	v_add_co_u32 v1, vcc_lo, s44, v14
	s_wait_alu 0xfffd
	v_add_co_ci_u32_e64 v2, null, s45, v15, vcc_lo
	s_sub_nc_u64 s[44:45], s[46:47], s[34:35]
	s_wait_alu 0xfffe
	v_cmpx_gt_i64_e64 s[44:45], v[1:2]
	s_cbranch_execz .LBB97_14
; %bb.11:                               ;   in Loop: Header=BB97_10 Depth=1
	v_lshlrev_b64_e32 v[9:10], 2, v[1:2]
	v_lshlrev_b64_e32 v[11:12], 3, v[1:2]
	v_mov_b32_e32 v3, 0
	v_mov_b32_e32 v4, 0
	s_mov_b32 s46, 0
	s_delay_alu instid0(VALU_DEP_4)
	v_add_co_u32 v9, vcc_lo, s16, v9
	s_wait_alu 0xfffd
	v_add_co_ci_u32_e64 v10, null, s17, v10, vcc_lo
	v_add_co_u32 v11, vcc_lo, s14, v11
	s_wait_alu 0xfffd
	v_add_co_ci_u32_e64 v12, null, s15, v12, vcc_lo
.LBB97_12:                              ;   Parent Loop BB97_10 Depth=1
                                        ; =>  This Inner Loop Header: Depth=2
	global_load_b64 v[17:18], v[11:12], off
	global_load_b32 v19, v[9:10], off
	v_add_co_u32 v11, s11, 0x800, v11
	s_wait_alu 0xf1ff
	v_add_co_ci_u32_e64 v12, null, 0, v12, s11
	s_wait_loadcnt 0x1
	v_sub_co_u32 v17, vcc_lo, v17, s34
	s_wait_alu 0xfffd
	v_subrev_co_ci_u32_e64 v18, null, 0, v18, vcc_lo
	s_wait_loadcnt 0x0
	v_cvt_f64_f32_e32 v[19:20], v19
	s_delay_alu instid0(VALU_DEP_2) | instskip(NEXT) | instid1(VALU_DEP_1)
	v_lshlrev_b64_e32 v[17:18], 3, v[17:18]
	v_add_co_u32 v17, vcc_lo, s18, v17
	s_wait_alu 0xfffd
	s_delay_alu instid0(VALU_DEP_2)
	v_add_co_ci_u32_e64 v18, null, s19, v18, vcc_lo
	v_add_co_u32 v1, vcc_lo, 0x100, v1
	s_wait_alu 0xfffd
	v_add_co_ci_u32_e64 v2, null, 0, v2, vcc_lo
	global_load_b64 v[17:18], v[17:18], off
	v_add_co_u32 v9, vcc_lo, 0x400, v9
	s_wait_alu 0xfffd
	v_add_co_ci_u32_e64 v10, null, 0, v10, vcc_lo
	v_cmp_le_i64_e32 vcc_lo, s[44:45], v[1:2]
	s_or_b32 s46, vcc_lo, s46
	v_mul_f64_e32 v[19:20], v[7:8], v[19:20]
	s_wait_loadcnt 0x0
	s_delay_alu instid0(VALU_DEP_1)
	v_fma_f64 v[3:4], v[19:20], v[17:18], v[3:4]
	s_and_not1_b32 exec_lo, exec_lo, s46
	s_cbranch_execnz .LBB97_12
; %bb.13:                               ;   in Loop: Header=BB97_10 Depth=1
	s_or_b32 exec_lo, exec_lo, s46
.LBB97_14:                              ;   in Loop: Header=BB97_10 Depth=1
	s_delay_alu instid0(SALU_CYCLE_1)
	s_or_b32 exec_lo, exec_lo, s33
	ds_store_b64 v16, v[3:4]
	s_wait_dscnt 0x0
	s_barrier_signal -1
	s_barrier_wait -1
	global_inv scope:SCOPE_SE
	s_and_saveexec_b32 s11, s2
	s_cbranch_execz .LBB97_16
; %bb.15:                               ;   in Loop: Header=BB97_10 Depth=1
	ds_load_2addr_stride64_b64 v[1:4], v16 offset1:2
	s_wait_dscnt 0x0
	v_add_f64_e32 v[1:2], v[1:2], v[3:4]
	ds_store_b64 v16, v[1:2]
.LBB97_16:                              ;   in Loop: Header=BB97_10 Depth=1
	s_wait_alu 0xfffe
	s_or_b32 exec_lo, exec_lo, s11
	s_wait_loadcnt_dscnt 0x0
	s_barrier_signal -1
	s_barrier_wait -1
	global_inv scope:SCOPE_SE
	s_and_saveexec_b32 s11, s3
	s_cbranch_execz .LBB97_18
; %bb.17:                               ;   in Loop: Header=BB97_10 Depth=1
	ds_load_2addr_stride64_b64 v[1:4], v16 offset1:1
	s_wait_dscnt 0x0
	v_add_f64_e32 v[1:2], v[1:2], v[3:4]
	ds_store_b64 v16, v[1:2]
.LBB97_18:                              ;   in Loop: Header=BB97_10 Depth=1
	s_wait_alu 0xfffe
	s_or_b32 exec_lo, exec_lo, s11
	s_wait_loadcnt_dscnt 0x0
	s_barrier_signal -1
	s_barrier_wait -1
	global_inv scope:SCOPE_SE
	s_and_saveexec_b32 s11, s4
	s_cbranch_execz .LBB97_20
; %bb.19:                               ;   in Loop: Header=BB97_10 Depth=1
	ds_load_2addr_b64 v[1:4], v16 offset1:32
	s_wait_dscnt 0x0
	v_add_f64_e32 v[1:2], v[1:2], v[3:4]
	ds_store_b64 v16, v[1:2]
.LBB97_20:                              ;   in Loop: Header=BB97_10 Depth=1
	s_wait_alu 0xfffe
	s_or_b32 exec_lo, exec_lo, s11
	s_wait_loadcnt_dscnt 0x0
	s_barrier_signal -1
	s_barrier_wait -1
	global_inv scope:SCOPE_SE
	s_and_saveexec_b32 s11, s5
	s_cbranch_execz .LBB97_22
; %bb.21:                               ;   in Loop: Header=BB97_10 Depth=1
	ds_load_2addr_b64 v[1:4], v16 offset1:16
	s_wait_dscnt 0x0
	v_add_f64_e32 v[1:2], v[1:2], v[3:4]
	ds_store_b64 v16, v[1:2]
.LBB97_22:                              ;   in Loop: Header=BB97_10 Depth=1
	s_wait_alu 0xfffe
	s_or_b32 exec_lo, exec_lo, s11
	s_wait_loadcnt_dscnt 0x0
	s_barrier_signal -1
	s_barrier_wait -1
	global_inv scope:SCOPE_SE
	s_and_saveexec_b32 s11, s6
	s_cbranch_execz .LBB97_24
; %bb.23:                               ;   in Loop: Header=BB97_10 Depth=1
	ds_load_2addr_b64 v[1:4], v16 offset1:8
	s_wait_dscnt 0x0
	v_add_f64_e32 v[1:2], v[1:2], v[3:4]
	ds_store_b64 v16, v[1:2]
.LBB97_24:                              ;   in Loop: Header=BB97_10 Depth=1
	s_wait_alu 0xfffe
	s_or_b32 exec_lo, exec_lo, s11
	s_wait_loadcnt_dscnt 0x0
	s_barrier_signal -1
	s_barrier_wait -1
	global_inv scope:SCOPE_SE
	s_and_saveexec_b32 s11, s7
	s_cbranch_execz .LBB97_26
; %bb.25:                               ;   in Loop: Header=BB97_10 Depth=1
	ds_load_2addr_b64 v[1:4], v16 offset1:4
	s_wait_dscnt 0x0
	v_add_f64_e32 v[1:2], v[1:2], v[3:4]
	ds_store_b64 v16, v[1:2]
.LBB97_26:                              ;   in Loop: Header=BB97_10 Depth=1
	s_wait_alu 0xfffe
	s_or_b32 exec_lo, exec_lo, s11
	s_wait_loadcnt_dscnt 0x0
	s_barrier_signal -1
	s_barrier_wait -1
	global_inv scope:SCOPE_SE
	s_and_saveexec_b32 s11, s8
	s_cbranch_execz .LBB97_28
; %bb.27:                               ;   in Loop: Header=BB97_10 Depth=1
	ds_load_2addr_b64 v[1:4], v16 offset1:2
	s_wait_dscnt 0x0
	v_add_f64_e32 v[1:2], v[1:2], v[3:4]
	ds_store_b64 v16, v[1:2]
.LBB97_28:                              ;   in Loop: Header=BB97_10 Depth=1
	s_wait_alu 0xfffe
	s_or_b32 exec_lo, exec_lo, s11
	s_wait_loadcnt_dscnt 0x0
	s_barrier_signal -1
	s_barrier_wait -1
	global_inv scope:SCOPE_SE
	s_and_saveexec_b32 s11, s9
	s_cbranch_execz .LBB97_30
; %bb.29:                               ;   in Loop: Header=BB97_10 Depth=1
	ds_load_b128 v[1:4], v13
	s_wait_dscnt 0x0
	v_add_f64_e32 v[1:2], v[1:2], v[3:4]
	ds_store_b64 v13, v[1:2]
.LBB97_30:                              ;   in Loop: Header=BB97_10 Depth=1
	s_wait_alu 0xfffe
	s_or_b32 exec_lo, exec_lo, s11
	s_wait_loadcnt_dscnt 0x0
	s_barrier_signal -1
	s_barrier_wait -1
	global_inv scope:SCOPE_SE
	s_and_saveexec_b32 s11, s9
	s_cbranch_execz .LBB97_9
; %bb.31:                               ;   in Loop: Header=BB97_10 Depth=1
	ds_load_b64 v[1:2], v13
	s_add_nc_u64 s[42:43], s[24:25], s[42:43]
	s_and_saveexec_b32 s33, s10
	s_cbranch_execz .LBB97_8
; %bb.32:                               ;   in Loop: Header=BB97_10 Depth=1
	global_load_b64 v[3:4], v13, s[42:43]
	s_wait_loadcnt_dscnt 0x0
	v_fma_f64 v[1:2], v[5:6], v[3:4], v[1:2]
	s_branch .LBB97_8
.LBB97_33:
	s_mov_b32 s10, 0
.LBB97_34:
	s_wait_alu 0xfffe
	s_and_b32 vcc_lo, exec_lo, s10
	s_wait_alu 0xfffe
	s_cbranch_vccz .LBB97_70
; %bb.35:
	s_load_b64 s[6:7], s[0:1], 0x18
	v_mov_b32_e32 v3, 0
	s_lshl_b64 s[2:3], s[38:39], 2
	v_mov_b32_e32 v1, 0
	v_mov_b32_e32 v2, 0
	s_cmp_lg_u64 s[26:27], 0
	v_cmp_eq_u32_e32 vcc_lo, 0, v0
	s_cselect_b32 s33, -1, 0
	s_cmp_eq_u64 s[26:27], 0
	s_sub_nc_u64 s[8:9], s[38:39], s[26:27]
	s_mov_b32 s35, 0
	s_wait_kmcnt 0x0
	s_wait_alu 0xfffe
	s_add_nc_u64 s[4:5], s[6:7], s[2:3]
	s_cselect_b32 s2, -1, 0
	global_load_b32 v13, v3, s[4:5]
	s_wait_alu 0xfffe
	s_and_b32 s2, vcc_lo, s2
	s_wait_alu 0xfffe
	s_and_saveexec_b32 s3, s2
	s_cbranch_execz .LBB97_39
; %bb.36:
	s_add_nc_u64 s[38:39], s[24:25], s[36:37]
	s_mov_b32 s10, exec_lo
	global_load_b64 v[1:2], v3, s[38:39]
	v_add_f64_e32 v[3:4], -1.0, v[5:6]
	s_wait_alu 0xfffe
	v_mbcnt_lo_u32_b32 v9, s10, 0
	s_mov_b32 s11, exec_lo
	s_wait_loadcnt 0x0
	s_wait_storecnt 0x0
	global_inv scope:SCOPE_DEV
	v_cmpx_eq_u32_e32 0, v9
	s_cbranch_execz .LBB97_38
; %bb.37:
	s_bcnt1_i32_b32 s2, s10
	s_lshl_b64 s[38:39], s[8:9], 2
	s_wait_alu 0xfffe
	s_and_b32 s2, s2, 1
	s_wait_alu 0xfffe
	v_dual_mov_b32 v9, 0 :: v_dual_mov_b32 v10, s2
	s_add_nc_u64 s[38:39], s[6:7], s[38:39]
	global_atomic_xor_b32 v9, v10, s[38:39] scope:SCOPE_DEV
.LBB97_38:
	s_wait_alu 0xfffe
	s_or_b32 exec_lo, exec_lo, s11
	v_mul_f64_e32 v[1:2], v[3:4], v[1:2]
.LBB97_39:
	s_wait_alu 0xfffe
	s_or_b32 exec_lo, exec_lo, s3
	s_load_b64 s[2:3], s[30:31], 0x8
	s_mul_u64 s[10:11], s[26:27], 0xc00
	s_sub_nc_u64 s[38:39], s[28:29], s[34:35]
	s_wait_alu 0xfffe
	s_add_nc_u64 s[38:39], s[38:39], s[10:11]
	s_delay_alu instid0(SALU_CYCLE_1)
	v_add_co_u32 v3, s10, s38, v0
	s_wait_alu 0xf1ff
	v_add_co_ci_u32_e64 v4, null, s39, 0, s10
	s_wait_kmcnt 0x0
	s_sub_nc_u64 s[10:11], s[2:3], s[34:35]
	s_mov_b32 s35, exec_lo
	s_wait_alu 0xfffe
	v_cmpx_gt_i64_e64 s[10:11], v[3:4]
	s_cbranch_execz .LBB97_43
; %bb.40:
	v_lshlrev_b64_e32 v[9:10], 2, v[3:4]
	s_add_nc_u64 s[38:39], s[38:39], 0xc00
	v_lshlrev_b64_e32 v[11:12], 3, v[3:4]
	s_wait_alu 0xfffe
	v_cmp_lt_i64_e64 s3, s[38:39], s[10:11]
	s_delay_alu instid0(VALU_DEP_3)
	v_add_co_u32 v9, s2, s16, v9
	s_wait_alu 0xf1ff
	v_add_co_ci_u32_e64 v10, null, s17, v10, s2
	s_and_b32 s2, s3, exec_lo
	v_add_co_u32 v11, s2, s14, v11
	s_wait_alu 0xf1fe
	v_add_co_ci_u32_e64 v12, null, s15, v12, s2
	s_cselect_b32 s11, s39, s11
	s_cselect_b32 s10, s38, s10
	s_mov_b32 s38, 0
.LBB97_41:                              ; =>This Inner Loop Header: Depth=1
	global_load_b64 v[14:15], v[11:12], off
	global_load_b32 v16, v[9:10], off
	v_add_co_u32 v11, s3, 0x800, v11
	s_wait_alu 0xf1ff
	v_add_co_ci_u32_e64 v12, null, 0, v12, s3
	s_wait_loadcnt 0x1
	v_sub_co_u32 v14, s2, v14, s34
	s_wait_alu 0xf1ff
	v_subrev_co_ci_u32_e64 v15, null, 0, v15, s2
	s_wait_loadcnt 0x0
	v_cvt_f64_f32_e32 v[16:17], v16
	s_delay_alu instid0(VALU_DEP_2) | instskip(NEXT) | instid1(VALU_DEP_1)
	v_lshlrev_b64_e32 v[14:15], 3, v[14:15]
	v_add_co_u32 v14, s2, s18, v14
	s_wait_alu 0xf1ff
	s_delay_alu instid0(VALU_DEP_2)
	v_add_co_ci_u32_e64 v15, null, s19, v15, s2
	v_add_co_u32 v3, s2, 0x100, v3
	s_wait_alu 0xf1ff
	v_add_co_ci_u32_e64 v4, null, 0, v4, s2
	global_load_b64 v[14:15], v[14:15], off
	v_add_co_u32 v9, s2, 0x400, v9
	s_wait_alu 0xf1ff
	v_add_co_ci_u32_e64 v10, null, 0, v10, s2
	s_wait_alu 0xfffe
	v_cmp_le_i64_e64 s2, s[10:11], v[3:4]
	s_or_b32 s38, s2, s38
	v_mul_f64_e32 v[16:17], v[7:8], v[16:17]
	s_wait_loadcnt 0x0
	s_delay_alu instid0(VALU_DEP_1)
	v_fma_f64 v[1:2], v[16:17], v[14:15], v[1:2]
	s_wait_alu 0xfffe
	s_and_not1_b32 exec_lo, exec_lo, s38
	s_cbranch_execnz .LBB97_41
; %bb.42:
	s_or_b32 exec_lo, exec_lo, s38
.LBB97_43:
	s_delay_alu instid0(SALU_CYCLE_1)
	s_or_b32 exec_lo, exec_lo, s35
	v_lshlrev_b32_e32 v3, 3, v0
	s_mov_b32 s3, exec_lo
	ds_store_b64 v3, v[1:2]
	s_wait_storecnt 0x0
	s_wait_loadcnt_dscnt 0x0
	s_barrier_signal -1
	s_barrier_wait -1
	global_inv scope:SCOPE_SE
	v_cmpx_gt_u32_e32 0x80, v0
	s_cbranch_execz .LBB97_45
; %bb.44:
	ds_load_2addr_stride64_b64 v[9:12], v3 offset1:2
	s_wait_dscnt 0x0
	v_add_f64_e32 v[1:2], v[9:10], v[11:12]
	ds_store_b64 v3, v[1:2]
.LBB97_45:
	s_wait_alu 0xfffe
	s_or_b32 exec_lo, exec_lo, s3
	s_delay_alu instid0(SALU_CYCLE_1)
	s_mov_b32 s3, exec_lo
	s_wait_loadcnt_dscnt 0x0
	s_barrier_signal -1
	s_barrier_wait -1
	global_inv scope:SCOPE_SE
	v_cmpx_gt_u32_e32 64, v0
	s_cbranch_execz .LBB97_47
; %bb.46:
	ds_load_2addr_stride64_b64 v[9:12], v3 offset1:1
	s_wait_dscnt 0x0
	v_add_f64_e32 v[1:2], v[9:10], v[11:12]
	ds_store_b64 v3, v[1:2]
.LBB97_47:
	s_wait_alu 0xfffe
	s_or_b32 exec_lo, exec_lo, s3
	s_delay_alu instid0(SALU_CYCLE_1)
	s_mov_b32 s3, exec_lo
	s_wait_loadcnt_dscnt 0x0
	s_barrier_signal -1
	s_barrier_wait -1
	global_inv scope:SCOPE_SE
	v_cmpx_gt_u32_e32 32, v0
	s_cbranch_execz .LBB97_49
; %bb.48:
	ds_load_2addr_b64 v[9:12], v3 offset1:32
	s_wait_dscnt 0x0
	v_add_f64_e32 v[1:2], v[9:10], v[11:12]
	ds_store_b64 v3, v[1:2]
.LBB97_49:
	s_wait_alu 0xfffe
	s_or_b32 exec_lo, exec_lo, s3
	s_delay_alu instid0(SALU_CYCLE_1)
	s_mov_b32 s3, exec_lo
	s_wait_loadcnt_dscnt 0x0
	s_barrier_signal -1
	s_barrier_wait -1
	global_inv scope:SCOPE_SE
	v_cmpx_gt_u32_e32 16, v0
	s_cbranch_execz .LBB97_51
; %bb.50:
	ds_load_2addr_b64 v[9:12], v3 offset1:16
	s_wait_dscnt 0x0
	v_add_f64_e32 v[1:2], v[9:10], v[11:12]
	ds_store_b64 v3, v[1:2]
.LBB97_51:
	;; [unrolled: 16-line block ×5, first 2 shown]
	s_wait_alu 0xfffe
	s_or_b32 exec_lo, exec_lo, s3
	s_wait_loadcnt_dscnt 0x0
	s_barrier_signal -1
	s_barrier_wait -1
	global_inv scope:SCOPE_SE
	s_and_saveexec_b32 s2, vcc_lo
	s_cbranch_execz .LBB97_59
; %bb.58:
	v_mov_b32_e32 v9, 0
	ds_load_b128 v[1:4], v9
	s_wait_dscnt 0x0
	v_add_f64_e32 v[1:2], v[1:2], v[3:4]
	ds_store_b64 v9, v[1:2]
.LBB97_59:
	s_wait_alu 0xfffe
	s_or_b32 exec_lo, exec_lo, s2
	s_wait_loadcnt_dscnt 0x0
	s_barrier_signal -1
	s_barrier_wait -1
	global_inv scope:SCOPE_SE
	s_and_saveexec_b32 s10, vcc_lo
	s_cbranch_execz .LBB97_69
; %bb.60:
	s_and_not1_b32 vcc_lo, exec_lo, s33
	s_wait_alu 0xfffe
	s_cbranch_vccnz .LBB97_66
; %bb.61:
	v_mov_b32_e32 v1, 0
	s_lshl_b64 s[2:3], s[8:9], 2
	s_wait_alu 0xfffe
	s_add_nc_u64 s[2:3], s[6:7], s[2:3]
	s_branch .LBB97_63
.LBB97_62:                              ;   in Loop: Header=BB97_63 Depth=1
	s_wait_alu 0xfffe
	s_or_b32 exec_lo, exec_lo, s6
	s_wait_loadcnt 0x0
	v_readfirstlane_b32 s6, v2
	s_wait_alu 0xf1ff
	s_delay_alu instid0(VALU_DEP_1)
	v_cmp_eq_u32_e32 vcc_lo, s6, v13
	s_cbranch_vccz .LBB97_65
.LBB97_63:                              ; =>This Inner Loop Header: Depth=1
	v_mbcnt_lo_u32_b32 v2, exec_lo, 0
	s_delay_alu instid0(VALU_DEP_1)
	v_cmp_eq_u32_e32 vcc_lo, 0, v2
                                        ; implicit-def: $vgpr2
	s_and_saveexec_b32 s6, vcc_lo
	s_cbranch_execz .LBB97_62
; %bb.64:                               ;   in Loop: Header=BB97_63 Depth=1
	global_load_b32 v2, v1, s[2:3] scope:SCOPE_DEV
	s_branch .LBB97_62
.LBB97_65:
	v_mov_b32_e32 v1, 0
	global_load_u16 v2, v1, s[4:5]
	s_wait_loadcnt 0x0
	v_xor_b32_e32 v2, 1, v2
	global_store_b16 v1, v2, s[4:5]
.LBB97_66:
	s_mov_b32 s5, exec_lo
	s_mov_b32 s4, 0
	s_wait_alu 0xfffe
	v_mbcnt_lo_u32_b32 v1, s5, 0
	s_delay_alu instid0(VALU_DEP_1)
	v_cmp_eq_u32_e32 vcc_lo, 0, v1
	s_and_b32 s2, exec_lo, vcc_lo
	s_wait_alu 0xfffe
	s_mov_b32 exec_lo, s2
	s_cbranch_execz .LBB97_69
; %bb.67:
	v_mov_b32_e32 v11, 0
	s_add_nc_u64 s[2:3], s[24:25], s[36:37]
	s_bcnt1_i32_b32 s5, s5
	s_wait_alu 0xfffe
	v_cvt_f64_u32_e32 v[1:2], s5
	global_load_b64 v[3:4], v11, s[2:3]
	ds_load_b64 v[9:10], v11
	s_wait_dscnt 0x0
	v_mul_f64_e32 v[9:10], v[9:10], v[1:2]
.LBB97_68:                              ; =>This Inner Loop Header: Depth=1
	s_wait_loadcnt 0x0
	s_delay_alu instid0(VALU_DEP_1)
	v_add_f64_e32 v[1:2], v[3:4], v[9:10]
	global_atomic_cmpswap_b64 v[1:2], v11, v[1:4], s[2:3] th:TH_ATOMIC_RETURN scope:SCOPE_DEV
	s_wait_loadcnt 0x0
	v_cmp_eq_u64_e32 vcc_lo, v[1:2], v[3:4]
	v_dual_mov_b32 v4, v2 :: v_dual_mov_b32 v3, v1
	s_or_b32 s4, vcc_lo, s4
	s_wait_alu 0xfffe
	s_and_not1_b32 exec_lo, exec_lo, s4
	s_cbranch_execnz .LBB97_68
.LBB97_69:
	s_wait_alu 0xfffe
	s_or_b32 exec_lo, exec_lo, s10
.LBB97_70:
	s_mov_b32 s4, 0
.LBB97_71:
	s_wait_alu 0xfffe
	s_and_not1_b32 vcc_lo, exec_lo, s4
	s_wait_alu 0xfffe
	s_cbranch_vccnz .LBB97_115
; %bb.72:
	s_load_b64 s[0:1], s[0:1], 0x8
	v_sub_co_u32 v1, s2, v0, s34
	s_wait_alu 0xf1ff
	v_sub_co_ci_u32_e64 v2, null, 0, 0, s2
	s_mov_b32 s35, 0
	s_wait_kmcnt 0x0
	v_add_co_u32 v1, vcc_lo, s28, v1
	s_wait_alu 0xfffd
	v_add_co_ci_u32_e64 v2, null, s29, v2, vcc_lo
	s_delay_alu instid0(VALU_DEP_2) | instskip(SKIP_1) | instid1(VALU_DEP_2)
	v_add_co_u32 v3, vcc_lo, 0x300, v1
	s_wait_alu 0xfffd
	v_add_co_ci_u32_e64 v4, null, 0, v2, vcc_lo
	s_delay_alu instid0(VALU_DEP_1)
	v_cmp_le_i64_e32 vcc_lo, s[0:1], v[3:4]
	s_and_saveexec_b32 s0, vcc_lo
	s_wait_alu 0xfffe
	s_xor_b32 s1, exec_lo, s0
	s_cbranch_execz .LBB97_77
; %bb.73:
	s_lshl_b64 s[2:3], s[22:23], 3
	s_mov_b32 s4, exec_lo
	s_wait_alu 0xfffe
	s_add_nc_u64 s[2:3], s[12:13], s[2:3]
	s_load_b64 s[2:3], s[2:3], 0x0
	s_wait_kmcnt 0x0
	s_sub_nc_u64 s[2:3], s[2:3], s[34:35]
	s_wait_alu 0xfffe
	v_cmpx_gt_i64_e64 s[2:3], v[1:2]
	s_cbranch_execz .LBB97_76
; %bb.74:
	v_lshlrev_b64_e32 v[3:4], 2, v[1:2]
	v_lshlrev_b64_e32 v[9:10], 3, v[1:2]
	v_lshlrev_b32_e32 v11, 3, v0
	s_mov_b32 s5, 0
	s_delay_alu instid0(VALU_DEP_3)
	v_add_co_u32 v3, vcc_lo, s16, v3
	s_wait_alu 0xfffd
	v_add_co_ci_u32_e64 v4, null, s17, v4, vcc_lo
	v_add_co_u32 v9, vcc_lo, s14, v9
	s_wait_alu 0xfffd
	v_add_co_ci_u32_e64 v10, null, s15, v10, vcc_lo
.LBB97_75:                              ; =>This Inner Loop Header: Depth=1
	global_load_b64 v[12:13], v[9:10], off
	global_load_b32 v14, v[3:4], off
	s_wait_loadcnt 0x1
	v_sub_co_u32 v12, vcc_lo, v12, s34
	s_wait_alu 0xfffd
	v_subrev_co_ci_u32_e64 v13, null, 0, v13, vcc_lo
	s_wait_loadcnt 0x0
	v_cvt_f64_f32_e32 v[14:15], v14
	s_delay_alu instid0(VALU_DEP_2) | instskip(NEXT) | instid1(VALU_DEP_1)
	v_lshlrev_b64_e32 v[12:13], 3, v[12:13]
	v_add_co_u32 v12, vcc_lo, s18, v12
	s_wait_alu 0xfffd
	s_delay_alu instid0(VALU_DEP_2)
	v_add_co_ci_u32_e64 v13, null, s19, v13, vcc_lo
	v_add_co_u32 v1, vcc_lo, 0x100, v1
	s_wait_alu 0xfffd
	v_add_co_ci_u32_e64 v2, null, 0, v2, vcc_lo
	global_load_b64 v[12:13], v[12:13], off
	v_add_co_u32 v3, vcc_lo, 0x400, v3
	v_cmp_le_i64_e64 s0, s[2:3], v[1:2]
	s_wait_alu 0xfffd
	v_add_co_ci_u32_e64 v4, null, 0, v4, vcc_lo
	v_add_co_u32 v9, vcc_lo, 0x800, v9
	s_wait_alu 0xfffd
	v_add_co_ci_u32_e64 v10, null, 0, v10, vcc_lo
	s_wait_alu 0xfffe
	s_or_b32 s5, s0, s5
	v_mul_f64_e32 v[14:15], v[7:8], v[14:15]
	s_wait_loadcnt 0x0
	s_delay_alu instid0(VALU_DEP_1)
	v_mul_f64_e32 v[12:13], v[14:15], v[12:13]
	ds_store_b64 v11, v[12:13]
	v_add_nc_u32_e32 v11, 0x800, v11
	s_wait_alu 0xfffe
	s_and_not1_b32 exec_lo, exec_lo, s5
	s_cbranch_execnz .LBB97_75
.LBB97_76:
	s_or_b32 exec_lo, exec_lo, s4
                                        ; implicit-def: $vgpr1_vgpr2
                                        ; implicit-def: $vgpr7_vgpr8
.LBB97_77:
	s_wait_alu 0xfffe
	s_or_saveexec_b32 s0, s1
	v_lshlrev_b32_e32 v15, 3, v0
	s_wait_alu 0xfffe
	s_xor_b32 exec_lo, exec_lo, s0
	s_cbranch_execz .LBB97_79
; %bb.78:
	v_lshlrev_b64_e32 v[3:4], 3, v[1:2]
	v_lshlrev_b64_e32 v[1:2], 2, v[1:2]
	s_delay_alu instid0(VALU_DEP_2) | instskip(SKIP_1) | instid1(VALU_DEP_3)
	v_add_co_u32 v3, vcc_lo, s14, v3
	s_wait_alu 0xfffd
	v_add_co_ci_u32_e64 v4, null, s15, v4, vcc_lo
	s_delay_alu instid0(VALU_DEP_3)
	v_add_co_u32 v1, vcc_lo, s16, v1
	s_wait_alu 0xfffd
	v_add_co_ci_u32_e64 v2, null, s17, v2, vcc_lo
	s_clause 0x3
	global_load_b64 v[9:10], v[3:4], off
	global_load_b64 v[11:12], v[3:4], off offset:2048
	global_load_b64 v[13:14], v[3:4], off offset:4096
	;; [unrolled: 1-line block ×3, first 2 shown]
	s_clause 0x3
	global_load_b32 v16, v[1:2], off
	global_load_b32 v17, v[1:2], off offset:1024
	global_load_b32 v18, v[1:2], off offset:2048
	global_load_b32 v20, v[1:2], off offset:3072
	s_wait_loadcnt 0x7
	v_sub_co_u32 v1, vcc_lo, v9, s34
	s_wait_alu 0xfffd
	v_subrev_co_ci_u32_e64 v2, null, 0, v10, vcc_lo
	s_wait_loadcnt 0x6
	v_sub_co_u32 v9, vcc_lo, v11, s34
	s_wait_alu 0xfffd
	v_subrev_co_ci_u32_e64 v10, null, 0, v12, vcc_lo
	;; [unrolled: 4-line block ×3, first 2 shown]
	s_wait_loadcnt 0x4
	v_sub_co_u32 v3, vcc_lo, v3, s34
	v_lshlrev_b64_e32 v[1:2], 3, v[1:2]
	s_wait_alu 0xfffd
	v_subrev_co_ci_u32_e64 v4, null, 0, v4, vcc_lo
	v_lshlrev_b64_e32 v[9:10], 3, v[9:10]
	v_lshlrev_b64_e32 v[11:12], 3, v[11:12]
	s_wait_loadcnt 0x3
	v_cvt_f64_f32_e32 v[13:14], v16
	v_lshlrev_b64_e32 v[3:4], 3, v[3:4]
	v_add_co_u32 v1, vcc_lo, s18, v1
	s_wait_alu 0xfffd
	v_add_co_ci_u32_e64 v2, null, s19, v2, vcc_lo
	v_add_co_u32 v9, vcc_lo, s18, v9
	s_wait_alu 0xfffd
	v_add_co_ci_u32_e64 v10, null, s19, v10, vcc_lo
	;; [unrolled: 3-line block ×4, first 2 shown]
	s_clause 0x3
	global_load_b64 v[1:2], v[1:2], off
	global_load_b64 v[9:10], v[9:10], off
	;; [unrolled: 1-line block ×4, first 2 shown]
	s_wait_loadcnt 0x6
	v_cvt_f64_f32_e32 v[16:17], v17
	s_wait_loadcnt 0x5
	v_cvt_f64_f32_e32 v[18:19], v18
	;; [unrolled: 2-line block ×3, first 2 shown]
	v_mul_f64_e32 v[13:14], v[7:8], v[13:14]
	s_delay_alu instid0(VALU_DEP_4) | instskip(NEXT) | instid1(VALU_DEP_4)
	v_mul_f64_e32 v[16:17], v[7:8], v[16:17]
	v_mul_f64_e32 v[18:19], v[7:8], v[18:19]
	s_delay_alu instid0(VALU_DEP_4) | instskip(SKIP_1) | instid1(VALU_DEP_4)
	v_mul_f64_e32 v[7:8], v[7:8], v[20:21]
	s_wait_loadcnt 0x3
	v_mul_f64_e32 v[1:2], v[13:14], v[1:2]
	s_wait_loadcnt 0x2
	s_delay_alu instid0(VALU_DEP_4) | instskip(SKIP_1) | instid1(VALU_DEP_4)
	v_mul_f64_e32 v[9:10], v[16:17], v[9:10]
	s_wait_loadcnt 0x1
	v_mul_f64_e32 v[11:12], v[18:19], v[11:12]
	s_wait_loadcnt 0x0
	s_delay_alu instid0(VALU_DEP_4)
	v_mul_f64_e32 v[3:4], v[7:8], v[3:4]
	ds_store_2addr_stride64_b64 v15, v[1:2], v[9:10] offset1:4
	ds_store_2addr_stride64_b64 v15, v[11:12], v[3:4] offset0:8 offset1:12
.LBB97_79:
	s_or_b32 exec_lo, exec_lo, s0
	v_cmp_lt_i64_e64 s0, s[26:27], 2
	s_wait_storecnt 0x0
	s_wait_loadcnt_dscnt 0x0
	s_barrier_signal -1
	s_barrier_wait -1
	global_inv scope:SCOPE_SE
	s_and_b32 vcc_lo, exec_lo, s0
	s_mov_b32 s0, -1
	s_wait_alu 0xfffe
	s_cbranch_vccz .LBB97_90
; %bb.80:
	v_add_co_u32 v7, s0, s20, v0
	s_wait_alu 0xf1ff
	v_add_co_ci_u32_e64 v8, null, s21, 0, s0
	s_mov_b32 s2, exec_lo
	v_cmpx_gt_i64_e64 s[22:23], v[7:8]
	s_cbranch_execz .LBB97_89
; %bb.81:
	s_lshl_b32 s0, s28, 3
	s_mov_b32 s3, 0
	s_wait_alu 0xfffe
	s_sub_co_i32 s4, 0, s0
	v_cmp_neq_f64_e32 vcc_lo, 0, v[5:6]
	s_branch .LBB97_83
.LBB97_82:                              ;   in Loop: Header=BB97_83 Depth=1
	s_wait_alu 0xfffe
	s_or_b32 exec_lo, exec_lo, s1
	v_add_co_u32 v7, s0, 0x100, v7
	s_wait_alu 0xf1ff
	v_add_co_ci_u32_e64 v8, null, 0, v8, s0
	v_add_co_u32 v1, s1, s24, v9
	s_wait_alu 0xf1ff
	v_add_co_ci_u32_e64 v2, null, s25, v10, s1
	s_delay_alu instid0(VALU_DEP_3)
	v_cmp_le_i64_e64 s0, s[22:23], v[7:8]
	global_store_b64 v[1:2], v[11:12], off
	s_or_b32 s3, s0, s3
	s_wait_alu 0xfffe
	s_and_not1_b32 exec_lo, exec_lo, s3
	s_cbranch_execz .LBB97_89
.LBB97_83:                              ; =>This Loop Header: Depth=1
                                        ;     Child Loop BB97_85 Depth 2
	v_lshlrev_b64_e32 v[9:10], 3, v[7:8]
	v_mov_b32_e32 v11, 0
	v_mov_b32_e32 v12, 0
	s_mov_b32 s1, exec_lo
	s_delay_alu instid0(VALU_DEP_3)
	v_add_co_u32 v1, s0, s12, v9
	s_wait_alu 0xf1ff
	v_add_co_ci_u32_e64 v2, null, s13, v10, s0
	global_load_b128 v[1:4], v[1:2], off
	s_wait_loadcnt 0x0
	v_cmpx_lt_i64_e64 v[1:2], v[3:4]
	s_cbranch_execz .LBB97_87
; %bb.84:                               ;   in Loop: Header=BB97_83 Depth=1
	v_sub_co_u32 v3, s0, v3, s28
	s_wait_alu 0xf1ff
	v_subrev_co_ci_u32_e64 v4, null, s29, v4, s0
	v_sub_co_u32 v13, s0, v1, s28
	v_mov_b32_e32 v11, 0
	s_wait_alu 0xf1ff
	v_subrev_co_ci_u32_e64 v14, null, s29, v2, s0
	v_mov_b32_e32 v12, 0
	s_wait_alu 0xfffe
	v_lshl_add_u32 v1, v1, 3, s4
	s_mov_b32 s5, 0
.LBB97_85:                              ;   Parent Loop BB97_83 Depth=1
                                        ; =>  This Inner Loop Header: Depth=2
	ds_load_b64 v[16:17], v1
	v_add_co_u32 v13, s0, v13, 1
	s_wait_alu 0xf1ff
	v_add_co_ci_u32_e64 v14, null, 0, v14, s0
	v_add_nc_u32_e32 v1, 8, v1
	s_delay_alu instid0(VALU_DEP_2)
	v_cmp_ge_i64_e64 s0, v[13:14], v[3:4]
	s_wait_alu 0xfffe
	s_or_b32 s5, s0, s5
	s_wait_dscnt 0x0
	v_add_f64_e32 v[11:12], v[11:12], v[16:17]
	s_wait_alu 0xfffe
	s_and_not1_b32 exec_lo, exec_lo, s5
	s_cbranch_execnz .LBB97_85
; %bb.86:                               ;   in Loop: Header=BB97_83 Depth=1
	s_or_b32 exec_lo, exec_lo, s5
.LBB97_87:                              ;   in Loop: Header=BB97_83 Depth=1
	s_wait_alu 0xfffe
	s_or_b32 exec_lo, exec_lo, s1
	s_and_saveexec_b32 s1, vcc_lo
	s_cbranch_execz .LBB97_82
; %bb.88:                               ;   in Loop: Header=BB97_83 Depth=1
	v_add_co_u32 v1, s0, s24, v9
	s_wait_alu 0xf1ff
	v_add_co_ci_u32_e64 v2, null, s25, v10, s0
	global_load_b64 v[1:2], v[1:2], off
	s_wait_loadcnt 0x0
	v_fma_f64 v[11:12], v[5:6], v[1:2], v[11:12]
	s_branch .LBB97_82
.LBB97_89:
	s_wait_alu 0xfffe
	s_or_b32 exec_lo, exec_lo, s2
	s_mov_b32 s0, 0
.LBB97_90:
	s_wait_alu 0xfffe
	s_and_not1_b32 vcc_lo, exec_lo, s0
	s_wait_alu 0xfffe
	s_cbranch_vccnz .LBB97_115
; %bb.91:
	s_clz_i32_u32 s0, s26
	s_add_co_i32 s1, s26, -1
	s_wait_alu 0xfffe
	s_min_u32 s0, s0, 32
	v_dual_mov_b32 v4, 0 :: v_dual_mov_b32 v7, 0
	s_wait_alu 0xfffe
	s_sub_co_i32 s0, 31, s0
	v_dual_mov_b32 v8, 0 :: v_dual_and_b32 v3, s1, v0
	s_wait_alu 0xfffe
	v_lshrrev_b32_e32 v9, s0, v0
	s_mov_b32 s1, exec_lo
	s_delay_alu instid0(VALU_DEP_1) | instskip(SKIP_2) | instid1(VALU_DEP_1)
	v_add_co_u32 v1, s0, s20, v9
	s_wait_alu 0xf1ff
	v_add_co_ci_u32_e64 v2, null, s21, 0, s0
	v_cmp_le_i64_e64 s0, s[22:23], v[1:2]
	v_cmpx_gt_i64_e64 s[22:23], v[1:2]
	s_cbranch_execz .LBB97_97
; %bb.92:
	v_lshlrev_b32_e32 v0, 3, v9
	global_load_b128 v[7:10], v0, s[30:31]
	v_sub_co_u32 v0, s2, v3, s28
	s_wait_alu 0xf1ff
	v_sub_co_ci_u32_e64 v12, null, 0, s29, s2
	s_mov_b32 s2, exec_lo
	s_wait_loadcnt 0x0
	v_sub_co_u32 v9, vcc_lo, v9, s28
	s_wait_alu 0xfffd
	v_subrev_co_ci_u32_e64 v10, null, s29, v10, vcc_lo
	v_add_co_u32 v11, vcc_lo, v7, v0
	s_wait_alu 0xfffd
	v_add_co_ci_u32_e64 v12, null, v8, v12, vcc_lo
	v_mov_b32_e32 v7, 0
	v_mov_b32_e32 v8, 0
	s_delay_alu instid0(VALU_DEP_3)
	v_cmpx_lt_i64_e64 v[11:12], v[9:10]
	s_cbranch_execz .LBB97_96
; %bb.93:
	v_dual_mov_b32 v7, 0 :: v_dual_lshlrev_b32 v0, 3, v11
	v_mov_b32_e32 v8, 0
	s_lshl_b32 s4, s26, 3
	s_mov_b32 s3, 0
.LBB97_94:                              ; =>This Inner Loop Header: Depth=1
	ds_load_b64 v[13:14], v0
	v_add_co_u32 v11, vcc_lo, v11, s26
	s_wait_alu 0xfffd
	v_add_co_ci_u32_e64 v12, null, s27, v12, vcc_lo
	s_wait_alu 0xfffe
	v_add_nc_u32_e32 v0, s4, v0
	s_delay_alu instid0(VALU_DEP_2)
	v_cmp_ge_i64_e32 vcc_lo, v[11:12], v[9:10]
	s_or_b32 s3, vcc_lo, s3
	s_wait_dscnt 0x0
	v_add_f64_e32 v[7:8], v[7:8], v[13:14]
	s_wait_alu 0xfffe
	s_and_not1_b32 exec_lo, exec_lo, s3
	s_cbranch_execnz .LBB97_94
; %bb.95:
	s_or_b32 exec_lo, exec_lo, s3
.LBB97_96:
	s_wait_alu 0xfffe
	s_or_b32 exec_lo, exec_lo, s2
.LBB97_97:
	s_wait_alu 0xfffe
	s_or_b32 exec_lo, exec_lo, s1
	v_cmp_gt_u64_e64 s1, 0x81, s[26:27]
	s_wait_loadcnt 0x0
	s_wait_storecnt 0x0
	s_barrier_signal -1
	s_barrier_wait -1
	global_inv scope:SCOPE_SE
	ds_store_b64 v15, v[7:8]
	s_and_b32 vcc_lo, exec_lo, s1
	s_wait_loadcnt_dscnt 0x0
	s_barrier_signal -1
	s_barrier_wait -1
	global_inv scope:SCOPE_SE
	s_wait_alu 0xfffe
	s_cbranch_vccnz .LBB97_99
; %bb.98:
	ds_load_b64 v[9:10], v15 offset:1024
	s_wait_loadcnt_dscnt 0x0
	s_barrier_signal -1
	s_barrier_wait -1
	global_inv scope:SCOPE_SE
	v_add_f64_e32 v[7:8], v[7:8], v[9:10]
	ds_store_b64 v15, v[7:8]
.LBB97_99:
	v_cmp_gt_u64_e64 s1, 0x41, s[26:27]
	s_wait_loadcnt_dscnt 0x0
	s_barrier_signal -1
	s_barrier_wait -1
	global_inv scope:SCOPE_SE
	s_and_b32 vcc_lo, exec_lo, s1
	s_wait_alu 0xfffe
	s_cbranch_vccnz .LBB97_101
; %bb.100:
	ds_load_b64 v[9:10], v15 offset:512
	s_wait_loadcnt_dscnt 0x0
	s_barrier_signal -1
	s_barrier_wait -1
	global_inv scope:SCOPE_SE
	v_add_f64_e32 v[7:8], v[7:8], v[9:10]
	ds_store_b64 v15, v[7:8]
.LBB97_101:
	v_cmp_lt_u64_e64 s1, s[26:27], 33
	s_wait_loadcnt_dscnt 0x0
	s_barrier_signal -1
	s_barrier_wait -1
	global_inv scope:SCOPE_SE
	s_and_b32 vcc_lo, exec_lo, s1
	s_wait_alu 0xfffe
	s_cbranch_vccnz .LBB97_103
; %bb.102:
	ds_load_b64 v[9:10], v15 offset:256
	s_wait_loadcnt_dscnt 0x0
	s_barrier_signal -1
	s_barrier_wait -1
	global_inv scope:SCOPE_SE
	v_add_f64_e32 v[7:8], v[7:8], v[9:10]
	ds_store_b64 v15, v[7:8]
.LBB97_103:
	v_cmp_lt_u64_e64 s1, s[26:27], 17
	;; [unrolled: 17-line block ×4, first 2 shown]
	s_wait_loadcnt_dscnt 0x0
	s_barrier_signal -1
	s_barrier_wait -1
	global_inv scope:SCOPE_SE
	s_and_b32 vcc_lo, exec_lo, s1
	s_wait_alu 0xfffe
	s_cbranch_vccnz .LBB97_109
; %bb.108:
	ds_load_b64 v[9:10], v15 offset:32
	s_wait_loadcnt_dscnt 0x0
	s_barrier_signal -1
	s_barrier_wait -1
	global_inv scope:SCOPE_SE
	v_add_f64_e32 v[7:8], v[7:8], v[9:10]
	ds_store_b64 v15, v[7:8]
.LBB97_109:
	s_cmp_eq_u64 s[26:27], 2
	s_wait_loadcnt_dscnt 0x0
	s_barrier_signal -1
	s_barrier_wait -1
	global_inv scope:SCOPE_SE
	s_cbranch_scc1 .LBB97_111
; %bb.110:
	ds_load_b64 v[9:10], v15 offset:16
	s_wait_loadcnt_dscnt 0x0
	s_barrier_signal -1
	s_barrier_wait -1
	global_inv scope:SCOPE_SE
	v_add_f64_e32 v[7:8], v[7:8], v[9:10]
	ds_store_b64 v15, v[7:8]
.LBB97_111:
	s_wait_loadcnt_dscnt 0x0
	s_barrier_signal -1
	s_barrier_wait -1
	global_inv scope:SCOPE_SE
	ds_load_b64 v[9:10], v15 offset:8
	v_cmp_eq_u64_e32 vcc_lo, 0, v[3:4]
	s_xor_b32 s0, s0, -1
	s_wait_loadcnt_dscnt 0x0
	s_barrier_signal -1
	s_barrier_wait -1
	global_inv scope:SCOPE_SE
	s_wait_alu 0xfffe
	s_and_b32 s0, vcc_lo, s0
	v_add_f64_e32 v[7:8], v[7:8], v[9:10]
	ds_store_b64 v15, v[7:8]
	s_wait_alu 0xfffe
	s_and_b32 exec_lo, exec_lo, s0
	s_cbranch_execz .LBB97_115
; %bb.112:
	v_lshlrev_b64_e32 v[0:1], 3, v[1:2]
	s_mov_b32 s0, exec_lo
	v_cmpx_neq_f64_e32 0, v[5:6]
	s_cbranch_execz .LBB97_114
; %bb.113:
	s_delay_alu instid0(VALU_DEP_2)
	v_add_co_u32 v2, vcc_lo, s24, v0
	s_wait_alu 0xfffd
	v_add_co_ci_u32_e64 v3, null, s25, v1, vcc_lo
	global_load_b64 v[2:3], v[2:3], off
	s_wait_loadcnt 0x0
	v_fma_f64 v[7:8], v[5:6], v[2:3], v[7:8]
.LBB97_114:
	s_wait_alu 0xfffe
	s_or_b32 exec_lo, exec_lo, s0
	v_add_co_u32 v0, vcc_lo, s24, v0
	s_wait_alu 0xfffd
	v_add_co_ci_u32_e64 v1, null, s25, v1, vcc_lo
	global_store_b64 v[0:1], v[7:8], off
.LBB97_115:
	s_endpgm
	.section	.rodata,"a",@progbits
	.p2align	6, 0x0
	.amdhsa_kernel _ZN9rocsparseL22csrmvn_adaptive_kernelIllfdddEEvbT_PKS1_PjPKT0_NS_24const_host_device_scalarIT4_EES3_S7_PKT1_PKT2_SA_PT3_21rocsparse_index_base_b
		.amdhsa_group_segment_fixed_size 8192
		.amdhsa_private_segment_fixed_size 0
		.amdhsa_kernarg_size 104
		.amdhsa_user_sgpr_count 2
		.amdhsa_user_sgpr_dispatch_ptr 0
		.amdhsa_user_sgpr_queue_ptr 0
		.amdhsa_user_sgpr_kernarg_segment_ptr 1
		.amdhsa_user_sgpr_dispatch_id 0
		.amdhsa_user_sgpr_private_segment_size 0
		.amdhsa_wavefront_size32 1
		.amdhsa_uses_dynamic_stack 0
		.amdhsa_enable_private_segment 0
		.amdhsa_system_sgpr_workgroup_id_x 1
		.amdhsa_system_sgpr_workgroup_id_y 0
		.amdhsa_system_sgpr_workgroup_id_z 0
		.amdhsa_system_sgpr_workgroup_info 0
		.amdhsa_system_vgpr_workitem_id 0
		.amdhsa_next_free_vgpr 22
		.amdhsa_next_free_sgpr 48
		.amdhsa_reserve_vcc 1
		.amdhsa_float_round_mode_32 0
		.amdhsa_float_round_mode_16_64 0
		.amdhsa_float_denorm_mode_32 3
		.amdhsa_float_denorm_mode_16_64 3
		.amdhsa_fp16_overflow 0
		.amdhsa_workgroup_processor_mode 1
		.amdhsa_memory_ordered 1
		.amdhsa_forward_progress 1
		.amdhsa_inst_pref_size 45
		.amdhsa_round_robin_scheduling 0
		.amdhsa_exception_fp_ieee_invalid_op 0
		.amdhsa_exception_fp_denorm_src 0
		.amdhsa_exception_fp_ieee_div_zero 0
		.amdhsa_exception_fp_ieee_overflow 0
		.amdhsa_exception_fp_ieee_underflow 0
		.amdhsa_exception_fp_ieee_inexact 0
		.amdhsa_exception_int_div_zero 0
	.end_amdhsa_kernel
	.section	.text._ZN9rocsparseL22csrmvn_adaptive_kernelIllfdddEEvbT_PKS1_PjPKT0_NS_24const_host_device_scalarIT4_EES3_S7_PKT1_PKT2_SA_PT3_21rocsparse_index_base_b,"axG",@progbits,_ZN9rocsparseL22csrmvn_adaptive_kernelIllfdddEEvbT_PKS1_PjPKT0_NS_24const_host_device_scalarIT4_EES3_S7_PKT1_PKT2_SA_PT3_21rocsparse_index_base_b,comdat
.Lfunc_end97:
	.size	_ZN9rocsparseL22csrmvn_adaptive_kernelIllfdddEEvbT_PKS1_PjPKT0_NS_24const_host_device_scalarIT4_EES3_S7_PKT1_PKT2_SA_PT3_21rocsparse_index_base_b, .Lfunc_end97-_ZN9rocsparseL22csrmvn_adaptive_kernelIllfdddEEvbT_PKS1_PjPKT0_NS_24const_host_device_scalarIT4_EES3_S7_PKT1_PKT2_SA_PT3_21rocsparse_index_base_b
                                        ; -- End function
	.set _ZN9rocsparseL22csrmvn_adaptive_kernelIllfdddEEvbT_PKS1_PjPKT0_NS_24const_host_device_scalarIT4_EES3_S7_PKT1_PKT2_SA_PT3_21rocsparse_index_base_b.num_vgpr, 22
	.set _ZN9rocsparseL22csrmvn_adaptive_kernelIllfdddEEvbT_PKS1_PjPKT0_NS_24const_host_device_scalarIT4_EES3_S7_PKT1_PKT2_SA_PT3_21rocsparse_index_base_b.num_agpr, 0
	.set _ZN9rocsparseL22csrmvn_adaptive_kernelIllfdddEEvbT_PKS1_PjPKT0_NS_24const_host_device_scalarIT4_EES3_S7_PKT1_PKT2_SA_PT3_21rocsparse_index_base_b.numbered_sgpr, 48
	.set _ZN9rocsparseL22csrmvn_adaptive_kernelIllfdddEEvbT_PKS1_PjPKT0_NS_24const_host_device_scalarIT4_EES3_S7_PKT1_PKT2_SA_PT3_21rocsparse_index_base_b.num_named_barrier, 0
	.set _ZN9rocsparseL22csrmvn_adaptive_kernelIllfdddEEvbT_PKS1_PjPKT0_NS_24const_host_device_scalarIT4_EES3_S7_PKT1_PKT2_SA_PT3_21rocsparse_index_base_b.private_seg_size, 0
	.set _ZN9rocsparseL22csrmvn_adaptive_kernelIllfdddEEvbT_PKS1_PjPKT0_NS_24const_host_device_scalarIT4_EES3_S7_PKT1_PKT2_SA_PT3_21rocsparse_index_base_b.uses_vcc, 1
	.set _ZN9rocsparseL22csrmvn_adaptive_kernelIllfdddEEvbT_PKS1_PjPKT0_NS_24const_host_device_scalarIT4_EES3_S7_PKT1_PKT2_SA_PT3_21rocsparse_index_base_b.uses_flat_scratch, 0
	.set _ZN9rocsparseL22csrmvn_adaptive_kernelIllfdddEEvbT_PKS1_PjPKT0_NS_24const_host_device_scalarIT4_EES3_S7_PKT1_PKT2_SA_PT3_21rocsparse_index_base_b.has_dyn_sized_stack, 0
	.set _ZN9rocsparseL22csrmvn_adaptive_kernelIllfdddEEvbT_PKS1_PjPKT0_NS_24const_host_device_scalarIT4_EES3_S7_PKT1_PKT2_SA_PT3_21rocsparse_index_base_b.has_recursion, 0
	.set _ZN9rocsparseL22csrmvn_adaptive_kernelIllfdddEEvbT_PKS1_PjPKT0_NS_24const_host_device_scalarIT4_EES3_S7_PKT1_PKT2_SA_PT3_21rocsparse_index_base_b.has_indirect_call, 0
	.section	.AMDGPU.csdata,"",@progbits
; Kernel info:
; codeLenInByte = 5708
; TotalNumSgprs: 50
; NumVgprs: 22
; ScratchSize: 0
; MemoryBound: 0
; FloatMode: 240
; IeeeMode: 1
; LDSByteSize: 8192 bytes/workgroup (compile time only)
; SGPRBlocks: 0
; VGPRBlocks: 2
; NumSGPRsForWavesPerEU: 50
; NumVGPRsForWavesPerEU: 22
; Occupancy: 16
; WaveLimiterHint : 1
; COMPUTE_PGM_RSRC2:SCRATCH_EN: 0
; COMPUTE_PGM_RSRC2:USER_SGPR: 2
; COMPUTE_PGM_RSRC2:TRAP_HANDLER: 0
; COMPUTE_PGM_RSRC2:TGID_X_EN: 1
; COMPUTE_PGM_RSRC2:TGID_Y_EN: 0
; COMPUTE_PGM_RSRC2:TGID_Z_EN: 0
; COMPUTE_PGM_RSRC2:TIDIG_COMP_CNT: 0
	.section	.text._ZN9rocsparseL27csrmvn_symm_adaptive_kernelIllfdddEEvbT_S1_PKS1_NS_24const_host_device_scalarIT4_EES3_PKT0_PKT1_PKT2_S6_PT3_21rocsparse_index_base_b,"axG",@progbits,_ZN9rocsparseL27csrmvn_symm_adaptive_kernelIllfdddEEvbT_S1_PKS1_NS_24const_host_device_scalarIT4_EES3_PKT0_PKT1_PKT2_S6_PT3_21rocsparse_index_base_b,comdat
	.globl	_ZN9rocsparseL27csrmvn_symm_adaptive_kernelIllfdddEEvbT_S1_PKS1_NS_24const_host_device_scalarIT4_EES3_PKT0_PKT1_PKT2_S6_PT3_21rocsparse_index_base_b ; -- Begin function _ZN9rocsparseL27csrmvn_symm_adaptive_kernelIllfdddEEvbT_S1_PKS1_NS_24const_host_device_scalarIT4_EES3_PKT0_PKT1_PKT2_S6_PT3_21rocsparse_index_base_b
	.p2align	8
	.type	_ZN9rocsparseL27csrmvn_symm_adaptive_kernelIllfdddEEvbT_S1_PKS1_NS_24const_host_device_scalarIT4_EES3_PKT0_PKT1_PKT2_S6_PT3_21rocsparse_index_base_b,@function
_ZN9rocsparseL27csrmvn_symm_adaptive_kernelIllfdddEEvbT_S1_PKS1_NS_24const_host_device_scalarIT4_EES3_PKT0_PKT1_PKT2_S6_PT3_21rocsparse_index_base_b: ; @_ZN9rocsparseL27csrmvn_symm_adaptive_kernelIllfdddEEvbT_S1_PKS1_NS_24const_host_device_scalarIT4_EES3_PKT0_PKT1_PKT2_S6_PT3_21rocsparse_index_base_b
; %bb.0:
	s_clause 0x2
	s_load_b64 s[24:25], s[0:1], 0x58
	s_load_b64 s[4:5], s[0:1], 0x20
	;; [unrolled: 1-line block ×3, first 2 shown]
	s_wait_kmcnt 0x0
	s_bitcmp1_b32 s25, 0
	v_dual_mov_b32 v11, s5 :: v_dual_mov_b32 v10, s4
	s_cselect_b32 s6, -1, 0
	s_delay_alu instid0(SALU_CYCLE_1)
	s_and_b32 vcc_lo, exec_lo, s6
	s_xor_b32 s6, s6, -1
	s_cbranch_vccnz .LBB98_2
; %bb.1:
	v_dual_mov_b32 v1, s4 :: v_dual_mov_b32 v2, s5
	flat_load_b64 v[10:11], v[1:2]
.LBB98_2:
	v_dual_mov_b32 v1, s2 :: v_dual_mov_b32 v2, s3
	s_and_not1_b32 vcc_lo, exec_lo, s6
	s_cbranch_vccnz .LBB98_4
; %bb.3:
	v_dual_mov_b32 v1, s2 :: v_dual_mov_b32 v2, s3
	flat_load_b64 v[1:2], v[1:2]
.LBB98_4:
	s_wait_loadcnt_dscnt 0x0
	v_cmp_neq_f64_e32 vcc_lo, 0, v[10:11]
	v_cmp_neq_f64_e64 s2, 1.0, v[1:2]
	s_or_b32 s2, vcc_lo, s2
	s_wait_alu 0xfffe
	s_and_saveexec_b32 s3, s2
	s_cbranch_execz .LBB98_167
; %bb.5:
	s_load_b64 s[4:5], s[0:1], 0x18
	s_mov_b32 s25, 0
	s_mov_b32 s2, ttmp9
	s_mov_b32 s6, s25
	s_mov_b32 s7, s25
	v_dual_mov_b32 v1, s6 :: v_dual_lshlrev_b32 v18, 3, v0
	s_ashr_i32 s3, ttmp9, 31
	v_mov_b32_e32 v2, s7
	s_wait_alu 0xfffe
	s_lshl_b64 s[2:3], s[2:3], 3
	ds_store_2addr_stride64_b64 v18, v[1:2], v[1:2] offset1:4
	ds_store_2addr_stride64_b64 v18, v[1:2], v[1:2] offset0:8 offset1:12
	s_wait_dscnt 0x0
	s_barrier_signal -1
	s_barrier_wait -1
	global_inv scope:SCOPE_SE
	s_wait_kmcnt 0x0
	s_wait_alu 0xfffe
	s_add_nc_u64 s[2:3], s[4:5], s[2:3]
	s_load_b128 s[16:19], s[2:3], 0x0
	s_clause 0x1
	s_load_b256 s[8:15], s[0:1], 0x28
	s_load_b64 s[20:21], s[0:1], 0x50
	s_wait_kmcnt 0x0
	s_sub_nc_u64 s[22:23], s[18:19], s[16:17]
	s_delay_alu instid0(SALU_CYCLE_1)
	v_cmp_gt_i64_e64 s2, s[22:23], 2
	s_and_b32 vcc_lo, exec_lo, s2
	s_mov_b32 s2, -1
	s_cbranch_vccnz .LBB98_41
; %bb.6:
	v_cmp_le_i64_e64 s2, s[18:19], s[16:17]
	v_sub_co_u32 v9, s3, v0, s24
	v_mov_b32_e32 v13, 0
	s_wait_alu 0xf1ff
	v_sub_co_ci_u32_e64 v12, null, 0, 0, s3
	s_wait_alu 0xfffe
	s_and_b32 vcc_lo, exec_lo, s2
	s_cbranch_vccnz .LBB98_30
; %bb.7:
	v_cmp_gt_u32_e64 s2, 0x100, v0
	v_cmp_gt_u32_e64 s3, 64, v0
	;; [unrolled: 1-line block ×4, first 2 shown]
	v_cmp_eq_u32_e64 s6, 0, v0
	s_mov_b64 s[26:27], s[16:17]
	s_branch .LBB98_9
.LBB98_8:                               ;   in Loop: Header=BB98_9 Depth=1
	s_wait_alu 0xfffe
	s_or_b32 exec_lo, exec_lo, s7
	s_add_nc_u64 s[26:27], s[26:27], 1
	s_wait_alu 0xfffe
	v_cmp_ge_i64_e64 s7, s[26:27], s[18:19]
	s_and_b32 vcc_lo, exec_lo, s7
	s_wait_alu 0xfffe
	s_cbranch_vccnz .LBB98_30
.LBB98_9:                               ; =>This Loop Header: Depth=1
                                        ;     Child Loop BB98_11 Depth 2
                                        ;     Child Loop BB98_25 Depth 2
	;; [unrolled: 1-line block ×3, first 2 shown]
	s_lshl_b64 s[28:29], s[26:27], 3
	v_mov_b32_e32 v3, 0
	s_add_nc_u64 s[30:31], s[8:9], s[28:29]
	v_mov_b32_e32 v4, 0
	s_load_b128 s[36:39], s[30:31], 0x0
	s_mov_b32 s33, exec_lo
	s_wait_kmcnt 0x0
	v_add_co_u32 v1, vcc_lo, s36, v9
	s_wait_alu 0xfffd
	v_add_co_ci_u32_e64 v2, null, s37, v12, vcc_lo
	s_sub_nc_u64 s[30:31], s[38:39], s[24:25]
	s_wait_alu 0xfffe
	v_cmpx_gt_i64_e64 s[30:31], v[1:2]
	s_cbranch_execz .LBB98_13
; %bb.10:                               ;   in Loop: Header=BB98_9 Depth=1
	v_lshlrev_b64_e32 v[5:6], 3, v[1:2]
	v_lshlrev_b64_e32 v[7:8], 2, v[1:2]
	v_mov_b32_e32 v3, 0
	v_mov_b32_e32 v4, 0
	s_mov_b32 s34, 0
	s_delay_alu instid0(VALU_DEP_4)
	v_add_co_u32 v5, vcc_lo, s10, v5
	s_wait_alu 0xfffd
	v_add_co_ci_u32_e64 v6, null, s11, v6, vcc_lo
	v_add_co_u32 v7, vcc_lo, s12, v7
	s_wait_alu 0xfffd
	v_add_co_ci_u32_e64 v8, null, s13, v8, vcc_lo
.LBB98_11:                              ;   Parent Loop BB98_9 Depth=1
                                        ; =>  This Inner Loop Header: Depth=2
	global_load_b64 v[14:15], v[5:6], off
	global_load_b32 v16, v[7:8], off
	v_add_co_u32 v7, s7, 0x400, v7
	s_wait_alu 0xf1ff
	v_add_co_ci_u32_e64 v8, null, 0, v8, s7
	s_wait_loadcnt 0x1
	v_sub_co_u32 v14, vcc_lo, v14, s24
	s_wait_alu 0xfffd
	v_subrev_co_ci_u32_e64 v15, null, 0, v15, vcc_lo
	s_wait_loadcnt 0x0
	v_cvt_f64_f32_e32 v[16:17], v16
	s_delay_alu instid0(VALU_DEP_2) | instskip(NEXT) | instid1(VALU_DEP_1)
	v_lshlrev_b64_e32 v[14:15], 3, v[14:15]
	v_add_co_u32 v14, vcc_lo, s14, v14
	s_wait_alu 0xfffd
	s_delay_alu instid0(VALU_DEP_2)
	v_add_co_ci_u32_e64 v15, null, s15, v15, vcc_lo
	v_add_co_u32 v1, vcc_lo, 0x100, v1
	s_wait_alu 0xfffd
	v_add_co_ci_u32_e64 v2, null, 0, v2, vcc_lo
	global_load_b64 v[14:15], v[14:15], off
	v_add_co_u32 v5, vcc_lo, 0x800, v5
	s_wait_alu 0xfffd
	v_add_co_ci_u32_e64 v6, null, 0, v6, vcc_lo
	v_cmp_le_i64_e32 vcc_lo, s[30:31], v[1:2]
	s_wait_alu 0xfffe
	s_or_b32 s34, vcc_lo, s34
	s_wait_loadcnt 0x0
	v_fma_f64 v[3:4], v[16:17], v[14:15], v[3:4]
	s_wait_alu 0xfffe
	s_and_not1_b32 exec_lo, exec_lo, s34
	s_cbranch_execnz .LBB98_11
; %bb.12:                               ;   in Loop: Header=BB98_9 Depth=1
	s_or_b32 exec_lo, exec_lo, s34
.LBB98_13:                              ;   in Loop: Header=BB98_9 Depth=1
	s_delay_alu instid0(SALU_CYCLE_1)
	s_or_b32 exec_lo, exec_lo, s33
	ds_store_b64 v18, v[3:4]
	s_wait_loadcnt_dscnt 0x0
	s_barrier_signal -1
	s_barrier_wait -1
	global_inv scope:SCOPE_SE
	s_and_saveexec_b32 s7, s2
	s_cbranch_execz .LBB98_15
; %bb.14:                               ;   in Loop: Header=BB98_9 Depth=1
	ds_load_2addr_stride64_b64 v[1:4], v18 offset1:4
	ds_load_2addr_stride64_b64 v[5:8], v18 offset0:8 offset1:12
	s_wait_dscnt 0x0
	v_add_f64_e32 v[3:4], v[3:4], v[5:6]
	s_delay_alu instid0(VALU_DEP_1) | instskip(NEXT) | instid1(VALU_DEP_1)
	v_add_f64_e32 v[3:4], v[3:4], v[7:8]
	v_add_f64_e32 v[1:2], v[1:2], v[3:4]
	ds_store_b64 v18, v[1:2]
.LBB98_15:                              ;   in Loop: Header=BB98_9 Depth=1
	s_wait_alu 0xfffe
	s_or_b32 exec_lo, exec_lo, s7
	s_wait_loadcnt_dscnt 0x0
	s_barrier_signal -1
	s_barrier_wait -1
	global_inv scope:SCOPE_SE
	s_and_saveexec_b32 s7, s3
	s_cbranch_execz .LBB98_17
; %bb.16:                               ;   in Loop: Header=BB98_9 Depth=1
	ds_load_2addr_stride64_b64 v[1:4], v18 offset1:1
	ds_load_2addr_stride64_b64 v[5:8], v18 offset0:2 offset1:3
	s_wait_dscnt 0x0
	v_add_f64_e32 v[3:4], v[3:4], v[5:6]
	s_delay_alu instid0(VALU_DEP_1) | instskip(NEXT) | instid1(VALU_DEP_1)
	v_add_f64_e32 v[3:4], v[3:4], v[7:8]
	v_add_f64_e32 v[1:2], v[1:2], v[3:4]
	ds_store_b64 v18, v[1:2]
.LBB98_17:                              ;   in Loop: Header=BB98_9 Depth=1
	s_wait_alu 0xfffe
	s_or_b32 exec_lo, exec_lo, s7
	s_wait_loadcnt_dscnt 0x0
	s_barrier_signal -1
	s_barrier_wait -1
	global_inv scope:SCOPE_SE
	s_and_saveexec_b32 s7, s4
	s_cbranch_execz .LBB98_19
; %bb.18:                               ;   in Loop: Header=BB98_9 Depth=1
	ds_load_2addr_b64 v[1:4], v18 offset1:16
	ds_load_2addr_b64 v[5:8], v18 offset0:32 offset1:48
	s_wait_dscnt 0x0
	v_add_f64_e32 v[3:4], v[3:4], v[5:6]
	s_delay_alu instid0(VALU_DEP_1) | instskip(NEXT) | instid1(VALU_DEP_1)
	v_add_f64_e32 v[3:4], v[3:4], v[7:8]
	v_add_f64_e32 v[1:2], v[1:2], v[3:4]
	ds_store_b64 v18, v[1:2]
.LBB98_19:                              ;   in Loop: Header=BB98_9 Depth=1
	s_wait_alu 0xfffe
	s_or_b32 exec_lo, exec_lo, s7
	s_wait_loadcnt_dscnt 0x0
	s_barrier_signal -1
	s_barrier_wait -1
	global_inv scope:SCOPE_SE
	s_and_saveexec_b32 s7, s5
	s_cbranch_execz .LBB98_21
; %bb.20:                               ;   in Loop: Header=BB98_9 Depth=1
	ds_load_2addr_b64 v[1:4], v18 offset1:4
	ds_load_2addr_b64 v[5:8], v18 offset0:8 offset1:12
	s_wait_dscnt 0x0
	v_add_f64_e32 v[3:4], v[3:4], v[5:6]
	s_delay_alu instid0(VALU_DEP_1) | instskip(NEXT) | instid1(VALU_DEP_1)
	v_add_f64_e32 v[3:4], v[3:4], v[7:8]
	v_add_f64_e32 v[1:2], v[1:2], v[3:4]
	ds_store_b64 v18, v[1:2]
.LBB98_21:                              ;   in Loop: Header=BB98_9 Depth=1
	s_wait_alu 0xfffe
	s_or_b32 exec_lo, exec_lo, s7
	s_wait_loadcnt_dscnt 0x0
	s_barrier_signal -1
	s_barrier_wait -1
	global_inv scope:SCOPE_SE
	s_and_saveexec_b32 s7, s6
	s_cbranch_execz .LBB98_23
; %bb.22:                               ;   in Loop: Header=BB98_9 Depth=1
	ds_load_2addr_b64 v[1:4], v13 offset0:1 offset1:2
	ds_load_b64 v[5:6], v18
	s_wait_dscnt 0x1
	v_add_f64_e32 v[1:2], v[1:2], v[3:4]
	ds_load_b64 v[3:4], v13 offset:24
	s_wait_dscnt 0x0
	v_add_f64_e32 v[1:2], v[1:2], v[3:4]
	s_delay_alu instid0(VALU_DEP_1)
	v_add_f64_e32 v[1:2], v[5:6], v[1:2]
	ds_store_b64 v18, v[1:2]
.LBB98_23:                              ;   in Loop: Header=BB98_9 Depth=1
	s_wait_alu 0xfffe
	s_or_b32 exec_lo, exec_lo, s7
	s_wait_loadcnt_dscnt 0x0
	s_barrier_signal -1
	s_barrier_wait -1
	global_inv scope:SCOPE_SE
	s_and_saveexec_b32 s7, s6
	s_cbranch_execz .LBB98_8
; %bb.24:                               ;   in Loop: Header=BB98_9 Depth=1
	ds_load_b64 v[1:2], v13
	v_mov_b32_e32 v5, 0
	v_bfrev_b32_e32 v6, 1
	s_mov_b32 s30, exec_lo
	s_wait_dscnt 0x0
	v_mul_f64_e32 v[1:2], v[10:11], v[1:2]
.LBB98_25:                              ;   Parent Loop BB98_9 Depth=1
                                        ; =>  This Inner Loop Header: Depth=2
	s_wait_alu 0xfffe
	s_ctz_i32_b32 s31, s30
	s_wait_alu 0xfffe
	s_delay_alu instid0(VALU_DEP_1) | instskip(NEXT) | instid1(VALU_DEP_2)
	v_readlane_b32 s35, v2, s31
	v_readlane_b32 s34, v1, s31
	s_lshl_b32 s31, 1, s31
	s_wait_alu 0xfffe
	s_and_not1_b32 s30, s30, s31
	v_add_f64_e32 v[5:6], s[34:35], v[5:6]
	s_wait_alu 0xfffe
	s_cmp_lg_u32 s30, 0
	s_cbranch_scc1 .LBB98_25
; %bb.26:                               ;   in Loop: Header=BB98_9 Depth=1
	v_mbcnt_lo_u32_b32 v1, exec_lo, 0
	s_mov_b32 s30, exec_lo
	s_delay_alu instid0(VALU_DEP_1)
	v_cmpx_eq_u32_e32 0, v1
	s_wait_alu 0xfffe
	s_xor_b32 s30, exec_lo, s30
	s_cbranch_execz .LBB98_8
; %bb.27:                               ;   in Loop: Header=BB98_9 Depth=1
	s_add_nc_u64 s[28:29], s[20:21], s[28:29]
	s_mov_b32 s30, 0
	global_load_b64 v[3:4], v13, s[28:29]
.LBB98_28:                              ;   Parent Loop BB98_9 Depth=1
                                        ; =>  This Inner Loop Header: Depth=2
	s_wait_loadcnt 0x0
	v_add_f64_e32 v[1:2], v[3:4], v[5:6]
	global_atomic_cmpswap_b64 v[1:2], v13, v[1:4], s[28:29] th:TH_ATOMIC_RETURN scope:SCOPE_DEV
	s_wait_loadcnt 0x0
	v_cmp_eq_u64_e32 vcc_lo, v[1:2], v[3:4]
	v_dual_mov_b32 v4, v2 :: v_dual_mov_b32 v3, v1
	s_wait_alu 0xfffe
	s_or_b32 s30, vcc_lo, s30
	s_wait_alu 0xfffe
	s_and_not1_b32 exec_lo, exec_lo, s30
	s_cbranch_execnz .LBB98_28
; %bb.29:                               ;   in Loop: Header=BB98_9 Depth=1
	s_or_b32 exec_lo, exec_lo, s30
	s_branch .LBB98_8
.LBB98_30:
	s_lshl_b64 s[2:3], s[16:17], 3
	s_lshl_b64 s[4:5], s[18:19], 3
	s_wait_alu 0xfffe
	s_add_nc_u64 s[2:3], s[8:9], s[2:3]
	s_add_nc_u64 s[4:5], s[8:9], s[4:5]
	s_clause 0x1
	s_load_b64 s[2:3], s[2:3], 0x0
	s_load_b64 s[4:5], s[4:5], 0x0
	s_wait_kmcnt 0x0
	v_add_co_u32 v5, vcc_lo, s2, v9
	s_wait_alu 0xfffd
	v_add_co_ci_u32_e64 v6, null, s3, v12, vcc_lo
	s_sub_nc_u64 s[4:5], s[4:5], s[24:25]
	s_mov_b32 s3, exec_lo
	s_wait_alu 0xfffe
	v_cmpx_gt_i64_e64 s[4:5], v[5:6]
	s_cbranch_execz .LBB98_40
; %bb.31:
	s_add_nc_u64 s[6:7], s[18:19], -1
	s_add_nc_u64 s[26:27], s[18:19], -2
	s_wait_alu 0xfffe
	v_cmp_lt_i64_e64 s2, s[16:17], s[6:7]
	s_cmp_lg_u64 s[16:17], s[26:27]
	s_mov_b32 s26, 0
	s_cselect_b32 s25, -1, 0
	s_wait_alu 0xfffe
	s_and_b32 s25, s2, s25
	s_branch .LBB98_33
.LBB98_32:                              ;   in Loop: Header=BB98_33 Depth=1
	s_wait_alu 0xfffe
	s_or_b32 exec_lo, exec_lo, s2
	v_add_co_u32 v5, vcc_lo, 0x100, v5
	s_wait_alu 0xfffd
	v_add_co_ci_u32_e64 v6, null, 0, v6, vcc_lo
	s_delay_alu instid0(VALU_DEP_1)
	v_cmp_le_i64_e32 vcc_lo, s[4:5], v[5:6]
	s_or_b32 s26, vcc_lo, s26
	s_wait_alu 0xfffe
	s_and_not1_b32 exec_lo, exec_lo, s26
	s_cbranch_execz .LBB98_40
.LBB98_33:                              ; =>This Loop Header: Depth=1
                                        ;     Child Loop BB98_35 Depth 2
                                        ;     Child Loop BB98_39 Depth 2
	v_dual_mov_b32 v1, s16 :: v_dual_mov_b32 v2, s17
	v_dual_mov_b32 v3, s6 :: v_dual_mov_b32 v4, s7
	s_wait_alu 0xfffe
	s_and_not1_b32 vcc_lo, exec_lo, s25
	s_wait_alu 0xfffe
	s_cbranch_vccnz .LBB98_37
; %bb.34:                               ;   in Loop: Header=BB98_33 Depth=1
	v_dual_mov_b32 v1, s16 :: v_dual_mov_b32 v2, s17
	v_dual_mov_b32 v3, s6 :: v_dual_mov_b32 v4, s7
	s_mov_b32 s27, 0
.LBB98_35:                              ;   Parent Loop BB98_33 Depth=1
                                        ; =>  This Inner Loop Header: Depth=2
	s_delay_alu instid0(VALU_DEP_1) | instskip(SKIP_1) | instid1(VALU_DEP_2)
	v_add_co_u32 v7, vcc_lo, v3, v1
	s_wait_alu 0xfffd
	v_add_co_ci_u32_e64 v8, null, v4, v2, vcc_lo
	s_delay_alu instid0(VALU_DEP_1) | instskip(NEXT) | instid1(VALU_DEP_1)
	v_lshrrev_b32_e32 v9, 31, v8
	v_add_co_u32 v7, vcc_lo, v7, v9
	s_wait_alu 0xfffd
	v_add_co_ci_u32_e64 v8, null, 0, v8, vcc_lo
	s_delay_alu instid0(VALU_DEP_1) | instskip(NEXT) | instid1(VALU_DEP_1)
	v_ashrrev_i64 v[7:8], 1, v[7:8]
	v_lshlrev_b64_e32 v[12:13], 3, v[7:8]
	s_delay_alu instid0(VALU_DEP_1) | instskip(SKIP_1) | instid1(VALU_DEP_2)
	v_add_co_u32 v12, vcc_lo, s8, v12
	s_wait_alu 0xfffd
	v_add_co_ci_u32_e64 v13, null, s9, v13, vcc_lo
	global_load_b64 v[12:13], v[12:13], off
	s_wait_loadcnt 0x0
	v_sub_co_u32 v12, vcc_lo, v12, s24
	s_wait_alu 0xfffd
	v_subrev_co_ci_u32_e64 v13, null, 0, v13, vcc_lo
	s_delay_alu instid0(VALU_DEP_1) | instskip(SKIP_3) | instid1(VALU_DEP_2)
	v_cmp_lt_i64_e32 vcc_lo, v[5:6], v[12:13]
	s_wait_alu 0xfffd
	v_dual_cndmask_b32 v4, v4, v8 :: v_dual_cndmask_b32 v3, v3, v7
	v_dual_cndmask_b32 v2, v8, v2 :: v_dual_cndmask_b32 v1, v7, v1
	v_add_co_u32 v7, vcc_lo, v3, -1
	s_wait_alu 0xfffd
	s_delay_alu instid0(VALU_DEP_3) | instskip(NEXT) | instid1(VALU_DEP_3)
	v_add_co_ci_u32_e64 v8, null, -1, v4, vcc_lo
	v_cmp_ge_i64_e32 vcc_lo, v[1:2], v[3:4]
	s_delay_alu instid0(VALU_DEP_2)
	v_cmp_eq_u64_e64 s2, v[1:2], v[7:8]
	s_or_b32 s2, vcc_lo, s2
	s_wait_alu 0xfffe
	s_and_b32 s2, exec_lo, s2
	s_wait_alu 0xfffe
	s_or_b32 s27, s2, s27
	s_wait_alu 0xfffe
	s_and_not1_b32 exec_lo, exec_lo, s27
	s_cbranch_execnz .LBB98_35
; %bb.36:                               ;   in Loop: Header=BB98_33 Depth=1
	s_or_b32 exec_lo, exec_lo, s27
.LBB98_37:                              ;   in Loop: Header=BB98_33 Depth=1
	v_lshlrev_b64_e32 v[7:8], 3, v[3:4]
	v_lshlrev_b64_e32 v[12:13], 3, v[5:6]
	s_mov_b32 s2, exec_lo
	s_delay_alu instid0(VALU_DEP_2) | instskip(SKIP_1) | instid1(VALU_DEP_3)
	v_add_co_u32 v7, vcc_lo, s8, v7
	s_wait_alu 0xfffd
	v_add_co_ci_u32_e64 v8, null, s9, v8, vcc_lo
	s_delay_alu instid0(VALU_DEP_3)
	v_add_co_u32 v12, vcc_lo, s10, v12
	s_wait_alu 0xfffd
	v_add_co_ci_u32_e64 v13, null, s11, v13, vcc_lo
	global_load_b64 v[7:8], v[7:8], off
	global_load_b64 v[12:13], v[12:13], off
	s_wait_loadcnt 0x1
	v_sub_co_u32 v7, vcc_lo, v7, s24
	s_wait_alu 0xfffd
	v_subrev_co_ci_u32_e64 v8, null, 0, v8, vcc_lo
	s_delay_alu instid0(VALU_DEP_1)
	v_cmp_lt_i64_e32 vcc_lo, v[5:6], v[7:8]
	s_wait_alu 0xfffd
	v_dual_cndmask_b32 v4, v4, v2 :: v_dual_cndmask_b32 v3, v3, v1
	s_wait_loadcnt 0x0
	v_sub_co_u32 v1, vcc_lo, v12, s24
	s_wait_alu 0xfffd
	v_subrev_co_ci_u32_e64 v2, null, 0, v13, vcc_lo
	s_delay_alu instid0(VALU_DEP_1)
	v_cmpx_ne_u64_e64 v[1:2], v[3:4]
	s_cbranch_execz .LBB98_32
; %bb.38:                               ;   in Loop: Header=BB98_33 Depth=1
	v_lshlrev_b64_e32 v[7:8], 2, v[5:6]
	v_lshlrev_b64_e32 v[3:4], 3, v[3:4]
	;; [unrolled: 1-line block ×3, first 2 shown]
	s_mov_b32 s27, 0
	s_delay_alu instid0(VALU_DEP_3)
	v_add_co_u32 v7, vcc_lo, s12, v7
	s_wait_alu 0xfffd
	v_add_co_ci_u32_e64 v8, null, s13, v8, vcc_lo
	v_add_co_u32 v3, vcc_lo, s14, v3
	s_wait_alu 0xfffd
	v_add_co_ci_u32_e64 v4, null, s15, v4, vcc_lo
	global_load_b32 v9, v[7:8], off
	v_add_co_u32 v7, vcc_lo, s20, v1
	global_load_b64 v[12:13], v[3:4], off
	s_wait_alu 0xfffd
	v_add_co_ci_u32_e64 v8, null, s21, v2, vcc_lo
	global_load_b64 v[3:4], v[7:8], off
	s_wait_loadcnt 0x2
	v_cvt_f64_f32_e32 v[1:2], v9
	s_delay_alu instid0(VALU_DEP_1) | instskip(SKIP_1) | instid1(VALU_DEP_1)
	v_mul_f64_e32 v[1:2], v[10:11], v[1:2]
	s_wait_loadcnt 0x1
	v_mul_f64_e32 v[12:13], v[12:13], v[1:2]
.LBB98_39:                              ;   Parent Loop BB98_33 Depth=1
                                        ; =>  This Inner Loop Header: Depth=2
	s_wait_loadcnt 0x0
	s_delay_alu instid0(VALU_DEP_1)
	v_add_f64_e32 v[1:2], v[3:4], v[12:13]
	global_atomic_cmpswap_b64 v[1:2], v[7:8], v[1:4], off th:TH_ATOMIC_RETURN scope:SCOPE_DEV
	s_wait_loadcnt 0x0
	v_cmp_eq_u64_e32 vcc_lo, v[1:2], v[3:4]
	v_dual_mov_b32 v4, v2 :: v_dual_mov_b32 v3, v1
	s_wait_alu 0xfffe
	s_or_b32 s27, vcc_lo, s27
	s_wait_alu 0xfffe
	s_and_not1_b32 exec_lo, exec_lo, s27
	s_cbranch_execnz .LBB98_39
	s_branch .LBB98_32
.LBB98_40:
	s_or_b32 exec_lo, exec_lo, s3
	s_mov_b32 s2, 0
.LBB98_41:
	s_wait_alu 0xfffe
	s_and_b32 vcc_lo, exec_lo, s2
	s_wait_alu 0xfffe
	s_cbranch_vccz .LBB98_167
; %bb.42:
	s_load_b32 s2, s[0:1], 0x6c
	s_mov_b32 s25, 0
	s_mov_b64 s[28:29], 0
	s_wait_alu 0xfffe
	s_mov_b32 s7, s25
	s_wait_kmcnt 0x0
	s_and_b32 s6, s2, 0xffff
	s_wait_alu 0xfffe
	v_cmp_lt_u64_e64 s2, s[6:7], s[22:23]
	s_and_b32 vcc_lo, exec_lo, s2
	s_wait_alu 0xfffe
	s_cbranch_vccnz .LBB98_44
; %bb.43:
	v_cvt_f32_u32_e32 v1, s22
	s_sub_co_i32 s3, 0, s22
	s_delay_alu instid0(VALU_DEP_1) | instskip(NEXT) | instid1(TRANS32_DEP_1)
	v_rcp_iflag_f32_e32 v1, v1
	v_mul_f32_e32 v1, 0x4f7ffffe, v1
	s_delay_alu instid0(VALU_DEP_1) | instskip(NEXT) | instid1(VALU_DEP_1)
	v_cvt_u32_f32_e32 v1, v1
	v_readfirstlane_b32 s2, v1
	s_wait_alu 0xfffe
	s_mul_i32 s3, s3, s2
	s_wait_alu 0xfffe
	s_mul_hi_u32 s3, s2, s3
	s_wait_alu 0xfffe
	s_add_co_i32 s2, s2, s3
	s_wait_alu 0xfffe
	s_mul_hi_u32 s2, s6, s2
	s_wait_alu 0xfffe
	s_mul_i32 s3, s2, s22
	s_add_co_i32 s4, s2, 1
	s_wait_alu 0xfffe
	s_sub_co_i32 s3, s6, s3
	s_wait_alu 0xfffe
	s_sub_co_i32 s5, s3, s22
	s_cmp_ge_u32 s3, s22
	s_cselect_b32 s2, s4, s2
	s_wait_alu 0xfffe
	s_cselect_b32 s3, s5, s3
	s_add_co_i32 s4, s2, 1
	s_wait_alu 0xfffe
	s_cmp_ge_u32 s3, s22
	s_cselect_b32 s28, s4, s2
.LBB98_44:
	s_lshl_b64 s[2:3], s[16:17], 3
	v_sub_co_u32 v1, s7, v0, s24
	s_wait_alu 0xfffe
	s_add_nc_u64 s[26:27], s[8:9], s[2:3]
	s_load_b64 s[4:5], s[26:27], 0x0
	s_load_b128 s[0:3], s[0:1], 0x8
	v_sub_co_ci_u32_e64 v2, null, 0, 0, s7
	s_wait_kmcnt 0x0
	v_add_co_u32 v6, vcc_lo, s4, v1
	s_wait_alu 0xfffd
	s_delay_alu instid0(VALU_DEP_2) | instskip(SKIP_1) | instid1(VALU_DEP_3)
	v_add_co_ci_u32_e64 v7, null, s5, v2, vcc_lo
	v_mov_b32_e32 v1, 0
	v_add_co_u32 v8, vcc_lo, 0x300, v6
	s_wait_alu 0xfffd
	s_delay_alu instid0(VALU_DEP_3) | instskip(NEXT) | instid1(VALU_DEP_1)
	v_add_co_ci_u32_e64 v9, null, 0, v7, vcc_lo
	v_cmp_le_i64_e32 vcc_lo, s[0:1], v[8:9]
	s_and_saveexec_b32 s0, vcc_lo
	s_wait_alu 0xfffe
	s_xor_b32 s7, exec_lo, s0
	s_cbranch_execnz .LBB98_47
; %bb.45:
	s_wait_alu 0xfffe
	s_and_not1_saveexec_b32 s1, s7
	s_cbranch_execnz .LBB98_51
.LBB98_46:
	s_wait_alu 0xfffe
	s_or_b32 exec_lo, exec_lo, s1
	s_delay_alu instid0(SALU_CYCLE_1)
	s_mov_b32 s1, exec_lo
	v_cmpx_gt_i64_e64 s[2:3], v[0:1]
	s_cbranch_execnz .LBB98_52
	s_branch .LBB98_54
.LBB98_47:
	s_lshl_b64 s[0:1], s[18:19], 3
	s_mov_b32 s29, exec_lo
	s_wait_alu 0xfffe
	s_add_nc_u64 s[0:1], s[8:9], s[0:1]
	s_load_b64 s[0:1], s[0:1], 0x0
	s_wait_kmcnt 0x0
	s_sub_nc_u64 s[30:31], s[0:1], s[4:5]
	s_wait_alu 0xfffe
	v_cmpx_gt_i64_e64 s[30:31], v[0:1]
	s_cbranch_execz .LBB98_50
; %bb.48:
	v_lshlrev_b64_e32 v[2:3], 2, v[6:7]
	v_dual_mov_b32 v12, v18 :: v_dual_mov_b32 v5, v1
	v_mov_b32_e32 v4, v0
	s_mov_b32 s33, 0
	s_delay_alu instid0(VALU_DEP_3)
	v_add_co_u32 v2, s0, s12, v2
	s_wait_alu 0xf1ff
	v_add_co_ci_u32_e64 v3, null, s13, v3, s0
.LBB98_49:                              ; =>This Inner Loop Header: Depth=1
	global_load_b32 v13, v[2:3], off
	v_add_co_u32 v4, s0, 0x100, v4
	s_wait_alu 0xf1ff
	v_add_co_ci_u32_e64 v5, null, 0, v5, s0
	v_add_co_u32 v2, s0, 0x400, v2
	s_wait_alu 0xf1ff
	v_add_co_ci_u32_e64 v3, null, 0, v3, s0
	s_delay_alu instid0(VALU_DEP_3) | instskip(SKIP_3) | instid1(VALU_DEP_1)
	v_cmp_le_i64_e64 s1, s[30:31], v[4:5]
	s_or_b32 s33, s1, s33
	s_wait_loadcnt 0x0
	v_cvt_f64_f32_e32 v[13:14], v13
	v_mul_f64_e32 v[13:14], v[10:11], v[13:14]
	ds_store_b64 v12, v[13:14]
	v_add_nc_u32_e32 v12, 0x800, v12
	s_and_not1_b32 exec_lo, exec_lo, s33
	s_cbranch_execnz .LBB98_49
.LBB98_50:
	s_or_b32 exec_lo, exec_lo, s29
                                        ; implicit-def: $vgpr10_vgpr11
	s_and_not1_saveexec_b32 s1, s7
	s_cbranch_execz .LBB98_46
.LBB98_51:
	v_lshlrev_b64_e32 v[2:3], 2, v[6:7]
	s_delay_alu instid0(VALU_DEP_1) | instskip(SKIP_1) | instid1(VALU_DEP_2)
	v_add_co_u32 v2, s0, s12, v2
	s_wait_alu 0xf1ff
	v_add_co_ci_u32_e64 v3, null, s13, v3, s0
	s_clause 0x3
	global_load_b32 v4, v[2:3], off
	global_load_b32 v5, v[2:3], off offset:1024
	global_load_b32 v12, v[2:3], off offset:2048
	;; [unrolled: 1-line block ×3, first 2 shown]
	s_wait_loadcnt 0x3
	v_cvt_f64_f32_e32 v[2:3], v4
	s_wait_loadcnt 0x2
	v_cvt_f64_f32_e32 v[4:5], v5
	;; [unrolled: 2-line block ×4, first 2 shown]
	s_delay_alu instid0(VALU_DEP_4) | instskip(NEXT) | instid1(VALU_DEP_4)
	v_mul_f64_e32 v[2:3], v[10:11], v[2:3]
	v_mul_f64_e32 v[4:5], v[10:11], v[4:5]
	s_delay_alu instid0(VALU_DEP_4) | instskip(NEXT) | instid1(VALU_DEP_4)
	v_mul_f64_e32 v[12:13], v[10:11], v[12:13]
	v_mul_f64_e32 v[10:11], v[10:11], v[14:15]
	ds_store_2addr_stride64_b64 v18, v[2:3], v[4:5] offset1:4
	ds_store_2addr_stride64_b64 v18, v[12:13], v[10:11] offset0:8 offset1:12
	s_wait_alu 0xfffe
	s_or_b32 exec_lo, exec_lo, s1
	s_delay_alu instid0(SALU_CYCLE_1)
	s_mov_b32 s1, exec_lo
	v_cmpx_gt_i64_e64 s[2:3], v[0:1]
	s_cbranch_execz .LBB98_54
.LBB98_52:
	v_dual_mov_b32 v2, 0 :: v_dual_mov_b32 v5, v1
	v_lshl_add_u32 v10, v0, 3, 0x2000
	s_mov_b32 s7, 0
	s_delay_alu instid0(VALU_DEP_2)
	v_dual_mov_b32 v4, v0 :: v_dual_mov_b32 v3, v2
.LBB98_53:                              ; =>This Inner Loop Header: Depth=1
	s_delay_alu instid0(VALU_DEP_1)
	v_add_co_u32 v4, s0, 0x100, v4
	s_wait_alu 0xf1ff
	v_add_co_ci_u32_e64 v5, null, 0, v5, s0
	ds_store_b64 v10, v[2:3]
	v_add_nc_u32_e32 v10, 0x800, v10
	v_cmp_le_i64_e64 s0, s[2:3], v[4:5]
	s_wait_alu 0xfffe
	s_or_b32 s7, s0, s7
	s_wait_alu 0xfffe
	s_and_not1_b32 exec_lo, exec_lo, s7
	s_cbranch_execnz .LBB98_53
.LBB98_54:
	s_wait_alu 0xfffe
	s_or_b32 exec_lo, exec_lo, s1
	v_cmp_ge_i64_e64 s7, s[18:19], s[2:3]
	s_sub_nc_u64 s[0:1], s[18:19], s[2:3]
	s_wait_loadcnt_dscnt 0x0
	s_barrier_signal -1
	s_barrier_wait -1
	global_inv scope:SCOPE_SE
	s_and_b32 s7, s7, exec_lo
	s_wait_alu 0xfffe
	s_cselect_b32 s13, s1, 0
	s_cselect_b32 s12, s0, 0
	s_and_saveexec_b32 s0, vcc_lo
	s_wait_alu 0xfffe
	s_xor_b32 s7, exec_lo, s0
	s_cbranch_execz .LBB98_75
; %bb.55:
	s_lshl_b64 s[0:1], s[18:19], 3
	s_mov_b32 s29, exec_lo
	s_wait_alu 0xfffe
	s_add_nc_u64 s[0:1], s[8:9], s[0:1]
	s_load_b64 s[0:1], s[0:1], 0x0
	s_wait_kmcnt 0x0
	s_sub_nc_u64 s[30:31], s[0:1], s[4:5]
	s_wait_alu 0xfffe
	v_cmpx_gt_i64_e64 s[30:31], v[0:1]
	s_cbranch_execz .LBB98_74
; %bb.56:
	s_add_nc_u64 s[34:35], s[18:19], -2
	s_sub_nc_u64 s[36:37], s[0:1], s[24:25]
	s_wait_alu 0xfffe
	s_cmp_lg_u64 s[16:17], s[34:35]
	s_add_nc_u64 s[34:35], s[18:19], -1
	s_cselect_b32 s33, -1, 0
	s_mov_b64 s[38:39], 0
	s_mov_b32 s1, 0
	s_branch .LBB98_59
.LBB98_57:                              ;   in Loop: Header=BB98_59 Depth=1
	s_wait_alu 0xfffe
	s_or_b32 exec_lo, exec_lo, s0
.LBB98_58:                              ;   in Loop: Header=BB98_59 Depth=1
	s_delay_alu instid0(SALU_CYCLE_1)
	s_or_b32 exec_lo, exec_lo, s40
	v_lshlrev_b64_e32 v[2:3], 3, v[8:9]
	s_add_nc_u64 s[38:39], s[38:39], 0x100
	s_wait_alu 0xfffe
	v_add_co_u32 v4, s0, s38, v0
	s_wait_alu 0xf1ff
	v_add_co_ci_u32_e64 v5, null, s39, 0, s0
	v_add_co_u32 v2, vcc_lo, s14, v2
	s_wait_alu 0xfffd
	v_add_co_ci_u32_e64 v3, null, s15, v3, vcc_lo
	s_delay_alu instid0(VALU_DEP_3)
	v_cmp_le_i64_e32 vcc_lo, s[30:31], v[4:5]
	v_lshlrev_b32_e32 v4, 3, v16
	global_load_b64 v[2:3], v[2:3], off
	s_or_b32 s1, vcc_lo, s1
	s_wait_loadcnt_dscnt 0x0
	v_mul_f64_e32 v[2:3], v[2:3], v[10:11]
	ds_store_b64 v4, v[2:3]
	s_wait_alu 0xfffe
	s_and_not1_b32 exec_lo, exec_lo, s1
	s_cbranch_execz .LBB98_74
.LBB98_59:                              ; =>This Loop Header: Depth=1
                                        ;     Child Loop BB98_61 Depth 2
                                        ;     Child Loop BB98_68 Depth 2
	;; [unrolled: 1-line block ×3, first 2 shown]
	v_add_co_u32 v2, vcc_lo, s38, v6
	s_wait_alu 0xfffd
	v_add_co_ci_u32_e64 v3, null, s39, v7, vcc_lo
	v_dual_mov_b32 v4, s16 :: v_dual_mov_b32 v5, s17
	s_wait_alu 0xfffe
	v_dual_mov_b32 v10, s34 :: v_dual_mov_b32 v11, s35
	s_and_not1_b32 vcc_lo, exec_lo, s33
	s_wait_alu 0xfffe
	s_cbranch_vccnz .LBB98_63
; %bb.60:                               ;   in Loop: Header=BB98_59 Depth=1
	v_dual_mov_b32 v4, s16 :: v_dual_mov_b32 v5, s17
	v_dual_mov_b32 v10, s34 :: v_dual_mov_b32 v11, s35
	s_mov_b32 s40, 0
.LBB98_61:                              ;   Parent Loop BB98_59 Depth=1
                                        ; =>  This Inner Loop Header: Depth=2
	s_delay_alu instid0(VALU_DEP_1) | instskip(SKIP_1) | instid1(VALU_DEP_2)
	v_add_co_u32 v8, vcc_lo, v10, v4
	s_wait_alu 0xfffd
	v_add_co_ci_u32_e64 v9, null, v11, v5, vcc_lo
	s_delay_alu instid0(VALU_DEP_1) | instskip(NEXT) | instid1(VALU_DEP_1)
	v_lshrrev_b32_e32 v12, 31, v9
	v_add_co_u32 v8, vcc_lo, v8, v12
	s_wait_alu 0xfffd
	v_add_co_ci_u32_e64 v9, null, 0, v9, vcc_lo
	s_delay_alu instid0(VALU_DEP_1) | instskip(NEXT) | instid1(VALU_DEP_1)
	v_ashrrev_i64 v[8:9], 1, v[8:9]
	v_lshlrev_b64_e32 v[12:13], 3, v[8:9]
	s_delay_alu instid0(VALU_DEP_1) | instskip(SKIP_1) | instid1(VALU_DEP_2)
	v_add_co_u32 v12, vcc_lo, s8, v12
	s_wait_alu 0xfffd
	v_add_co_ci_u32_e64 v13, null, s9, v13, vcc_lo
	global_load_b64 v[12:13], v[12:13], off
	s_wait_loadcnt 0x0
	v_sub_co_u32 v12, vcc_lo, v12, s24
	s_wait_alu 0xfffd
	v_subrev_co_ci_u32_e64 v13, null, 0, v13, vcc_lo
	s_delay_alu instid0(VALU_DEP_1) | instskip(SKIP_3) | instid1(VALU_DEP_2)
	v_cmp_lt_i64_e32 vcc_lo, v[2:3], v[12:13]
	s_wait_alu 0xfffd
	v_dual_cndmask_b32 v11, v11, v9 :: v_dual_cndmask_b32 v10, v10, v8
	v_dual_cndmask_b32 v5, v9, v5 :: v_dual_cndmask_b32 v4, v8, v4
	v_add_co_u32 v8, vcc_lo, v10, -1
	s_wait_alu 0xfffd
	s_delay_alu instid0(VALU_DEP_3) | instskip(NEXT) | instid1(VALU_DEP_3)
	v_add_co_ci_u32_e64 v9, null, -1, v11, vcc_lo
	v_cmp_ge_i64_e32 vcc_lo, v[4:5], v[10:11]
	s_delay_alu instid0(VALU_DEP_2)
	v_cmp_eq_u64_e64 s0, v[4:5], v[8:9]
	s_or_b32 s0, vcc_lo, s0
	s_wait_alu 0xfffe
	s_and_b32 s0, exec_lo, s0
	s_wait_alu 0xfffe
	s_or_b32 s40, s0, s40
	s_delay_alu instid0(SALU_CYCLE_1)
	s_and_not1_b32 exec_lo, exec_lo, s40
	s_cbranch_execnz .LBB98_61
; %bb.62:                               ;   in Loop: Header=BB98_59 Depth=1
	s_or_b32 exec_lo, exec_lo, s40
.LBB98_63:                              ;   in Loop: Header=BB98_59 Depth=1
	s_delay_alu instid0(VALU_DEP_1) | instskip(SKIP_2) | instid1(VALU_DEP_3)
	v_lshlrev_b64_e32 v[8:9], 3, v[10:11]
	v_lshlrev_b64_e32 v[12:13], 3, v[2:3]
	v_add_co_u32 v16, null, s38, v0
	v_add_co_u32 v8, vcc_lo, s8, v8
	s_wait_alu 0xfffd
	s_delay_alu instid0(VALU_DEP_4) | instskip(NEXT) | instid1(VALU_DEP_4)
	v_add_co_ci_u32_e64 v9, null, s9, v9, vcc_lo
	v_add_co_u32 v12, vcc_lo, s10, v12
	s_wait_alu 0xfffd
	v_add_co_ci_u32_e64 v13, null, s11, v13, vcc_lo
	global_load_b64 v[8:9], v[8:9], off
	v_lshlrev_b32_e32 v14, 3, v16
	global_load_b64 v[12:13], v[12:13], off
	s_wait_loadcnt 0x1
	v_sub_co_u32 v8, vcc_lo, v8, s24
	s_wait_alu 0xfffd
	v_subrev_co_ci_u32_e64 v9, null, 0, v9, vcc_lo
	s_delay_alu instid0(VALU_DEP_1)
	v_cmp_lt_i64_e32 vcc_lo, v[2:3], v[8:9]
	s_wait_loadcnt 0x0
	v_sub_co_u32 v8, s0, v12, s24
	s_wait_alu 0xf1ff
	v_subrev_co_ci_u32_e64 v9, null, 0, v13, s0
	v_cmp_le_i64_e64 s0, s[36:37], v[2:3]
	s_wait_alu 0xfffd
	v_dual_cndmask_b32 v5, v11, v5 :: v_dual_cndmask_b32 v4, v10, v4
                                        ; implicit-def: $vgpr10_vgpr11
	s_delay_alu instid0(VALU_DEP_1) | instskip(SKIP_3) | instid1(SALU_CYCLE_1)
	v_cmp_eq_u64_e32 vcc_lo, v[8:9], v[4:5]
	s_or_b32 s0, vcc_lo, s0
	s_wait_alu 0xfffe
	s_and_saveexec_b32 s40, s0
	s_xor_b32 s0, exec_lo, s40
; %bb.64:                               ;   in Loop: Header=BB98_59 Depth=1
	ds_load_b64 v[10:11], v14
                                        ; implicit-def: $vgpr4_vgpr5
                                        ; implicit-def: $vgpr14
; %bb.65:                               ;   in Loop: Header=BB98_59 Depth=1
	s_wait_alu 0xfffe
	s_and_not1_saveexec_b32 s40, s0
	s_cbranch_execz .LBB98_58
; %bb.66:                               ;   in Loop: Header=BB98_59 Depth=1
	v_cmp_gt_i64_e32 vcc_lo, s[12:13], v[8:9]
	v_cmp_le_i64_e64 s0, s[18:19], v[8:9]
	v_lshlrev_b64_e32 v[2:3], 3, v[4:5]
                                        ; implicit-def: $vgpr10_vgpr11
	s_or_b32 s0, vcc_lo, s0
	s_wait_alu 0xfffe
	s_and_saveexec_b32 s41, s0
	s_delay_alu instid0(SALU_CYCLE_1)
	s_xor_b32 s0, exec_lo, s41
	s_cbranch_execz .LBB98_70
; %bb.67:                               ;   in Loop: Header=BB98_59 Depth=1
	v_add_co_u32 v2, vcc_lo, s14, v2
	s_wait_alu 0xfffd
	v_add_co_ci_u32_e64 v3, null, s15, v3, vcc_lo
	v_lshlrev_b64_e32 v[4:5], 3, v[8:9]
	s_wait_dscnt 0x0
	ds_load_b64 v[10:11], v14
	s_mov_b32 s41, 0
	global_load_b64 v[2:3], v[2:3], off
	v_add_co_u32 v12, vcc_lo, s20, v4
	s_wait_alu 0xfffd
	v_add_co_ci_u32_e64 v13, null, s21, v5, vcc_lo
	global_load_b64 v[4:5], v[12:13], off
	s_wait_loadcnt_dscnt 0x100
	v_mul_f64_e32 v[14:15], v[10:11], v[2:3]
.LBB98_68:                              ;   Parent Loop BB98_59 Depth=1
                                        ; =>  This Inner Loop Header: Depth=2
	s_wait_loadcnt 0x0
	s_delay_alu instid0(VALU_DEP_1)
	v_add_f64_e32 v[2:3], v[4:5], v[14:15]
	global_atomic_cmpswap_b64 v[2:3], v[12:13], v[2:5], off th:TH_ATOMIC_RETURN scope:SCOPE_DEV
	s_wait_loadcnt 0x0
	v_cmp_eq_u64_e32 vcc_lo, v[2:3], v[4:5]
	v_dual_mov_b32 v5, v3 :: v_dual_mov_b32 v4, v2
	s_or_b32 s41, vcc_lo, s41
	s_delay_alu instid0(SALU_CYCLE_1)
	s_and_not1_b32 exec_lo, exec_lo, s41
	s_cbranch_execnz .LBB98_68
; %bb.69:                               ;   in Loop: Header=BB98_59 Depth=1
	s_or_b32 exec_lo, exec_lo, s41
                                        ; implicit-def: $vgpr14
                                        ; implicit-def: $vgpr2_vgpr3
.LBB98_70:                              ;   in Loop: Header=BB98_59 Depth=1
	s_wait_alu 0xfffe
	s_and_not1_saveexec_b32 s0, s0
	s_cbranch_execz .LBB98_57
; %bb.71:                               ;   in Loop: Header=BB98_59 Depth=1
	v_add_co_u32 v2, vcc_lo, s14, v2
	s_wait_alu 0xfffd
	v_add_co_ci_u32_e64 v3, null, s15, v3, vcc_lo
	s_wait_dscnt 0x0
	ds_load_b64 v[10:11], v14
	v_subrev_nc_u32_e32 v4, s12, v8
	s_mov_b32 s41, 0
	global_load_b64 v[2:3], v[2:3], off
	v_lshl_add_u32 v12, v4, 3, 0x2000
	ds_load_b64 v[4:5], v12
	s_wait_loadcnt_dscnt 0x1
	v_mul_f64_e32 v[2:3], v[10:11], v[2:3]
.LBB98_72:                              ;   Parent Loop BB98_59 Depth=1
                                        ; =>  This Inner Loop Header: Depth=2
	s_wait_dscnt 0x0
	s_delay_alu instid0(VALU_DEP_1)
	v_add_f64_e32 v[13:14], v[4:5], v[2:3]
	ds_cmpstore_rtn_b64 v[13:14], v12, v[13:14], v[4:5]
	s_wait_dscnt 0x0
	v_cmp_eq_u64_e32 vcc_lo, v[13:14], v[4:5]
	v_dual_mov_b32 v4, v13 :: v_dual_mov_b32 v5, v14
	s_or_b32 s41, vcc_lo, s41
	s_delay_alu instid0(SALU_CYCLE_1)
	s_and_not1_b32 exec_lo, exec_lo, s41
	s_cbranch_execnz .LBB98_72
; %bb.73:                               ;   in Loop: Header=BB98_59 Depth=1
	s_or_b32 exec_lo, exec_lo, s41
	s_branch .LBB98_57
.LBB98_74:
	s_or_b32 exec_lo, exec_lo, s29
                                        ; implicit-def: $vgpr8_vgpr9
                                        ; implicit-def: $vgpr6
.LBB98_75:
	s_wait_alu 0xfffe
	s_and_not1_saveexec_b32 s1, s7
	s_cbranch_execz .LBB98_133
; %bb.76:
	s_add_nc_u64 s[30:31], s[18:19], -1
	s_add_nc_u64 s[34:35], s[18:19], -2
	v_dual_mov_b32 v2, s16 :: v_dual_mov_b32 v3, s17
	s_wait_alu 0xfffe
	v_dual_mov_b32 v4, s30 :: v_dual_mov_b32 v5, s31
	s_cmp_lg_u64 s[16:17], s[34:35]
	s_cselect_b32 s7, -1, 0
	s_cmp_eq_u64 s[16:17], s[34:35]
	s_cbranch_scc1 .LBB98_80
; %bb.77:
	v_dual_mov_b32 v2, s16 :: v_dual_mov_b32 v3, s17
	v_dual_mov_b32 v4, s30 :: v_dual_mov_b32 v5, s31
	s_mov_b32 s29, 0
.LBB98_78:                              ; =>This Inner Loop Header: Depth=1
	s_delay_alu instid0(VALU_DEP_1) | instskip(SKIP_1) | instid1(VALU_DEP_2)
	v_add_co_u32 v10, vcc_lo, v4, v2
	s_wait_alu 0xfffd
	v_add_co_ci_u32_e64 v11, null, v5, v3, vcc_lo
	s_delay_alu instid0(VALU_DEP_1) | instskip(NEXT) | instid1(VALU_DEP_1)
	v_lshrrev_b32_e32 v12, 31, v11
	v_add_co_u32 v10, vcc_lo, v10, v12
	s_wait_alu 0xfffd
	v_add_co_ci_u32_e64 v11, null, 0, v11, vcc_lo
	s_delay_alu instid0(VALU_DEP_1) | instskip(NEXT) | instid1(VALU_DEP_1)
	v_ashrrev_i64 v[10:11], 1, v[10:11]
	v_lshlrev_b64_e32 v[12:13], 3, v[10:11]
	s_delay_alu instid0(VALU_DEP_1) | instskip(SKIP_1) | instid1(VALU_DEP_2)
	v_add_co_u32 v12, vcc_lo, s8, v12
	s_wait_alu 0xfffd
	v_add_co_ci_u32_e64 v13, null, s9, v13, vcc_lo
	global_load_b64 v[12:13], v[12:13], off
	s_wait_loadcnt 0x0
	v_sub_co_u32 v12, vcc_lo, v12, s24
	s_wait_alu 0xfffd
	v_subrev_co_ci_u32_e64 v13, null, 0, v13, vcc_lo
	s_delay_alu instid0(VALU_DEP_1) | instskip(SKIP_3) | instid1(VALU_DEP_2)
	v_cmp_lt_i64_e32 vcc_lo, v[6:7], v[12:13]
	s_wait_alu 0xfffd
	v_dual_cndmask_b32 v5, v5, v11 :: v_dual_cndmask_b32 v4, v4, v10
	v_dual_cndmask_b32 v3, v11, v3 :: v_dual_cndmask_b32 v2, v10, v2
	v_add_co_u32 v10, vcc_lo, v4, -1
	s_wait_alu 0xfffd
	s_delay_alu instid0(VALU_DEP_3) | instskip(NEXT) | instid1(VALU_DEP_3)
	v_add_co_ci_u32_e64 v11, null, -1, v5, vcc_lo
	v_cmp_ge_i64_e32 vcc_lo, v[2:3], v[4:5]
	s_delay_alu instid0(VALU_DEP_2)
	v_cmp_eq_u64_e64 s0, v[2:3], v[10:11]
	s_or_b32 s0, vcc_lo, s0
	s_wait_alu 0xfffe
	s_and_b32 s0, exec_lo, s0
	s_wait_alu 0xfffe
	s_or_b32 s29, s0, s29
	s_delay_alu instid0(SALU_CYCLE_1)
	s_and_not1_b32 exec_lo, exec_lo, s29
	s_cbranch_execnz .LBB98_78
; %bb.79:
	s_or_b32 exec_lo, exec_lo, s29
.LBB98_80:
	v_lshlrev_b64_e32 v[10:11], 3, v[4:5]
	s_mov_b32 s29, exec_lo
	s_delay_alu instid0(VALU_DEP_1) | instskip(SKIP_1) | instid1(VALU_DEP_2)
	v_add_co_u32 v10, vcc_lo, s8, v10
	s_wait_alu 0xfffd
	v_add_co_ci_u32_e64 v11, null, s9, v11, vcc_lo
	global_load_b64 v[12:13], v[10:11], off
	v_lshlrev_b64_e32 v[10:11], 3, v[6:7]
	s_delay_alu instid0(VALU_DEP_1) | instskip(SKIP_1) | instid1(VALU_DEP_2)
	v_add_co_u32 v10, vcc_lo, s10, v10
	s_wait_alu 0xfffd
	v_add_co_ci_u32_e64 v11, null, s11, v11, vcc_lo
	s_lshl_b64 s[10:11], s[18:19], 3
	s_wait_alu 0xfffe
	s_add_nc_u64 s[10:11], s[8:9], s[10:11]
	global_load_b64 v[14:15], v[10:11], off
	s_wait_loadcnt 0x1
	v_sub_co_u32 v12, vcc_lo, v12, s24
	s_wait_alu 0xfffd
	v_subrev_co_ci_u32_e64 v13, null, 0, v13, vcc_lo
	s_delay_alu instid0(VALU_DEP_1)
	v_cmp_lt_i64_e32 vcc_lo, v[6:7], v[12:13]
	s_wait_alu 0xfffd
	v_dual_cndmask_b32 v3, v5, v3 :: v_dual_cndmask_b32 v2, v4, v2
	s_wait_loadcnt 0x0
	v_sub_co_u32 v12, vcc_lo, v14, s24
	s_wait_alu 0xfffd
	v_subrev_co_ci_u32_e64 v13, null, 0, v15, vcc_lo
	s_delay_alu instid0(VALU_DEP_1)
	v_cmpx_ne_u64_e64 v[12:13], v[2:3]
	s_cbranch_execz .LBB98_90
; %bb.81:
	s_load_b64 s[34:35], s[10:11], 0x0
	s_wait_kmcnt 0x0
	s_sub_nc_u64 s[34:35], s[34:35], s[24:25]
	s_wait_alu 0xfffe
	v_cmp_gt_i64_e32 vcc_lo, s[34:35], v[6:7]
	s_and_b32 exec_lo, exec_lo, vcc_lo
	s_cbranch_execz .LBB98_90
; %bb.82:
	v_cmp_gt_i64_e32 vcc_lo, s[12:13], v[12:13]
	v_cmp_le_i64_e64 s0, s[18:19], v[12:13]
	v_lshlrev_b64_e32 v[2:3], 3, v[2:3]
	s_or_b32 s0, vcc_lo, s0
	s_wait_alu 0xfffe
	s_and_saveexec_b32 s33, s0
	s_delay_alu instid0(SALU_CYCLE_1)
	s_xor_b32 s0, exec_lo, s33
	s_cbranch_execz .LBB98_86
; %bb.83:
	v_add_co_u32 v2, vcc_lo, s14, v2
	s_wait_alu 0xfffd
	v_add_co_ci_u32_e64 v3, null, s15, v3, vcc_lo
	v_lshlrev_b64_e32 v[4:5], 3, v[12:13]
	ds_load_b64 v[16:17], v18
	s_mov_b32 s33, 0
	global_load_b64 v[2:3], v[2:3], off
	v_add_co_u32 v14, vcc_lo, s20, v4
	s_wait_alu 0xfffd
	v_add_co_ci_u32_e64 v15, null, s21, v5, vcc_lo
	global_load_b64 v[4:5], v[14:15], off
	s_wait_loadcnt_dscnt 0x100
	v_mul_f64_e32 v[16:17], v[16:17], v[2:3]
.LBB98_84:                              ; =>This Inner Loop Header: Depth=1
	s_wait_loadcnt 0x0
	s_delay_alu instid0(VALU_DEP_1)
	v_add_f64_e32 v[2:3], v[4:5], v[16:17]
	global_atomic_cmpswap_b64 v[2:3], v[14:15], v[2:5], off th:TH_ATOMIC_RETURN scope:SCOPE_DEV
	s_wait_loadcnt 0x0
	v_cmp_eq_u64_e32 vcc_lo, v[2:3], v[4:5]
	v_dual_mov_b32 v5, v3 :: v_dual_mov_b32 v4, v2
	s_or_b32 s33, vcc_lo, s33
	s_delay_alu instid0(SALU_CYCLE_1)
	s_and_not1_b32 exec_lo, exec_lo, s33
	s_cbranch_execnz .LBB98_84
; %bb.85:
	s_or_b32 exec_lo, exec_lo, s33
                                        ; implicit-def: $vgpr2_vgpr3
.LBB98_86:
	s_wait_alu 0xfffe
	s_and_not1_saveexec_b32 s0, s0
	s_cbranch_execz .LBB98_90
; %bb.87:
	v_add_co_u32 v2, vcc_lo, s14, v2
	s_wait_alu 0xfffd
	v_add_co_ci_u32_e64 v3, null, s15, v3, vcc_lo
	ds_load_b64 v[4:5], v18
	s_mov_b32 s0, 0
	global_load_b64 v[2:3], v[2:3], off
	s_wait_loadcnt_dscnt 0x0
	v_mul_f64_e32 v[2:3], v[4:5], v[2:3]
	v_subrev_nc_u32_e32 v4, s12, v12
	s_delay_alu instid0(VALU_DEP_1)
	v_lshl_add_u32 v14, v4, 3, 0x2000
	ds_load_b64 v[4:5], v14
.LBB98_88:                              ; =>This Inner Loop Header: Depth=1
	s_wait_dscnt 0x0
	v_add_f64_e32 v[15:16], v[4:5], v[2:3]
	ds_cmpstore_rtn_b64 v[15:16], v14, v[15:16], v[4:5]
	s_wait_dscnt 0x0
	v_cmp_eq_u64_e32 vcc_lo, v[15:16], v[4:5]
	v_dual_mov_b32 v4, v15 :: v_dual_mov_b32 v5, v16
	s_wait_alu 0xfffe
	s_or_b32 s0, vcc_lo, s0
	s_wait_alu 0xfffe
	s_and_not1_b32 exec_lo, exec_lo, s0
	s_cbranch_execnz .LBB98_88
; %bb.89:
	s_or_b32 exec_lo, exec_lo, s0
.LBB98_90:
	s_delay_alu instid0(SALU_CYCLE_1)
	s_or_b32 exec_lo, exec_lo, s29
	v_lshlrev_b64_e32 v[2:3], 3, v[12:13]
	ds_load_b64 v[4:5], v18
	v_cndmask_b32_e64 v19, 0, 1, s7
	v_dual_mov_b32 v12, s30 :: v_dual_mov_b32 v13, s31
	v_add_co_u32 v2, vcc_lo, s14, v2
	s_wait_alu 0xfffd
	v_add_co_ci_u32_e64 v3, null, s15, v3, vcc_lo
	global_load_b64 v[2:3], v[2:3], off
	s_wait_loadcnt_dscnt 0x0
	v_mul_f64_e32 v[14:15], v[2:3], v[4:5]
	v_add_co_u32 v2, vcc_lo, 0x100, v6
	s_wait_alu 0xfffd
	v_add_co_ci_u32_e64 v3, null, 0, v7, vcc_lo
	v_dual_mov_b32 v4, s16 :: v_dual_mov_b32 v5, s17
	s_and_not1_b32 vcc_lo, exec_lo, s7
	ds_store_b64 v18, v[14:15]
	s_wait_alu 0xfffe
	s_cbranch_vccnz .LBB98_94
; %bb.91:
	v_dual_mov_b32 v4, s16 :: v_dual_mov_b32 v5, s17
	v_dual_mov_b32 v12, s30 :: v_dual_mov_b32 v13, s31
	s_mov_b32 s7, 0
.LBB98_92:                              ; =>This Inner Loop Header: Depth=1
	s_delay_alu instid0(VALU_DEP_1) | instskip(SKIP_1) | instid1(VALU_DEP_2)
	v_add_co_u32 v14, vcc_lo, v12, v4
	s_wait_alu 0xfffd
	v_add_co_ci_u32_e64 v15, null, v13, v5, vcc_lo
	s_delay_alu instid0(VALU_DEP_1) | instskip(NEXT) | instid1(VALU_DEP_1)
	v_lshrrev_b32_e32 v16, 31, v15
	v_add_co_u32 v14, vcc_lo, v14, v16
	s_wait_alu 0xfffd
	v_add_co_ci_u32_e64 v15, null, 0, v15, vcc_lo
	s_delay_alu instid0(VALU_DEP_1) | instskip(NEXT) | instid1(VALU_DEP_1)
	v_ashrrev_i64 v[14:15], 1, v[14:15]
	v_lshlrev_b64_e32 v[16:17], 3, v[14:15]
	s_delay_alu instid0(VALU_DEP_1) | instskip(SKIP_1) | instid1(VALU_DEP_2)
	v_add_co_u32 v16, vcc_lo, s8, v16
	s_wait_alu 0xfffd
	v_add_co_ci_u32_e64 v17, null, s9, v17, vcc_lo
	global_load_b64 v[16:17], v[16:17], off
	s_wait_loadcnt 0x0
	v_sub_co_u32 v16, vcc_lo, v16, s24
	s_wait_alu 0xfffd
	v_subrev_co_ci_u32_e64 v17, null, 0, v17, vcc_lo
	s_delay_alu instid0(VALU_DEP_1) | instskip(SKIP_3) | instid1(VALU_DEP_2)
	v_cmp_lt_i64_e32 vcc_lo, v[2:3], v[16:17]
	s_wait_alu 0xfffd
	v_dual_cndmask_b32 v13, v13, v15 :: v_dual_cndmask_b32 v12, v12, v14
	v_dual_cndmask_b32 v5, v15, v5 :: v_dual_cndmask_b32 v4, v14, v4
	v_add_co_u32 v14, vcc_lo, v12, -1
	s_wait_alu 0xfffd
	s_delay_alu instid0(VALU_DEP_3) | instskip(NEXT) | instid1(VALU_DEP_3)
	v_add_co_ci_u32_e64 v15, null, -1, v13, vcc_lo
	v_cmp_ge_i64_e32 vcc_lo, v[4:5], v[12:13]
	s_delay_alu instid0(VALU_DEP_2)
	v_cmp_eq_u64_e64 s0, v[4:5], v[14:15]
	s_or_b32 s0, vcc_lo, s0
	s_wait_alu 0xfffe
	s_and_b32 s0, exec_lo, s0
	s_wait_alu 0xfffe
	s_or_b32 s7, s0, s7
	s_wait_alu 0xfffe
	s_and_not1_b32 exec_lo, exec_lo, s7
	s_cbranch_execnz .LBB98_92
; %bb.93:
	s_or_b32 exec_lo, exec_lo, s7
.LBB98_94:
	v_lshlrev_b64_e32 v[14:15], 3, v[12:13]
	s_mov_b32 s7, exec_lo
	s_delay_alu instid0(VALU_DEP_1) | instskip(SKIP_1) | instid1(VALU_DEP_2)
	v_add_co_u32 v14, vcc_lo, s8, v14
	s_wait_alu 0xfffd
	v_add_co_ci_u32_e64 v15, null, s9, v15, vcc_lo
	global_load_b64 v[14:15], v[14:15], off
	global_load_b64 v[16:17], v[10:11], off offset:2048
	s_wait_loadcnt 0x1
	v_sub_co_u32 v14, vcc_lo, v14, s24
	s_wait_alu 0xfffd
	v_subrev_co_ci_u32_e64 v15, null, 0, v15, vcc_lo
	s_delay_alu instid0(VALU_DEP_1)
	v_cmp_lt_i64_e32 vcc_lo, v[2:3], v[14:15]
	s_wait_alu 0xfffd
	v_dual_cndmask_b32 v5, v13, v5 :: v_dual_cndmask_b32 v4, v12, v4
	s_wait_loadcnt 0x0
	v_sub_co_u32 v12, vcc_lo, v16, s24
	s_wait_alu 0xfffd
	v_subrev_co_ci_u32_e64 v13, null, 0, v17, vcc_lo
	s_delay_alu instid0(VALU_DEP_1)
	v_cmpx_ne_u64_e64 v[12:13], v[4:5]
	s_cbranch_execz .LBB98_104
; %bb.95:
	s_load_b64 s[34:35], s[10:11], 0x0
	s_wait_kmcnt 0x0
	s_sub_nc_u64 s[34:35], s[34:35], s[24:25]
	s_wait_alu 0xfffe
	v_cmp_gt_i64_e32 vcc_lo, s[34:35], v[2:3]
	s_and_b32 exec_lo, exec_lo, vcc_lo
	s_cbranch_execz .LBB98_104
; %bb.96:
	v_cmp_gt_i64_e32 vcc_lo, s[12:13], v[12:13]
	v_cmp_le_i64_e64 s0, s[18:19], v[12:13]
	v_lshlrev_b64_e32 v[2:3], 3, v[4:5]
	s_or_b32 s0, vcc_lo, s0
	s_wait_alu 0xfffe
	s_and_saveexec_b32 s29, s0
	s_delay_alu instid0(SALU_CYCLE_1)
	s_xor_b32 s0, exec_lo, s29
	s_cbranch_execz .LBB98_100
; %bb.97:
	v_add_co_u32 v2, vcc_lo, s14, v2
	s_wait_alu 0xfffd
	v_add_co_ci_u32_e64 v3, null, s15, v3, vcc_lo
	v_lshlrev_b64_e32 v[4:5], 3, v[12:13]
	ds_load_b64 v[16:17], v18 offset:2048
	s_mov_b32 s29, 0
	global_load_b64 v[2:3], v[2:3], off
	v_add_co_u32 v14, vcc_lo, s20, v4
	s_wait_alu 0xfffd
	v_add_co_ci_u32_e64 v15, null, s21, v5, vcc_lo
	global_load_b64 v[4:5], v[14:15], off
	s_wait_loadcnt_dscnt 0x100
	v_mul_f64_e32 v[16:17], v[16:17], v[2:3]
.LBB98_98:                              ; =>This Inner Loop Header: Depth=1
	s_wait_loadcnt 0x0
	s_delay_alu instid0(VALU_DEP_1)
	v_add_f64_e32 v[2:3], v[4:5], v[16:17]
	global_atomic_cmpswap_b64 v[2:3], v[14:15], v[2:5], off th:TH_ATOMIC_RETURN scope:SCOPE_DEV
	s_wait_loadcnt 0x0
	v_cmp_eq_u64_e32 vcc_lo, v[2:3], v[4:5]
	v_dual_mov_b32 v5, v3 :: v_dual_mov_b32 v4, v2
	s_or_b32 s29, vcc_lo, s29
	s_delay_alu instid0(SALU_CYCLE_1)
	s_and_not1_b32 exec_lo, exec_lo, s29
	s_cbranch_execnz .LBB98_98
; %bb.99:
	s_or_b32 exec_lo, exec_lo, s29
                                        ; implicit-def: $vgpr2_vgpr3
.LBB98_100:
	s_wait_alu 0xfffe
	s_and_not1_saveexec_b32 s0, s0
	s_cbranch_execz .LBB98_104
; %bb.101:
	v_add_co_u32 v2, vcc_lo, s14, v2
	s_wait_alu 0xfffd
	v_add_co_ci_u32_e64 v3, null, s15, v3, vcc_lo
	ds_load_b64 v[4:5], v18 offset:2048
	s_mov_b32 s0, 0
	global_load_b64 v[2:3], v[2:3], off
	s_wait_loadcnt_dscnt 0x0
	v_mul_f64_e32 v[2:3], v[4:5], v[2:3]
	v_subrev_nc_u32_e32 v4, s12, v12
	s_delay_alu instid0(VALU_DEP_1)
	v_lshl_add_u32 v14, v4, 3, 0x2000
	ds_load_b64 v[4:5], v14
.LBB98_102:                             ; =>This Inner Loop Header: Depth=1
	s_wait_dscnt 0x0
	v_add_f64_e32 v[15:16], v[4:5], v[2:3]
	ds_cmpstore_rtn_b64 v[15:16], v14, v[15:16], v[4:5]
	s_wait_dscnt 0x0
	v_cmp_eq_u64_e32 vcc_lo, v[15:16], v[4:5]
	v_dual_mov_b32 v4, v15 :: v_dual_mov_b32 v5, v16
	s_wait_alu 0xfffe
	s_or_b32 s0, vcc_lo, s0
	s_wait_alu 0xfffe
	s_and_not1_b32 exec_lo, exec_lo, s0
	s_cbranch_execnz .LBB98_102
; %bb.103:
	s_or_b32 exec_lo, exec_lo, s0
.LBB98_104:
	s_wait_alu 0xfffe
	s_or_b32 exec_lo, exec_lo, s7
	v_lshlrev_b64_e32 v[2:3], 3, v[12:13]
	ds_load_b64 v[4:5], v18 offset:2048
	v_add_co_u32 v2, vcc_lo, s14, v2
	s_wait_alu 0xfffd
	v_add_co_ci_u32_e64 v3, null, s15, v3, vcc_lo
	v_cmp_ne_u32_e32 vcc_lo, 1, v19
	global_load_b64 v[2:3], v[2:3], off
	s_and_b32 vcc_lo, exec_lo, vcc_lo
	s_wait_loadcnt_dscnt 0x0
	v_mul_f64_e32 v[12:13], v[2:3], v[4:5]
	v_add_co_u32 v2, s0, 0x200, v6
	s_wait_alu 0xf1ff
	v_add_co_ci_u32_e64 v3, null, 0, v7, s0
	v_dual_mov_b32 v4, s16 :: v_dual_mov_b32 v5, s17
	v_dual_mov_b32 v6, s30 :: v_dual_mov_b32 v7, s31
	ds_store_b64 v18, v[12:13] offset:2048
	s_wait_alu 0xfffe
	s_cbranch_vccnz .LBB98_108
; %bb.105:
	v_dual_mov_b32 v4, s16 :: v_dual_mov_b32 v5, s17
	v_dual_mov_b32 v6, s30 :: v_dual_mov_b32 v7, s31
	s_mov_b32 s7, 0
.LBB98_106:                             ; =>This Inner Loop Header: Depth=1
	s_delay_alu instid0(VALU_DEP_1) | instskip(SKIP_1) | instid1(VALU_DEP_2)
	v_add_co_u32 v12, vcc_lo, v6, v4
	s_wait_alu 0xfffd
	v_add_co_ci_u32_e64 v13, null, v7, v5, vcc_lo
	s_delay_alu instid0(VALU_DEP_1) | instskip(NEXT) | instid1(VALU_DEP_1)
	v_lshrrev_b32_e32 v14, 31, v13
	v_add_co_u32 v12, vcc_lo, v12, v14
	s_wait_alu 0xfffd
	v_add_co_ci_u32_e64 v13, null, 0, v13, vcc_lo
	s_delay_alu instid0(VALU_DEP_1) | instskip(NEXT) | instid1(VALU_DEP_1)
	v_ashrrev_i64 v[12:13], 1, v[12:13]
	v_lshlrev_b64_e32 v[14:15], 3, v[12:13]
	s_delay_alu instid0(VALU_DEP_1) | instskip(SKIP_1) | instid1(VALU_DEP_2)
	v_add_co_u32 v14, vcc_lo, s8, v14
	s_wait_alu 0xfffd
	v_add_co_ci_u32_e64 v15, null, s9, v15, vcc_lo
	global_load_b64 v[14:15], v[14:15], off
	s_wait_loadcnt 0x0
	v_sub_co_u32 v14, vcc_lo, v14, s24
	s_wait_alu 0xfffd
	v_subrev_co_ci_u32_e64 v15, null, 0, v15, vcc_lo
	s_delay_alu instid0(VALU_DEP_1) | instskip(SKIP_3) | instid1(VALU_DEP_2)
	v_cmp_lt_i64_e32 vcc_lo, v[2:3], v[14:15]
	s_wait_alu 0xfffd
	v_dual_cndmask_b32 v7, v7, v13 :: v_dual_cndmask_b32 v6, v6, v12
	v_dual_cndmask_b32 v5, v13, v5 :: v_dual_cndmask_b32 v4, v12, v4
	v_add_co_u32 v12, vcc_lo, v6, -1
	s_wait_alu 0xfffd
	s_delay_alu instid0(VALU_DEP_3) | instskip(NEXT) | instid1(VALU_DEP_3)
	v_add_co_ci_u32_e64 v13, null, -1, v7, vcc_lo
	v_cmp_ge_i64_e32 vcc_lo, v[4:5], v[6:7]
	s_delay_alu instid0(VALU_DEP_2)
	v_cmp_eq_u64_e64 s0, v[4:5], v[12:13]
	s_or_b32 s0, vcc_lo, s0
	s_wait_alu 0xfffe
	s_and_b32 s0, exec_lo, s0
	s_wait_alu 0xfffe
	s_or_b32 s7, s0, s7
	s_wait_alu 0xfffe
	s_and_not1_b32 exec_lo, exec_lo, s7
	s_cbranch_execnz .LBB98_106
; %bb.107:
	s_or_b32 exec_lo, exec_lo, s7
.LBB98_108:
	v_lshlrev_b64_e32 v[12:13], 3, v[6:7]
	s_mov_b32 s7, exec_lo
	s_delay_alu instid0(VALU_DEP_1) | instskip(SKIP_1) | instid1(VALU_DEP_2)
	v_add_co_u32 v12, vcc_lo, s8, v12
	s_wait_alu 0xfffd
	v_add_co_ci_u32_e64 v13, null, s9, v13, vcc_lo
	global_load_b64 v[12:13], v[12:13], off
	global_load_b64 v[14:15], v[10:11], off offset:4096
	s_wait_loadcnt 0x1
	v_sub_co_u32 v12, vcc_lo, v12, s24
	s_wait_alu 0xfffd
	v_subrev_co_ci_u32_e64 v13, null, 0, v13, vcc_lo
	s_delay_alu instid0(VALU_DEP_1)
	v_cmp_lt_i64_e32 vcc_lo, v[2:3], v[12:13]
	s_wait_alu 0xfffd
	v_dual_cndmask_b32 v5, v7, v5 :: v_dual_cndmask_b32 v4, v6, v4
	s_wait_loadcnt 0x0
	v_sub_co_u32 v6, vcc_lo, v14, s24
	s_wait_alu 0xfffd
	v_subrev_co_ci_u32_e64 v7, null, 0, v15, vcc_lo
	s_delay_alu instid0(VALU_DEP_1)
	v_cmpx_ne_u64_e64 v[6:7], v[4:5]
	s_cbranch_execz .LBB98_118
; %bb.109:
	s_load_b64 s[34:35], s[10:11], 0x0
	s_wait_kmcnt 0x0
	s_sub_nc_u64 s[34:35], s[34:35], s[24:25]
	s_wait_alu 0xfffe
	v_cmp_gt_i64_e32 vcc_lo, s[34:35], v[2:3]
	s_and_b32 exec_lo, exec_lo, vcc_lo
	s_cbranch_execz .LBB98_118
; %bb.110:
	v_cmp_gt_i64_e32 vcc_lo, s[12:13], v[6:7]
	v_cmp_le_i64_e64 s0, s[18:19], v[6:7]
	v_lshlrev_b64_e32 v[2:3], 3, v[4:5]
	s_or_b32 s0, vcc_lo, s0
	s_wait_alu 0xfffe
	s_and_saveexec_b32 s29, s0
	s_delay_alu instid0(SALU_CYCLE_1)
	s_xor_b32 s0, exec_lo, s29
	s_cbranch_execz .LBB98_114
; %bb.111:
	v_add_co_u32 v2, vcc_lo, s14, v2
	s_wait_alu 0xfffd
	v_add_co_ci_u32_e64 v3, null, s15, v3, vcc_lo
	v_lshlrev_b64_e32 v[4:5], 3, v[6:7]
	ds_load_b64 v[14:15], v18 offset:4096
	s_mov_b32 s29, 0
	global_load_b64 v[2:3], v[2:3], off
	v_add_co_u32 v12, vcc_lo, s20, v4
	s_wait_alu 0xfffd
	v_add_co_ci_u32_e64 v13, null, s21, v5, vcc_lo
	global_load_b64 v[4:5], v[12:13], off
	s_wait_loadcnt_dscnt 0x100
	v_mul_f64_e32 v[14:15], v[14:15], v[2:3]
.LBB98_112:                             ; =>This Inner Loop Header: Depth=1
	s_wait_loadcnt 0x0
	s_delay_alu instid0(VALU_DEP_1)
	v_add_f64_e32 v[2:3], v[4:5], v[14:15]
	global_atomic_cmpswap_b64 v[2:3], v[12:13], v[2:5], off th:TH_ATOMIC_RETURN scope:SCOPE_DEV
	s_wait_loadcnt 0x0
	v_cmp_eq_u64_e32 vcc_lo, v[2:3], v[4:5]
	v_dual_mov_b32 v5, v3 :: v_dual_mov_b32 v4, v2
	s_or_b32 s29, vcc_lo, s29
	s_delay_alu instid0(SALU_CYCLE_1)
	s_and_not1_b32 exec_lo, exec_lo, s29
	s_cbranch_execnz .LBB98_112
; %bb.113:
	s_or_b32 exec_lo, exec_lo, s29
                                        ; implicit-def: $vgpr2_vgpr3
.LBB98_114:
	s_wait_alu 0xfffe
	s_and_not1_saveexec_b32 s0, s0
	s_cbranch_execz .LBB98_118
; %bb.115:
	v_add_co_u32 v2, vcc_lo, s14, v2
	s_wait_alu 0xfffd
	v_add_co_ci_u32_e64 v3, null, s15, v3, vcc_lo
	ds_load_b64 v[4:5], v18 offset:4096
	s_mov_b32 s0, 0
	global_load_b64 v[2:3], v[2:3], off
	s_wait_loadcnt_dscnt 0x0
	v_mul_f64_e32 v[2:3], v[4:5], v[2:3]
	v_subrev_nc_u32_e32 v4, s12, v6
	s_delay_alu instid0(VALU_DEP_1)
	v_lshl_add_u32 v12, v4, 3, 0x2000
	ds_load_b64 v[4:5], v12
.LBB98_116:                             ; =>This Inner Loop Header: Depth=1
	s_wait_dscnt 0x0
	v_add_f64_e32 v[13:14], v[4:5], v[2:3]
	ds_cmpstore_rtn_b64 v[13:14], v12, v[13:14], v[4:5]
	s_wait_dscnt 0x0
	v_cmp_eq_u64_e32 vcc_lo, v[13:14], v[4:5]
	v_dual_mov_b32 v4, v13 :: v_dual_mov_b32 v5, v14
	s_wait_alu 0xfffe
	s_or_b32 s0, vcc_lo, s0
	s_wait_alu 0xfffe
	s_and_not1_b32 exec_lo, exec_lo, s0
	s_cbranch_execnz .LBB98_116
; %bb.117:
	s_or_b32 exec_lo, exec_lo, s0
.LBB98_118:
	s_wait_alu 0xfffe
	s_or_b32 exec_lo, exec_lo, s7
	v_lshlrev_b64_e32 v[2:3], 3, v[6:7]
	ds_load_b64 v[4:5], v18 offset:4096
	v_add_co_u32 v2, vcc_lo, s14, v2
	s_wait_alu 0xfffd
	v_add_co_ci_u32_e64 v3, null, s15, v3, vcc_lo
	v_cmp_ne_u32_e32 vcc_lo, 1, v19
	global_load_b64 v[2:3], v[2:3], off
	s_and_b32 vcc_lo, exec_lo, vcc_lo
	s_wait_loadcnt_dscnt 0x0
	v_mul_f64_e32 v[6:7], v[2:3], v[4:5]
	v_dual_mov_b32 v2, s16 :: v_dual_mov_b32 v3, s17
	v_dual_mov_b32 v4, s30 :: v_dual_mov_b32 v5, s31
	ds_store_b64 v18, v[6:7] offset:4096
	s_wait_alu 0xfffe
	s_cbranch_vccnz .LBB98_122
; %bb.119:
	v_dual_mov_b32 v2, s16 :: v_dual_mov_b32 v3, s17
	v_dual_mov_b32 v4, s30 :: v_dual_mov_b32 v5, s31
	s_mov_b32 s7, 0
.LBB98_120:                             ; =>This Inner Loop Header: Depth=1
	s_delay_alu instid0(VALU_DEP_1) | instskip(SKIP_1) | instid1(VALU_DEP_2)
	v_add_co_u32 v6, vcc_lo, v4, v2
	s_wait_alu 0xfffd
	v_add_co_ci_u32_e64 v7, null, v5, v3, vcc_lo
	s_delay_alu instid0(VALU_DEP_1) | instskip(NEXT) | instid1(VALU_DEP_1)
	v_lshrrev_b32_e32 v12, 31, v7
	v_add_co_u32 v6, vcc_lo, v6, v12
	s_wait_alu 0xfffd
	v_add_co_ci_u32_e64 v7, null, 0, v7, vcc_lo
	s_delay_alu instid0(VALU_DEP_1) | instskip(NEXT) | instid1(VALU_DEP_1)
	v_ashrrev_i64 v[6:7], 1, v[6:7]
	v_lshlrev_b64_e32 v[12:13], 3, v[6:7]
	s_delay_alu instid0(VALU_DEP_1) | instskip(SKIP_1) | instid1(VALU_DEP_2)
	v_add_co_u32 v12, vcc_lo, s8, v12
	s_wait_alu 0xfffd
	v_add_co_ci_u32_e64 v13, null, s9, v13, vcc_lo
	global_load_b64 v[12:13], v[12:13], off
	s_wait_loadcnt 0x0
	v_sub_co_u32 v12, vcc_lo, v12, s24
	s_wait_alu 0xfffd
	v_subrev_co_ci_u32_e64 v13, null, 0, v13, vcc_lo
	s_delay_alu instid0(VALU_DEP_1) | instskip(SKIP_3) | instid1(VALU_DEP_2)
	v_cmp_lt_i64_e32 vcc_lo, v[8:9], v[12:13]
	s_wait_alu 0xfffd
	v_dual_cndmask_b32 v5, v5, v7 :: v_dual_cndmask_b32 v4, v4, v6
	v_dual_cndmask_b32 v3, v7, v3 :: v_dual_cndmask_b32 v2, v6, v2
	v_add_co_u32 v6, vcc_lo, v4, -1
	s_wait_alu 0xfffd
	s_delay_alu instid0(VALU_DEP_3) | instskip(NEXT) | instid1(VALU_DEP_3)
	v_add_co_ci_u32_e64 v7, null, -1, v5, vcc_lo
	v_cmp_ge_i64_e32 vcc_lo, v[2:3], v[4:5]
	s_delay_alu instid0(VALU_DEP_2)
	v_cmp_eq_u64_e64 s0, v[2:3], v[6:7]
	s_or_b32 s0, vcc_lo, s0
	s_wait_alu 0xfffe
	s_and_b32 s0, exec_lo, s0
	s_wait_alu 0xfffe
	s_or_b32 s7, s0, s7
	s_wait_alu 0xfffe
	s_and_not1_b32 exec_lo, exec_lo, s7
	s_cbranch_execnz .LBB98_120
; %bb.121:
	s_or_b32 exec_lo, exec_lo, s7
.LBB98_122:
	v_lshlrev_b64_e32 v[6:7], 3, v[4:5]
	s_mov_b32 s7, exec_lo
	s_delay_alu instid0(VALU_DEP_1) | instskip(SKIP_1) | instid1(VALU_DEP_2)
	v_add_co_u32 v6, vcc_lo, s8, v6
	s_wait_alu 0xfffd
	v_add_co_ci_u32_e64 v7, null, s9, v7, vcc_lo
	global_load_b64 v[6:7], v[6:7], off
	global_load_b64 v[10:11], v[10:11], off offset:6144
	s_wait_loadcnt 0x1
	v_sub_co_u32 v6, vcc_lo, v6, s24
	s_wait_alu 0xfffd
	v_subrev_co_ci_u32_e64 v7, null, 0, v7, vcc_lo
	s_delay_alu instid0(VALU_DEP_1)
	v_cmp_lt_i64_e32 vcc_lo, v[8:9], v[6:7]
	s_wait_alu 0xfffd
	v_dual_cndmask_b32 v3, v5, v3 :: v_dual_cndmask_b32 v2, v4, v2
	s_wait_loadcnt 0x0
	v_sub_co_u32 v6, vcc_lo, v10, s24
	s_wait_alu 0xfffd
	v_subrev_co_ci_u32_e64 v7, null, 0, v11, vcc_lo
	s_delay_alu instid0(VALU_DEP_1)
	v_cmpx_ne_u64_e64 v[6:7], v[2:3]
	s_cbranch_execz .LBB98_132
; %bb.123:
	s_load_b64 s[10:11], s[10:11], 0x0
	s_wait_kmcnt 0x0
	s_sub_nc_u64 s[10:11], s[10:11], s[24:25]
	s_wait_alu 0xfffe
	v_cmp_gt_i64_e32 vcc_lo, s[10:11], v[8:9]
	s_and_b32 exec_lo, exec_lo, vcc_lo
	s_cbranch_execz .LBB98_132
; %bb.124:
	v_cmp_gt_i64_e32 vcc_lo, s[12:13], v[6:7]
	v_cmp_le_i64_e64 s0, s[18:19], v[6:7]
	v_lshlrev_b64_e32 v[2:3], 3, v[2:3]
	s_or_b32 s0, vcc_lo, s0
	s_wait_alu 0xfffe
	s_and_saveexec_b32 s10, s0
	s_wait_alu 0xfffe
	s_xor_b32 s0, exec_lo, s10
	s_cbranch_execz .LBB98_128
; %bb.125:
	v_add_co_u32 v2, vcc_lo, s14, v2
	s_wait_alu 0xfffd
	v_add_co_ci_u32_e64 v3, null, s15, v3, vcc_lo
	v_lshlrev_b64_e32 v[4:5], 3, v[6:7]
	ds_load_b64 v[10:11], v18 offset:6144
	s_mov_b32 s10, 0
	global_load_b64 v[2:3], v[2:3], off
	v_add_co_u32 v8, vcc_lo, s20, v4
	s_wait_alu 0xfffd
	v_add_co_ci_u32_e64 v9, null, s21, v5, vcc_lo
	global_load_b64 v[4:5], v[8:9], off
	s_wait_loadcnt_dscnt 0x100
	v_mul_f64_e32 v[10:11], v[10:11], v[2:3]
.LBB98_126:                             ; =>This Inner Loop Header: Depth=1
	s_wait_loadcnt 0x0
	s_delay_alu instid0(VALU_DEP_1)
	v_add_f64_e32 v[2:3], v[4:5], v[10:11]
	global_atomic_cmpswap_b64 v[2:3], v[8:9], v[2:5], off th:TH_ATOMIC_RETURN scope:SCOPE_DEV
	s_wait_loadcnt 0x0
	v_cmp_eq_u64_e32 vcc_lo, v[2:3], v[4:5]
	v_dual_mov_b32 v5, v3 :: v_dual_mov_b32 v4, v2
	s_wait_alu 0xfffe
	s_or_b32 s10, vcc_lo, s10
	s_wait_alu 0xfffe
	s_and_not1_b32 exec_lo, exec_lo, s10
	s_cbranch_execnz .LBB98_126
; %bb.127:
	s_or_b32 exec_lo, exec_lo, s10
                                        ; implicit-def: $vgpr2_vgpr3
.LBB98_128:
	s_wait_alu 0xfffe
	s_and_not1_saveexec_b32 s0, s0
	s_cbranch_execz .LBB98_132
; %bb.129:
	v_add_co_u32 v2, vcc_lo, s14, v2
	s_wait_alu 0xfffd
	v_add_co_ci_u32_e64 v3, null, s15, v3, vcc_lo
	ds_load_b64 v[4:5], v18 offset:6144
	s_mov_b32 s0, 0
	global_load_b64 v[2:3], v[2:3], off
	s_wait_loadcnt_dscnt 0x0
	v_mul_f64_e32 v[2:3], v[4:5], v[2:3]
	v_subrev_nc_u32_e32 v4, s12, v6
	s_delay_alu instid0(VALU_DEP_1)
	v_lshl_add_u32 v8, v4, 3, 0x2000
	ds_load_b64 v[4:5], v8
.LBB98_130:                             ; =>This Inner Loop Header: Depth=1
	s_wait_dscnt 0x0
	v_add_f64_e32 v[9:10], v[4:5], v[2:3]
	ds_cmpstore_rtn_b64 v[9:10], v8, v[9:10], v[4:5]
	s_wait_dscnt 0x0
	v_cmp_eq_u64_e32 vcc_lo, v[9:10], v[4:5]
	v_dual_mov_b32 v4, v9 :: v_dual_mov_b32 v5, v10
	s_wait_alu 0xfffe
	s_or_b32 s0, vcc_lo, s0
	s_wait_alu 0xfffe
	s_and_not1_b32 exec_lo, exec_lo, s0
	s_cbranch_execnz .LBB98_130
; %bb.131:
	s_or_b32 exec_lo, exec_lo, s0
.LBB98_132:
	s_wait_alu 0xfffe
	s_or_b32 exec_lo, exec_lo, s7
	v_lshlrev_b64_e32 v[2:3], 3, v[6:7]
	ds_load_b64 v[4:5], v18 offset:6144
	v_add_co_u32 v2, vcc_lo, s14, v2
	s_wait_alu 0xfffd
	v_add_co_ci_u32_e64 v3, null, s15, v3, vcc_lo
	global_load_b64 v[2:3], v[2:3], off
	s_wait_loadcnt_dscnt 0x0
	v_mul_f64_e32 v[2:3], v[2:3], v[4:5]
	ds_store_b64 v18, v[2:3] offset:6144
.LBB98_133:
	s_wait_alu 0xfffe
	s_or_b32 exec_lo, exec_lo, s1
	v_cmp_lt_i64_e64 s0, s[18:19], s[2:3]
	s_wait_loadcnt_dscnt 0x0
	s_barrier_signal -1
	s_barrier_wait -1
	global_inv scope:SCOPE_SE
	s_and_b32 s0, s0, exec_lo
	s_cselect_b32 s1, s19, s3
	s_cselect_b32 s0, s18, s2
	s_wait_alu 0xfffe
	s_sub_nc_u64 s[2:3], s[0:1], s[22:23]
	s_mov_b32 s1, exec_lo
	s_wait_alu 0xfffe
	v_cmpx_gt_i64_e64 s[2:3], v[0:1]
	s_cbranch_execz .LBB98_138
; %bb.134:
	v_dual_mov_b32 v7, v1 :: v_dual_mov_b32 v6, v0
	s_lshl_b64 s[10:11], s[12:13], 3
	s_mov_b32 s7, 0
	s_wait_alu 0xfffe
	s_add_nc_u64 s[10:11], s[20:21], s[10:11]
.LBB98_135:                             ; =>This Loop Header: Depth=1
                                        ;     Child Loop BB98_136 Depth 2
	v_lshlrev_b64_e32 v[2:3], 3, v[6:7]
	s_mov_b32 s12, 0
	s_wait_alu 0xfffe
	s_delay_alu instid0(VALU_DEP_1) | instskip(SKIP_1) | instid1(VALU_DEP_2)
	v_add_co_u32 v8, vcc_lo, s10, v2
	s_wait_alu 0xfffd
	v_add_co_ci_u32_e64 v9, null, s11, v3, vcc_lo
	v_lshl_add_u32 v2, v6, 3, 0x2000
	global_load_b64 v[4:5], v[8:9], off
	ds_load_b64 v[10:11], v2
.LBB98_136:                             ;   Parent Loop BB98_135 Depth=1
                                        ; =>  This Inner Loop Header: Depth=2
	s_wait_loadcnt_dscnt 0x0
	v_add_f64_e32 v[2:3], v[4:5], v[10:11]
	global_atomic_cmpswap_b64 v[2:3], v[8:9], v[2:5], off th:TH_ATOMIC_RETURN scope:SCOPE_DEV
	s_wait_loadcnt 0x0
	v_cmp_eq_u64_e32 vcc_lo, v[2:3], v[4:5]
	v_dual_mov_b32 v5, v3 :: v_dual_mov_b32 v4, v2
	s_or_b32 s12, vcc_lo, s12
	s_wait_alu 0xfffe
	s_and_not1_b32 exec_lo, exec_lo, s12
	s_cbranch_execnz .LBB98_136
; %bb.137:                              ;   in Loop: Header=BB98_135 Depth=1
	s_or_b32 exec_lo, exec_lo, s12
	v_add_co_u32 v6, vcc_lo, 0x100, v6
	s_wait_alu 0xfffd
	v_add_co_ci_u32_e64 v7, null, 0, v7, vcc_lo
	s_delay_alu instid0(VALU_DEP_1)
	v_cmp_le_i64_e32 vcc_lo, s[2:3], v[6:7]
	s_or_b32 s7, vcc_lo, s7
	s_wait_alu 0xfffe
	s_and_not1_b32 exec_lo, exec_lo, s7
	s_cbranch_execnz .LBB98_135
.LBB98_138:
	s_or_b32 exec_lo, exec_lo, s1
	s_add_co_i32 s1, s28, -1
	v_add_co_u32 v6, s7, s16, v0
	s_wait_alu 0xfffe
	s_ashr_i32 s3, s1, 1
	v_add_co_ci_u32_e64 v7, null, s17, 0, s7
	s_wait_alu 0xfffe
	s_or_b32 s1, s3, s1
	s_wait_loadcnt 0x0
	s_wait_alu 0xfffe
	s_ashr_i32 s3, s1, 2
	s_barrier_signal -1
	s_wait_alu 0xfffe
	s_or_b32 s1, s3, s1
	s_barrier_wait -1
	s_wait_alu 0xfffe
	s_ashr_i32 s3, s1, 4
	global_inv scope:SCOPE_SE
	s_wait_alu 0xfffe
	s_or_b32 s1, s3, s1
	s_wait_alu 0xfffe
	s_ashr_i32 s3, s1, 8
	s_wait_alu 0xfffe
	s_or_b32 s1, s3, s1
	s_wait_alu 0xfffe
	s_ashr_i32 s3, s1, 16
	s_wait_alu 0xfffe
	s_or_b32 s3, s3, s1
	s_mov_b32 s1, -1
	s_wait_alu 0xfffe
	s_add_co_i32 s3, s3, 1
	s_wait_alu 0xfffe
	s_ashr_i32 s10, s3, 1
	s_wait_alu 0xfffe
	s_cmp_gt_i32 s10, 1
	s_cbranch_scc1 .LBB98_149
; %bb.139:
	s_mov_b32 s1, exec_lo
	v_cmpx_gt_i64_e64 s[18:19], v[6:7]
	s_cbranch_execz .LBB98_148
; %bb.140:
	s_sub_co_i32 s0, s0, s18
	v_dual_mov_b32 v9, v7 :: v_dual_mov_b32 v8, v6
	s_lshl_b32 s7, s4, 3
	s_wait_alu 0xfffe
	s_lshl_b32 s0, s0, 3
	s_mov_b32 s3, 0
	s_wait_alu 0xfffe
	s_addk_co_i32 s0, 0x2000
	s_sub_co_i32 s7, 0, s7
.LBB98_141:                             ; =>This Loop Header: Depth=1
                                        ;     Child Loop BB98_143 Depth 2
                                        ;     Child Loop BB98_146 Depth 2
	v_lshlrev_b64_e32 v[10:11], 3, v[8:9]
	v_mov_b32_e32 v12, 0
	v_mov_b32_e32 v13, 0
	s_mov_b32 s11, exec_lo
	s_delay_alu instid0(VALU_DEP_3)
	v_add_co_u32 v2, vcc_lo, s8, v10
	s_wait_alu 0xfffd
	v_add_co_ci_u32_e64 v3, null, s9, v11, vcc_lo
	global_load_b128 v[2:5], v[2:3], off
	s_wait_loadcnt 0x0
	v_cmpx_lt_i64_e64 v[2:3], v[4:5]
	s_cbranch_execz .LBB98_145
; %bb.142:                              ;   in Loop: Header=BB98_141 Depth=1
	v_sub_co_u32 v4, vcc_lo, v4, s4
	s_wait_alu 0xfffd
	v_subrev_co_ci_u32_e64 v5, null, s5, v5, vcc_lo
	v_sub_co_u32 v14, vcc_lo, v2, s4
	v_mov_b32_e32 v12, 0
	s_wait_alu 0xfffd
	v_subrev_co_ci_u32_e64 v15, null, s5, v3, vcc_lo
	v_mov_b32_e32 v13, 0
	s_wait_alu 0xfffe
	v_lshl_add_u32 v2, v2, 3, s7
	s_mov_b32 s12, 0
.LBB98_143:                             ;   Parent Loop BB98_141 Depth=1
                                        ; =>  This Inner Loop Header: Depth=2
	ds_load_b64 v[16:17], v2
	v_add_co_u32 v14, vcc_lo, v14, 1
	s_wait_alu 0xfffd
	v_add_co_ci_u32_e64 v15, null, 0, v15, vcc_lo
	v_add_nc_u32_e32 v2, 8, v2
	s_delay_alu instid0(VALU_DEP_2)
	v_cmp_ge_i64_e32 vcc_lo, v[14:15], v[4:5]
	s_wait_alu 0xfffe
	s_or_b32 s12, vcc_lo, s12
	s_wait_dscnt 0x0
	v_add_f64_e32 v[12:13], v[12:13], v[16:17]
	s_wait_alu 0xfffe
	s_and_not1_b32 exec_lo, exec_lo, s12
	s_cbranch_execnz .LBB98_143
; %bb.144:                              ;   in Loop: Header=BB98_141 Depth=1
	s_or_b32 exec_lo, exec_lo, s12
.LBB98_145:                             ;   in Loop: Header=BB98_141 Depth=1
	s_wait_alu 0xfffe
	s_or_b32 exec_lo, exec_lo, s11
	v_add_co_u32 v10, vcc_lo, s20, v10
	s_wait_alu 0xfffd
	v_add_co_ci_u32_e64 v11, null, s21, v11, vcc_lo
	v_lshl_add_u32 v2, v8, 3, s0
	s_mov_b32 s11, 0
	global_load_b64 v[4:5], v[10:11], off
	ds_load_b64 v[2:3], v2
	s_wait_dscnt 0x0
	v_add_f64_e32 v[12:13], v[12:13], v[2:3]
.LBB98_146:                             ;   Parent Loop BB98_141 Depth=1
                                        ; =>  This Inner Loop Header: Depth=2
	s_wait_loadcnt 0x0
	s_delay_alu instid0(VALU_DEP_1)
	v_add_f64_e32 v[2:3], v[4:5], v[12:13]
	global_atomic_cmpswap_b64 v[2:3], v[10:11], v[2:5], off th:TH_ATOMIC_RETURN scope:SCOPE_DEV
	s_wait_loadcnt 0x0
	v_cmp_eq_u64_e32 vcc_lo, v[2:3], v[4:5]
	v_dual_mov_b32 v5, v3 :: v_dual_mov_b32 v4, v2
	s_wait_alu 0xfffe
	s_or_b32 s11, vcc_lo, s11
	s_wait_alu 0xfffe
	s_and_not1_b32 exec_lo, exec_lo, s11
	s_cbranch_execnz .LBB98_146
; %bb.147:                              ;   in Loop: Header=BB98_141 Depth=1
	s_or_b32 exec_lo, exec_lo, s11
	v_add_co_u32 v8, vcc_lo, v8, s6
	s_wait_alu 0xfffd
	v_add_co_ci_u32_e64 v9, null, 0, v9, vcc_lo
	s_delay_alu instid0(VALU_DEP_1)
	v_cmp_le_i64_e32 vcc_lo, s[18:19], v[8:9]
	s_or_b32 s3, vcc_lo, s3
	s_wait_alu 0xfffe
	s_and_not1_b32 exec_lo, exec_lo, s3
	s_cbranch_execnz .LBB98_141
.LBB98_148:
	s_wait_alu 0xfffe
	s_or_b32 exec_lo, exec_lo, s1
	s_mov_b32 s1, 0
.LBB98_149:
	s_wait_alu 0xfffe
	s_and_not1_b32 vcc_lo, exec_lo, s1
	s_wait_alu 0xfffe
	s_cbranch_vccnz .LBB98_167
; %bb.150:
	s_cvt_f32_u32 s0, s10
	s_sub_co_i32 s1, 0, s10
	s_mov_b32 s11, 0
	s_wait_alu 0xfffe
	v_rcp_iflag_f32_e32 v2, s0
	s_delay_alu instid0(TRANS32_DEP_1) | instskip(SKIP_2) | instid1(SALU_CYCLE_2)
	v_readfirstlane_b32 s0, v2
	s_mul_f32 s0, s0, 0x4f7ffffe
	s_wait_alu 0xfffe
	s_cvt_u32_f32 s0, s0
	s_wait_alu 0xfffe
	s_delay_alu instid0(SALU_CYCLE_2)
	s_mul_i32 s3, s1, s0
	s_wait_alu 0xfffe
	s_mul_hi_u32 s3, s0, s3
	s_wait_alu 0xfffe
	s_add_co_i32 s0, s0, s3
	s_wait_alu 0xfffe
	v_mul_hi_u32 v2, v0, s0
	s_mov_b32 s0, exec_lo
	s_delay_alu instid0(VALU_DEP_1) | instskip(NEXT) | instid1(VALU_DEP_1)
	v_mul_lo_u32 v3, v2, s10
	v_sub_nc_u32_e32 v3, v0, v3
	s_delay_alu instid0(VALU_DEP_1) | instskip(SKIP_2) | instid1(VALU_DEP_2)
	v_subrev_nc_u32_e32 v5, s10, v3
	v_cmp_le_u32_e32 vcc_lo, s10, v3
	s_wait_alu 0xfffd
	v_dual_cndmask_b32 v3, v3, v5 :: v_dual_add_nc_u32 v4, 1, v2
	s_delay_alu instid0(VALU_DEP_1) | instskip(NEXT) | instid1(VALU_DEP_2)
	v_dual_cndmask_b32 v2, v2, v4 :: v_dual_mov_b32 v5, 0
	v_cmp_le_u32_e32 vcc_lo, s10, v3
	s_delay_alu instid0(VALU_DEP_2) | instskip(SKIP_1) | instid1(VALU_DEP_1)
	v_add_nc_u32_e32 v4, 1, v2
	s_wait_alu 0xfffd
	v_cndmask_b32_e32 v4, v2, v4, vcc_lo
	s_delay_alu instid0(VALU_DEP_1) | instskip(NEXT) | instid1(VALU_DEP_1)
	v_lshlrev_b64_e32 v[2:3], 3, v[4:5]
	v_add_co_u32 v2, vcc_lo, s26, v2
	s_wait_alu 0xfffd
	s_delay_alu instid0(VALU_DEP_2)
	v_add_co_ci_u32_e64 v3, null, s27, v3, vcc_lo
	global_load_b128 v[8:11], v[2:3], off
	s_wait_loadcnt 0x0
	v_sub_co_u32 v2, vcc_lo, v8, s4
	s_wait_alu 0xfffd
	v_subrev_co_ci_u32_e64 v3, null, s5, v9, vcc_lo
	v_sub_co_u32 v14, vcc_lo, v10, s4
	s_wait_alu 0xfffd
	v_subrev_co_ci_u32_e64 v15, null, s5, v11, vcc_lo
	v_mov_b32_e32 v8, v5
	s_delay_alu instid0(VALU_DEP_3) | instskip(SKIP_1) | instid1(VALU_DEP_3)
	v_sub_co_u32 v12, vcc_lo, v14, v2
	s_wait_alu 0xfffd
	v_sub_co_ci_u32_e64 v9, null, v15, v3, vcc_lo
                                        ; implicit-def: $vgpr10_vgpr11
	s_delay_alu instid0(VALU_DEP_1)
	v_cmpx_ne_u64_e32 0, v[8:9]
	s_wait_alu 0xfffe
	s_xor_b32 s3, exec_lo, s0
	s_cbranch_execz .LBB98_152
; %bb.151:
	s_add_nc_u64 s[4:5], s[10:11], 0
	s_mov_b32 s13, s11
	s_wait_alu 0xfffe
	s_xor_b64 s[4:5], s[4:5], 0
	s_mov_b32 s17, s11
	s_wait_alu 0xfffe
	s_cvt_f32_u32 s0, s4
	s_cvt_f32_u32 s6, s5
	s_sub_nc_u64 s[8:9], 0, s[4:5]
	v_ashrrev_i32_e32 v16, 31, v9
	s_wait_alu 0xfffe
	s_fmamk_f32 s0, s6, 0x4f800000, s0
	s_delay_alu instid0(VALU_DEP_1) | instskip(SKIP_1) | instid1(SALU_CYCLE_1)
	v_add_co_u32 v8, vcc_lo, v12, v16
	s_wait_alu 0xfffe
	v_s_rcp_f32 s0, s0
	s_wait_alu 0xfffd
	v_add_co_ci_u32_e64 v9, null, v9, v16, vcc_lo
	v_xor_b32_e32 v17, v8, v16
	s_delay_alu instid0(VALU_DEP_2) | instskip(NEXT) | instid1(TRANS32_DEP_1)
	v_xor_b32_e32 v19, v9, v16
	s_mul_f32 s0, s0, 0x5f7ffffc
	s_wait_alu 0xfffe
	s_delay_alu instid0(SALU_CYCLE_2) | instskip(SKIP_1) | instid1(SALU_CYCLE_2)
	s_mul_f32 s6, s0, 0x2f800000
	s_wait_alu 0xfffe
	s_trunc_f32 s6, s6
	s_wait_alu 0xfffe
	s_delay_alu instid0(SALU_CYCLE_2) | instskip(SKIP_2) | instid1(SALU_CYCLE_1)
	s_fmamk_f32 s0, s6, 0xcf800000, s0
	s_cvt_u32_f32 s7, s6
	s_wait_alu 0xfffe
	s_cvt_u32_f32 s6, s0
	s_wait_alu 0xfffe
	s_delay_alu instid0(SALU_CYCLE_2)
	s_mul_u64 s[14:15], s[8:9], s[6:7]
	s_wait_alu 0xfffe
	s_mul_hi_u32 s19, s6, s15
	s_mul_i32 s18, s6, s15
	s_mul_hi_u32 s12, s6, s14
	s_mul_i32 s16, s7, s14
	s_wait_alu 0xfffe
	s_add_nc_u64 s[12:13], s[12:13], s[18:19]
	s_mul_hi_u32 s0, s7, s14
	s_mul_hi_u32 s24, s7, s15
	s_wait_alu 0xfffe
	s_add_co_u32 s12, s12, s16
	s_add_co_ci_u32 s16, s13, s0
	s_mul_i32 s14, s7, s15
	s_add_co_ci_u32 s15, s24, 0
	s_wait_alu 0xfffe
	s_add_nc_u64 s[12:13], s[16:17], s[14:15]
	s_mov_b32 s15, s11
	s_wait_alu 0xfffe
	s_add_co_u32 s6, s6, s12
	s_cselect_b32 s0, -1, 0
	s_wait_alu 0xfffe
	s_cmp_lg_u32 s0, 0
	s_add_co_ci_u32 s7, s7, s13
	s_mov_b32 s13, s11
	s_wait_alu 0xfffe
	s_mul_u64 s[8:9], s[8:9], s[6:7]
	s_wait_alu 0xfffe
	s_mul_hi_u32 s17, s6, s9
	s_mul_i32 s16, s6, s9
	s_mul_hi_u32 s14, s6, s8
	s_mul_i32 s11, s7, s8
	s_wait_alu 0xfffe
	s_add_nc_u64 s[14:15], s[14:15], s[16:17]
	s_mul_hi_u32 s0, s7, s8
	s_mul_hi_u32 s18, s7, s9
	s_mul_i32 s8, s7, s9
	s_wait_alu 0xfffe
	s_add_co_u32 s9, s14, s11
	s_add_co_ci_u32 s12, s15, s0
	s_add_co_ci_u32 s9, s18, 0
	s_wait_alu 0xfffe
	s_add_nc_u64 s[8:9], s[12:13], s[8:9]
	s_wait_alu 0xfffe
	s_add_co_u32 s0, s6, s8
	s_cselect_b32 s6, -1, 0
	s_wait_alu 0xfffe
	v_mul_hi_u32 v20, v17, s0
	s_cmp_lg_u32 s6, 0
	v_mad_co_u64_u32 v[10:11], null, v19, s0, 0
	s_add_co_ci_u32 s6, s7, s9
	s_wait_alu 0xfffe
	v_mad_co_u64_u32 v[8:9], null, v17, s6, 0
	v_mad_co_u64_u32 v[12:13], null, v19, s6, 0
	s_delay_alu instid0(VALU_DEP_2) | instskip(SKIP_1) | instid1(VALU_DEP_3)
	v_add_co_u32 v8, vcc_lo, v20, v8
	s_wait_alu 0xfffd
	v_add_co_ci_u32_e64 v9, null, 0, v9, vcc_lo
	s_delay_alu instid0(VALU_DEP_2) | instskip(SKIP_1) | instid1(VALU_DEP_2)
	v_add_co_u32 v8, vcc_lo, v8, v10
	s_wait_alu 0xfffd
	v_add_co_ci_u32_e32 v8, vcc_lo, v9, v11, vcc_lo
	s_wait_alu 0xfffd
	v_add_co_ci_u32_e32 v9, vcc_lo, 0, v13, vcc_lo
	s_delay_alu instid0(VALU_DEP_2) | instskip(SKIP_1) | instid1(VALU_DEP_2)
	v_add_co_u32 v10, vcc_lo, v8, v12
	s_wait_alu 0xfffd
	v_add_co_ci_u32_e64 v11, null, 0, v9, vcc_lo
	s_delay_alu instid0(VALU_DEP_2) | instskip(SKIP_1) | instid1(VALU_DEP_3)
	v_mul_lo_u32 v12, s5, v10
	v_mad_co_u64_u32 v[8:9], null, s4, v10, 0
	v_mul_lo_u32 v13, s4, v11
	s_delay_alu instid0(VALU_DEP_2) | instskip(NEXT) | instid1(VALU_DEP_2)
	v_sub_co_u32 v8, vcc_lo, v17, v8
	v_add3_u32 v9, v9, v13, v12
	v_add_co_u32 v13, s0, v10, 2
	s_wait_alu 0xf1ff
	v_add_co_ci_u32_e64 v17, null, 0, v11, s0
	s_delay_alu instid0(VALU_DEP_3) | instskip(SKIP_3) | instid1(VALU_DEP_3)
	v_sub_nc_u32_e32 v12, v19, v9
	v_sub_co_u32 v20, s0, v8, s4
	s_wait_alu 0xfffd
	v_sub_co_ci_u32_e64 v9, null, v19, v9, vcc_lo
	v_subrev_co_ci_u32_e64 v12, null, s5, v12, vcc_lo
	s_delay_alu instid0(VALU_DEP_3) | instskip(SKIP_1) | instid1(VALU_DEP_2)
	v_cmp_le_u32_e32 vcc_lo, s4, v20
	s_wait_alu 0xf1ff
	v_subrev_co_ci_u32_e64 v12, null, 0, v12, s0
	s_wait_alu 0xfffd
	v_cndmask_b32_e64 v19, 0, -1, vcc_lo
	v_cmp_eq_u32_e64 s0, s5, v9
	s_delay_alu instid0(VALU_DEP_3)
	v_cmp_le_u32_e32 vcc_lo, s5, v12
	s_wait_alu 0xfffd
	v_cndmask_b32_e64 v20, 0, -1, vcc_lo
	v_cmp_le_u32_e32 vcc_lo, s4, v8
	s_wait_alu 0xfffd
	v_cndmask_b32_e64 v8, 0, -1, vcc_lo
	;; [unrolled: 3-line block ×3, first 2 shown]
	v_cmp_eq_u32_e32 vcc_lo, s5, v12
	s_wait_alu 0xf1ff
	s_delay_alu instid0(VALU_DEP_2)
	v_cndmask_b32_e64 v8, v21, v8, s0
	s_wait_alu 0xfffd
	v_cndmask_b32_e32 v12, v20, v19, vcc_lo
	v_add_co_u32 v19, vcc_lo, v10, 1
	s_wait_alu 0xfffd
	v_add_co_ci_u32_e64 v20, null, 0, v11, vcc_lo
	s_delay_alu instid0(VALU_DEP_3) | instskip(SKIP_1) | instid1(VALU_DEP_2)
	v_cmp_ne_u32_e32 vcc_lo, 0, v12
	s_wait_alu 0xfffd
	v_cndmask_b32_e32 v9, v20, v17, vcc_lo
	v_cndmask_b32_e32 v12, v19, v13, vcc_lo
	v_cmp_ne_u32_e32 vcc_lo, 0, v8
	s_wait_alu 0xfffd
	s_delay_alu instid0(VALU_DEP_2) | instskip(NEXT) | instid1(VALU_DEP_1)
	v_dual_cndmask_b32 v8, v11, v9 :: v_dual_cndmask_b32 v9, v10, v12
                                        ; implicit-def: $vgpr12
	v_xor_b32_e32 v8, v8, v16
	s_delay_alu instid0(VALU_DEP_2) | instskip(NEXT) | instid1(VALU_DEP_1)
	v_xor_b32_e32 v9, v9, v16
	v_sub_co_u32 v10, vcc_lo, v9, v16
	s_wait_alu 0xfffd
	s_delay_alu instid0(VALU_DEP_3)
	v_sub_co_ci_u32_e64 v11, null, v8, v16, vcc_lo
.LBB98_152:
	s_wait_alu 0xfffe
	s_and_not1_saveexec_b32 s0, s3
	s_cbranch_execz .LBB98_154
; %bb.153:
	v_cvt_f32_u32_e32 v8, s10
	s_delay_alu instid0(VALU_DEP_1) | instskip(NEXT) | instid1(TRANS32_DEP_1)
	v_rcp_iflag_f32_e32 v8, v8
	v_mul_f32_e32 v8, 0x4f7ffffe, v8
	s_delay_alu instid0(VALU_DEP_1) | instskip(NEXT) | instid1(VALU_DEP_1)
	v_cvt_u32_f32_e32 v8, v8
	v_mul_lo_u32 v9, s1, v8
	s_delay_alu instid0(VALU_DEP_1) | instskip(NEXT) | instid1(VALU_DEP_1)
	v_mul_hi_u32 v9, v8, v9
	v_add_nc_u32_e32 v8, v8, v9
	s_delay_alu instid0(VALU_DEP_1) | instskip(NEXT) | instid1(VALU_DEP_1)
	v_mul_hi_u32 v8, v12, v8
	v_mul_lo_u32 v9, v8, s10
	v_add_nc_u32_e32 v10, 1, v8
	s_delay_alu instid0(VALU_DEP_2) | instskip(NEXT) | instid1(VALU_DEP_1)
	v_sub_nc_u32_e32 v9, v12, v9
	v_subrev_nc_u32_e32 v11, s10, v9
	v_cmp_le_u32_e32 vcc_lo, s10, v9
	s_wait_alu 0xfffd
	s_delay_alu instid0(VALU_DEP_2) | instskip(SKIP_1) | instid1(VALU_DEP_2)
	v_dual_cndmask_b32 v9, v9, v11 :: v_dual_cndmask_b32 v8, v8, v10
	v_mov_b32_e32 v11, 0
	v_cmp_le_u32_e32 vcc_lo, s10, v9
	s_delay_alu instid0(VALU_DEP_3) | instskip(SKIP_1) | instid1(VALU_DEP_1)
	v_add_nc_u32_e32 v10, 1, v8
	s_wait_alu 0xfffd
	v_cndmask_b32_e32 v10, v8, v10, vcc_lo
.LBB98_154:
	s_wait_alu 0xfffe
	s_or_b32 exec_lo, exec_lo, s0
	v_cmp_gt_i64_e32 vcc_lo, s[22:23], v[4:5]
	v_mov_b32_e32 v4, 0
	v_mov_b32_e32 v5, 0
	s_and_saveexec_b32 s0, vcc_lo
	s_cbranch_execz .LBB98_162
; %bb.155:
	s_add_co_i32 s1, s10, -1
	v_mov_b32_e32 v4, 0
	s_wait_alu 0xfffe
	v_dual_mov_b32 v5, 0 :: v_dual_and_b32 v8, s1, v0
	s_mov_b32 s1, exec_lo
	s_delay_alu instid0(VALU_DEP_1)
	v_lshlrev_b32_e32 v16, 3, v8
	v_cmpx_lt_i64_e32 0, v[10:11]
	s_cbranch_execz .LBB98_159
; %bb.156:
	v_dual_mov_b32 v4, 0 :: v_dual_mov_b32 v13, v11
	s_delay_alu instid0(VALU_DEP_3)
	v_lshl_add_u32 v9, v2, 3, v16
	v_dual_mov_b32 v5, 0 :: v_dual_mov_b32 v12, v10
	s_lshl_b32 s4, s10, 3
	s_mov_b32 s3, 0
.LBB98_157:                             ; =>This Inner Loop Header: Depth=1
	ds_load_b64 v[19:20], v9
	v_add_co_u32 v12, vcc_lo, v12, -1
	s_wait_alu 0xfffd
	v_add_co_ci_u32_e64 v13, null, -1, v13, vcc_lo
	s_wait_alu 0xfffe
	v_add_nc_u32_e32 v9, s4, v9
	s_delay_alu instid0(VALU_DEP_2)
	v_cmp_eq_u64_e32 vcc_lo, 0, v[12:13]
	s_or_b32 s3, vcc_lo, s3
	s_wait_dscnt 0x0
	v_add_f64_e32 v[4:5], v[4:5], v[19:20]
	s_wait_alu 0xfffe
	s_and_not1_b32 exec_lo, exec_lo, s3
	s_cbranch_execnz .LBB98_157
; %bb.158:
	s_or_b32 exec_lo, exec_lo, s3
.LBB98_159:
	s_wait_alu 0xfffe
	s_or_b32 exec_lo, exec_lo, s1
	v_mad_co_u64_u32 v[2:3], null, v10, s10, v[2:3]
	v_mov_b32_e32 v9, 0
	s_mov_b32 s1, exec_lo
	s_delay_alu instid0(VALU_DEP_2) | instskip(NEXT) | instid1(VALU_DEP_3)
	v_mad_co_u64_u32 v[10:11], null, v11, s10, v[3:4]
	v_sub_co_u32 v11, vcc_lo, v14, v2
	s_wait_alu 0xfffd
	s_delay_alu instid0(VALU_DEP_2) | instskip(NEXT) | instid1(VALU_DEP_1)
	v_sub_co_ci_u32_e64 v12, null, v15, v10, vcc_lo
	v_cmpx_gt_i64_e64 v[11:12], v[8:9]
	s_cbranch_execz .LBB98_161
; %bb.160:
	v_lshl_add_u32 v2, v2, 3, v16
	ds_load_b64 v[2:3], v2
	s_wait_dscnt 0x0
	v_add_f64_e32 v[4:5], v[4:5], v[2:3]
.LBB98_161:
	s_wait_alu 0xfffe
	s_or_b32 exec_lo, exec_lo, s1
.LBB98_162:
	s_wait_alu 0xfffe
	s_or_b32 exec_lo, exec_lo, s0
	v_cmp_gt_i64_e32 vcc_lo, s[22:23], v[0:1]
	s_barrier_signal -1
	s_barrier_wait -1
	global_inv scope:SCOPE_SE
	ds_store_b64 v18, v[4:5]
	s_wait_loadcnt_dscnt 0x0
	s_barrier_signal -1
	s_barrier_wait -1
	global_inv scope:SCOPE_SE
	s_and_b32 exec_lo, exec_lo, vcc_lo
	s_cbranch_execz .LBB98_167
; %bb.163:
	v_mul_lo_u32 v1, s10, v0
	v_mov_b32_e32 v4, 0
	v_mov_b32_e32 v5, 0
	s_delay_alu instid0(VALU_DEP_3)
	v_lshlrev_b32_e32 v1, 3, v1
.LBB98_164:                             ; =>This Inner Loop Header: Depth=1
	ds_load_b64 v[2:3], v1
	v_add_nc_u32_e32 v1, 8, v1
	s_add_co_i32 s10, s10, -1
	s_wait_alu 0xfffe
	s_cmp_eq_u32 s10, 0
	s_wait_dscnt 0x0
	v_add_f64_e32 v[4:5], v[4:5], v[2:3]
	s_cbranch_scc0 .LBB98_164
; %bb.165:
	v_lshlrev_b64_e32 v[1:2], 3, v[6:7]
	v_lshlrev_b32_e32 v0, 3, v0
	s_lshl_b32 s0, s2, 3
	s_wait_alu 0xfffe
	s_delay_alu instid0(VALU_DEP_1) | instskip(NEXT) | instid1(VALU_DEP_3)
	v_add3_u32 v0, 0x2000, s0, v0
	v_add_co_u32 v6, vcc_lo, s20, v1
	s_wait_alu 0xfffd
	v_add_co_ci_u32_e64 v7, null, s21, v2, vcc_lo
	ds_load_b64 v[0:1], v0
	s_mov_b32 s0, 0
	global_load_b64 v[2:3], v[6:7], off
	s_wait_dscnt 0x0
	v_add_f64_e32 v[4:5], v[4:5], v[0:1]
.LBB98_166:                             ; =>This Inner Loop Header: Depth=1
	s_wait_loadcnt 0x0
	s_delay_alu instid0(VALU_DEP_1)
	v_add_f64_e32 v[0:1], v[2:3], v[4:5]
	global_atomic_cmpswap_b64 v[0:1], v[6:7], v[0:3], off th:TH_ATOMIC_RETURN scope:SCOPE_DEV
	s_wait_loadcnt 0x0
	v_cmp_eq_u64_e32 vcc_lo, v[0:1], v[2:3]
	v_dual_mov_b32 v3, v1 :: v_dual_mov_b32 v2, v0
	s_wait_alu 0xfffe
	s_or_b32 s0, vcc_lo, s0
	s_wait_alu 0xfffe
	s_and_not1_b32 exec_lo, exec_lo, s0
	s_cbranch_execnz .LBB98_166
.LBB98_167:
	s_endpgm
	.section	.rodata,"a",@progbits
	.p2align	6, 0x0
	.amdhsa_kernel _ZN9rocsparseL27csrmvn_symm_adaptive_kernelIllfdddEEvbT_S1_PKS1_NS_24const_host_device_scalarIT4_EES3_PKT0_PKT1_PKT2_S6_PT3_21rocsparse_index_base_b
		.amdhsa_group_segment_fixed_size 8192
		.amdhsa_private_segment_fixed_size 0
		.amdhsa_kernarg_size 352
		.amdhsa_user_sgpr_count 2
		.amdhsa_user_sgpr_dispatch_ptr 0
		.amdhsa_user_sgpr_queue_ptr 0
		.amdhsa_user_sgpr_kernarg_segment_ptr 1
		.amdhsa_user_sgpr_dispatch_id 0
		.amdhsa_user_sgpr_private_segment_size 0
		.amdhsa_wavefront_size32 1
		.amdhsa_uses_dynamic_stack 0
		.amdhsa_enable_private_segment 0
		.amdhsa_system_sgpr_workgroup_id_x 1
		.amdhsa_system_sgpr_workgroup_id_y 0
		.amdhsa_system_sgpr_workgroup_id_z 0
		.amdhsa_system_sgpr_workgroup_info 0
		.amdhsa_system_vgpr_workitem_id 0
		.amdhsa_next_free_vgpr 22
		.amdhsa_next_free_sgpr 42
		.amdhsa_reserve_vcc 1
		.amdhsa_float_round_mode_32 0
		.amdhsa_float_round_mode_16_64 0
		.amdhsa_float_denorm_mode_32 3
		.amdhsa_float_denorm_mode_16_64 3
		.amdhsa_fp16_overflow 0
		.amdhsa_workgroup_processor_mode 1
		.amdhsa_memory_ordered 1
		.amdhsa_forward_progress 1
		.amdhsa_inst_pref_size 83
		.amdhsa_round_robin_scheduling 0
		.amdhsa_exception_fp_ieee_invalid_op 0
		.amdhsa_exception_fp_denorm_src 0
		.amdhsa_exception_fp_ieee_div_zero 0
		.amdhsa_exception_fp_ieee_overflow 0
		.amdhsa_exception_fp_ieee_underflow 0
		.amdhsa_exception_fp_ieee_inexact 0
		.amdhsa_exception_int_div_zero 0
	.end_amdhsa_kernel
	.section	.text._ZN9rocsparseL27csrmvn_symm_adaptive_kernelIllfdddEEvbT_S1_PKS1_NS_24const_host_device_scalarIT4_EES3_PKT0_PKT1_PKT2_S6_PT3_21rocsparse_index_base_b,"axG",@progbits,_ZN9rocsparseL27csrmvn_symm_adaptive_kernelIllfdddEEvbT_S1_PKS1_NS_24const_host_device_scalarIT4_EES3_PKT0_PKT1_PKT2_S6_PT3_21rocsparse_index_base_b,comdat
.Lfunc_end98:
	.size	_ZN9rocsparseL27csrmvn_symm_adaptive_kernelIllfdddEEvbT_S1_PKS1_NS_24const_host_device_scalarIT4_EES3_PKT0_PKT1_PKT2_S6_PT3_21rocsparse_index_base_b, .Lfunc_end98-_ZN9rocsparseL27csrmvn_symm_adaptive_kernelIllfdddEEvbT_S1_PKS1_NS_24const_host_device_scalarIT4_EES3_PKT0_PKT1_PKT2_S6_PT3_21rocsparse_index_base_b
                                        ; -- End function
	.set _ZN9rocsparseL27csrmvn_symm_adaptive_kernelIllfdddEEvbT_S1_PKS1_NS_24const_host_device_scalarIT4_EES3_PKT0_PKT1_PKT2_S6_PT3_21rocsparse_index_base_b.num_vgpr, 22
	.set _ZN9rocsparseL27csrmvn_symm_adaptive_kernelIllfdddEEvbT_S1_PKS1_NS_24const_host_device_scalarIT4_EES3_PKT0_PKT1_PKT2_S6_PT3_21rocsparse_index_base_b.num_agpr, 0
	.set _ZN9rocsparseL27csrmvn_symm_adaptive_kernelIllfdddEEvbT_S1_PKS1_NS_24const_host_device_scalarIT4_EES3_PKT0_PKT1_PKT2_S6_PT3_21rocsparse_index_base_b.numbered_sgpr, 42
	.set _ZN9rocsparseL27csrmvn_symm_adaptive_kernelIllfdddEEvbT_S1_PKS1_NS_24const_host_device_scalarIT4_EES3_PKT0_PKT1_PKT2_S6_PT3_21rocsparse_index_base_b.num_named_barrier, 0
	.set _ZN9rocsparseL27csrmvn_symm_adaptive_kernelIllfdddEEvbT_S1_PKS1_NS_24const_host_device_scalarIT4_EES3_PKT0_PKT1_PKT2_S6_PT3_21rocsparse_index_base_b.private_seg_size, 0
	.set _ZN9rocsparseL27csrmvn_symm_adaptive_kernelIllfdddEEvbT_S1_PKS1_NS_24const_host_device_scalarIT4_EES3_PKT0_PKT1_PKT2_S6_PT3_21rocsparse_index_base_b.uses_vcc, 1
	.set _ZN9rocsparseL27csrmvn_symm_adaptive_kernelIllfdddEEvbT_S1_PKS1_NS_24const_host_device_scalarIT4_EES3_PKT0_PKT1_PKT2_S6_PT3_21rocsparse_index_base_b.uses_flat_scratch, 0
	.set _ZN9rocsparseL27csrmvn_symm_adaptive_kernelIllfdddEEvbT_S1_PKS1_NS_24const_host_device_scalarIT4_EES3_PKT0_PKT1_PKT2_S6_PT3_21rocsparse_index_base_b.has_dyn_sized_stack, 0
	.set _ZN9rocsparseL27csrmvn_symm_adaptive_kernelIllfdddEEvbT_S1_PKS1_NS_24const_host_device_scalarIT4_EES3_PKT0_PKT1_PKT2_S6_PT3_21rocsparse_index_base_b.has_recursion, 0
	.set _ZN9rocsparseL27csrmvn_symm_adaptive_kernelIllfdddEEvbT_S1_PKS1_NS_24const_host_device_scalarIT4_EES3_PKT0_PKT1_PKT2_S6_PT3_21rocsparse_index_base_b.has_indirect_call, 0
	.section	.AMDGPU.csdata,"",@progbits
; Kernel info:
; codeLenInByte = 10612
; TotalNumSgprs: 44
; NumVgprs: 22
; ScratchSize: 0
; MemoryBound: 0
; FloatMode: 240
; IeeeMode: 1
; LDSByteSize: 8192 bytes/workgroup (compile time only)
; SGPRBlocks: 0
; VGPRBlocks: 2
; NumSGPRsForWavesPerEU: 44
; NumVGPRsForWavesPerEU: 22
; Occupancy: 16
; WaveLimiterHint : 1
; COMPUTE_PGM_RSRC2:SCRATCH_EN: 0
; COMPUTE_PGM_RSRC2:USER_SGPR: 2
; COMPUTE_PGM_RSRC2:TRAP_HANDLER: 0
; COMPUTE_PGM_RSRC2:TGID_X_EN: 1
; COMPUTE_PGM_RSRC2:TGID_Y_EN: 0
; COMPUTE_PGM_RSRC2:TGID_Z_EN: 0
; COMPUTE_PGM_RSRC2:TIDIG_COMP_CNT: 0
	.section	.text._ZL33csrmvn_symm_large_adaptive_kernelIllfdddEvbT_PKS0_N9rocsparse24const_host_device_scalarIT4_EES2_PKT0_PKT1_PKT2_S6_PT3_21rocsparse_index_base_b,"axG",@progbits,_ZL33csrmvn_symm_large_adaptive_kernelIllfdddEvbT_PKS0_N9rocsparse24const_host_device_scalarIT4_EES2_PKT0_PKT1_PKT2_S6_PT3_21rocsparse_index_base_b,comdat
	.globl	_ZL33csrmvn_symm_large_adaptive_kernelIllfdddEvbT_PKS0_N9rocsparse24const_host_device_scalarIT4_EES2_PKT0_PKT1_PKT2_S6_PT3_21rocsparse_index_base_b ; -- Begin function _ZL33csrmvn_symm_large_adaptive_kernelIllfdddEvbT_PKS0_N9rocsparse24const_host_device_scalarIT4_EES2_PKT0_PKT1_PKT2_S6_PT3_21rocsparse_index_base_b
	.p2align	8
	.type	_ZL33csrmvn_symm_large_adaptive_kernelIllfdddEvbT_PKS0_N9rocsparse24const_host_device_scalarIT4_EES2_PKT0_PKT1_PKT2_S6_PT3_21rocsparse_index_base_b,@function
_ZL33csrmvn_symm_large_adaptive_kernelIllfdddEvbT_PKS0_N9rocsparse24const_host_device_scalarIT4_EES2_PKT0_PKT1_PKT2_S6_PT3_21rocsparse_index_base_b: ; @_ZL33csrmvn_symm_large_adaptive_kernelIllfdddEvbT_PKS0_N9rocsparse24const_host_device_scalarIT4_EES2_PKT0_PKT1_PKT2_S6_PT3_21rocsparse_index_base_b
; %bb.0:
	s_clause 0x2
	s_load_b64 s[6:7], s[0:1], 0x50
	s_load_b64 s[4:5], s[0:1], 0x18
	;; [unrolled: 1-line block ×3, first 2 shown]
	s_wait_kmcnt 0x0
	s_bitcmp1_b32 s7, 0
	v_dual_mov_b32 v4, s4 :: v_dual_mov_b32 v5, s5
	s_cselect_b32 s7, -1, 0
	s_delay_alu instid0(SALU_CYCLE_1)
	s_and_b32 vcc_lo, exec_lo, s7
	s_xor_b32 s7, s7, -1
	s_cbranch_vccnz .LBB99_2
; %bb.1:
	v_dual_mov_b32 v1, s4 :: v_dual_mov_b32 v2, s5
	flat_load_b64 v[4:5], v[1:2]
.LBB99_2:
	v_dual_mov_b32 v1, s2 :: v_dual_mov_b32 v2, s3
	s_and_not1_b32 vcc_lo, exec_lo, s7
	s_cbranch_vccnz .LBB99_4
; %bb.3:
	v_dual_mov_b32 v1, s2 :: v_dual_mov_b32 v2, s3
	flat_load_b64 v[1:2], v[1:2]
.LBB99_4:
	s_wait_loadcnt_dscnt 0x0
	v_cmp_neq_f64_e32 vcc_lo, 0, v[4:5]
	v_cmp_neq_f64_e64 s2, 1.0, v[1:2]
	s_or_b32 s2, vcc_lo, s2
	s_wait_alu 0xfffe
	s_and_saveexec_b32 s3, s2
	s_cbranch_execz .LBB99_39
; %bb.5:
	s_load_b64 s[4:5], s[0:1], 0x10
	s_mov_b32 s22, 0
	s_mov_b32 s2, ttmp9
	s_mov_b32 s23, s22
	v_dual_mov_b32 v1, s22 :: v_dual_lshlrev_b32 v10, 3, v0
	s_ashr_i32 s3, ttmp9, 31
	v_dual_mov_b32 v2, s23 :: v_dual_mov_b32 v13, 0
	s_wait_alu 0xfffe
	s_lshl_b64 s[2:3], s[2:3], 3
	ds_store_2addr_stride64_b64 v10, v[1:2], v[1:2] offset1:4
	ds_store_2addr_stride64_b64 v10, v[1:2], v[1:2] offset0:8 offset1:12
	s_wait_dscnt 0x0
	s_barrier_signal -1
	s_barrier_wait -1
	global_inv scope:SCOPE_SE
	s_mov_b32 s7, s22
	s_wait_kmcnt 0x0
	s_wait_alu 0xfffe
	s_add_nc_u64 s[2:3], s[4:5], s[2:3]
	s_load_b128 s[16:19], s[2:3], 0x0
	s_clause 0x1
	s_load_b256 s[8:15], s[0:1], 0x20
	s_load_b64 s[20:21], s[0:1], 0x48
	v_sub_co_u32 v11, s1, v0, s6
	s_delay_alu instid0(VALU_DEP_1)
	v_sub_co_ci_u32_e64 v12, null, 0, 0, s1
	s_wait_kmcnt 0x0
	v_cmp_ge_i64_e64 s0, s[16:17], s[18:19]
	s_and_b32 vcc_lo, exec_lo, s0
	s_cbranch_vccnz .LBB99_29
; %bb.6:
	v_cmp_gt_u32_e64 s0, 0x100, v0
	v_cmp_gt_u32_e64 s1, 64, v0
	v_cmp_gt_u32_e64 s2, 16, v0
	v_cmp_gt_u32_e64 s3, 4, v0
	v_cmp_eq_u32_e64 s4, 0, v0
	s_mov_b64 s[22:23], s[16:17]
	s_branch .LBB99_8
.LBB99_7:                               ;   in Loop: Header=BB99_8 Depth=1
	s_wait_alu 0xfffe
	s_or_b32 exec_lo, exec_lo, s5
	s_add_nc_u64 s[22:23], s[22:23], 1
	s_wait_alu 0xfffe
	v_cmp_ge_i64_e64 s5, s[22:23], s[18:19]
	s_and_b32 vcc_lo, exec_lo, s5
	s_wait_alu 0xfffe
	s_cbranch_vccnz .LBB99_29
.LBB99_8:                               ; =>This Loop Header: Depth=1
                                        ;     Child Loop BB99_10 Depth 2
                                        ;     Child Loop BB99_24 Depth 2
	;; [unrolled: 1-line block ×3, first 2 shown]
	s_wait_alu 0xfffe
	s_lshl_b64 s[24:25], s[22:23], 3
	v_mov_b32_e32 v2, 0
	s_add_nc_u64 s[26:27], s[8:9], s[24:25]
	v_mov_b32_e32 v3, 0
	s_load_b128 s[28:31], s[26:27], 0x0
	s_wait_kmcnt 0x0
	v_add_co_u32 v0, vcc_lo, s28, v11
	s_wait_alu 0xfffd
	v_add_co_ci_u32_e64 v1, null, s29, v12, vcc_lo
	s_sub_nc_u64 s[26:27], s[30:31], s[6:7]
	s_mov_b32 s28, exec_lo
	s_wait_alu 0xfffe
	v_cmpx_gt_i64_e64 s[26:27], v[0:1]
	s_cbranch_execz .LBB99_12
; %bb.9:                                ;   in Loop: Header=BB99_8 Depth=1
	v_lshlrev_b64_e32 v[6:7], 3, v[0:1]
	v_lshlrev_b64_e32 v[8:9], 2, v[0:1]
	v_mov_b32_e32 v2, 0
	v_mov_b32_e32 v3, 0
	s_mov_b32 s29, 0
	s_delay_alu instid0(VALU_DEP_4)
	v_add_co_u32 v6, vcc_lo, s10, v6
	s_wait_alu 0xfffd
	v_add_co_ci_u32_e64 v7, null, s11, v7, vcc_lo
	v_add_co_u32 v8, vcc_lo, s12, v8
	s_wait_alu 0xfffd
	v_add_co_ci_u32_e64 v9, null, s13, v9, vcc_lo
.LBB99_10:                              ;   Parent Loop BB99_8 Depth=1
                                        ; =>  This Inner Loop Header: Depth=2
	global_load_b64 v[14:15], v[6:7], off
	global_load_b32 v16, v[8:9], off
	v_add_co_u32 v8, s5, 0x400, v8
	s_wait_alu 0xf1ff
	v_add_co_ci_u32_e64 v9, null, 0, v9, s5
	s_wait_loadcnt 0x1
	v_sub_co_u32 v14, vcc_lo, v14, s6
	s_wait_alu 0xfffd
	v_subrev_co_ci_u32_e64 v15, null, 0, v15, vcc_lo
	s_wait_loadcnt 0x0
	v_cvt_f64_f32_e32 v[16:17], v16
	s_delay_alu instid0(VALU_DEP_2) | instskip(NEXT) | instid1(VALU_DEP_1)
	v_lshlrev_b64_e32 v[14:15], 3, v[14:15]
	v_add_co_u32 v14, vcc_lo, s14, v14
	s_wait_alu 0xfffd
	s_delay_alu instid0(VALU_DEP_2)
	v_add_co_ci_u32_e64 v15, null, s15, v15, vcc_lo
	v_add_co_u32 v0, vcc_lo, 0x100, v0
	s_wait_alu 0xfffd
	v_add_co_ci_u32_e64 v1, null, 0, v1, vcc_lo
	global_load_b64 v[14:15], v[14:15], off
	v_add_co_u32 v6, vcc_lo, 0x800, v6
	s_wait_alu 0xfffd
	v_add_co_ci_u32_e64 v7, null, 0, v7, vcc_lo
	v_cmp_le_i64_e32 vcc_lo, s[26:27], v[0:1]
	s_wait_alu 0xfffe
	s_or_b32 s29, vcc_lo, s29
	s_wait_loadcnt 0x0
	v_fma_f64 v[2:3], v[16:17], v[14:15], v[2:3]
	s_wait_alu 0xfffe
	s_and_not1_b32 exec_lo, exec_lo, s29
	s_cbranch_execnz .LBB99_10
; %bb.11:                               ;   in Loop: Header=BB99_8 Depth=1
	s_or_b32 exec_lo, exec_lo, s29
.LBB99_12:                              ;   in Loop: Header=BB99_8 Depth=1
	s_wait_alu 0xfffe
	s_or_b32 exec_lo, exec_lo, s28
	ds_store_b64 v10, v[2:3]
	s_wait_loadcnt_dscnt 0x0
	s_barrier_signal -1
	s_barrier_wait -1
	global_inv scope:SCOPE_SE
	s_and_saveexec_b32 s5, s0
	s_cbranch_execz .LBB99_14
; %bb.13:                               ;   in Loop: Header=BB99_8 Depth=1
	ds_load_2addr_stride64_b64 v[0:3], v10 offset1:4
	ds_load_2addr_stride64_b64 v[6:9], v10 offset0:8 offset1:12
	s_wait_dscnt 0x0
	v_add_f64_e32 v[2:3], v[2:3], v[6:7]
	s_delay_alu instid0(VALU_DEP_1) | instskip(NEXT) | instid1(VALU_DEP_1)
	v_add_f64_e32 v[2:3], v[2:3], v[8:9]
	v_add_f64_e32 v[0:1], v[0:1], v[2:3]
	ds_store_b64 v10, v[0:1]
.LBB99_14:                              ;   in Loop: Header=BB99_8 Depth=1
	s_wait_alu 0xfffe
	s_or_b32 exec_lo, exec_lo, s5
	s_wait_loadcnt_dscnt 0x0
	s_barrier_signal -1
	s_barrier_wait -1
	global_inv scope:SCOPE_SE
	s_and_saveexec_b32 s5, s1
	s_cbranch_execz .LBB99_16
; %bb.15:                               ;   in Loop: Header=BB99_8 Depth=1
	ds_load_2addr_stride64_b64 v[0:3], v10 offset1:1
	ds_load_2addr_stride64_b64 v[6:9], v10 offset0:2 offset1:3
	s_wait_dscnt 0x0
	v_add_f64_e32 v[2:3], v[2:3], v[6:7]
	s_delay_alu instid0(VALU_DEP_1) | instskip(NEXT) | instid1(VALU_DEP_1)
	v_add_f64_e32 v[2:3], v[2:3], v[8:9]
	v_add_f64_e32 v[0:1], v[0:1], v[2:3]
	ds_store_b64 v10, v[0:1]
.LBB99_16:                              ;   in Loop: Header=BB99_8 Depth=1
	s_wait_alu 0xfffe
	s_or_b32 exec_lo, exec_lo, s5
	s_wait_loadcnt_dscnt 0x0
	s_barrier_signal -1
	s_barrier_wait -1
	global_inv scope:SCOPE_SE
	s_and_saveexec_b32 s5, s2
	s_cbranch_execz .LBB99_18
; %bb.17:                               ;   in Loop: Header=BB99_8 Depth=1
	ds_load_2addr_b64 v[0:3], v10 offset1:16
	ds_load_2addr_b64 v[6:9], v10 offset0:32 offset1:48
	s_wait_dscnt 0x0
	v_add_f64_e32 v[2:3], v[2:3], v[6:7]
	s_delay_alu instid0(VALU_DEP_1) | instskip(NEXT) | instid1(VALU_DEP_1)
	v_add_f64_e32 v[2:3], v[2:3], v[8:9]
	v_add_f64_e32 v[0:1], v[0:1], v[2:3]
	ds_store_b64 v10, v[0:1]
.LBB99_18:                              ;   in Loop: Header=BB99_8 Depth=1
	s_wait_alu 0xfffe
	s_or_b32 exec_lo, exec_lo, s5
	s_wait_loadcnt_dscnt 0x0
	s_barrier_signal -1
	s_barrier_wait -1
	global_inv scope:SCOPE_SE
	s_and_saveexec_b32 s5, s3
	s_cbranch_execz .LBB99_20
; %bb.19:                               ;   in Loop: Header=BB99_8 Depth=1
	ds_load_2addr_b64 v[0:3], v10 offset1:4
	ds_load_2addr_b64 v[6:9], v10 offset0:8 offset1:12
	s_wait_dscnt 0x0
	v_add_f64_e32 v[2:3], v[2:3], v[6:7]
	s_delay_alu instid0(VALU_DEP_1) | instskip(NEXT) | instid1(VALU_DEP_1)
	v_add_f64_e32 v[2:3], v[2:3], v[8:9]
	v_add_f64_e32 v[0:1], v[0:1], v[2:3]
	ds_store_b64 v10, v[0:1]
.LBB99_20:                              ;   in Loop: Header=BB99_8 Depth=1
	s_wait_alu 0xfffe
	s_or_b32 exec_lo, exec_lo, s5
	s_wait_loadcnt_dscnt 0x0
	s_barrier_signal -1
	s_barrier_wait -1
	global_inv scope:SCOPE_SE
	s_and_saveexec_b32 s5, s4
	s_cbranch_execz .LBB99_22
; %bb.21:                               ;   in Loop: Header=BB99_8 Depth=1
	ds_load_2addr_b64 v[0:3], v13 offset0:1 offset1:2
	ds_load_b64 v[6:7], v10
	s_wait_dscnt 0x1
	v_add_f64_e32 v[0:1], v[0:1], v[2:3]
	ds_load_b64 v[2:3], v13 offset:24
	s_wait_dscnt 0x0
	v_add_f64_e32 v[0:1], v[0:1], v[2:3]
	s_delay_alu instid0(VALU_DEP_1)
	v_add_f64_e32 v[0:1], v[6:7], v[0:1]
	ds_store_b64 v10, v[0:1]
.LBB99_22:                              ;   in Loop: Header=BB99_8 Depth=1
	s_wait_alu 0xfffe
	s_or_b32 exec_lo, exec_lo, s5
	s_wait_loadcnt_dscnt 0x0
	s_barrier_signal -1
	s_barrier_wait -1
	global_inv scope:SCOPE_SE
	s_and_saveexec_b32 s5, s4
	s_cbranch_execz .LBB99_7
; %bb.23:                               ;   in Loop: Header=BB99_8 Depth=1
	ds_load_b64 v[0:1], v13
	v_mov_b32_e32 v6, 0
	v_bfrev_b32_e32 v7, 1
	s_mov_b32 s26, exec_lo
	s_wait_dscnt 0x0
	v_mul_f64_e32 v[0:1], v[4:5], v[0:1]
.LBB99_24:                              ;   Parent Loop BB99_8 Depth=1
                                        ; =>  This Inner Loop Header: Depth=2
	s_wait_alu 0xfffe
	s_ctz_i32_b32 s27, s26
	s_wait_alu 0xfffe
	s_delay_alu instid0(VALU_DEP_1) | instskip(NEXT) | instid1(VALU_DEP_2)
	v_readlane_b32 s29, v1, s27
	v_readlane_b32 s28, v0, s27
	s_lshl_b32 s27, 1, s27
	s_wait_alu 0xfffe
	s_and_not1_b32 s26, s26, s27
	v_add_f64_e32 v[6:7], s[28:29], v[6:7]
	s_wait_alu 0xfffe
	s_cmp_lg_u32 s26, 0
	s_cbranch_scc1 .LBB99_24
; %bb.25:                               ;   in Loop: Header=BB99_8 Depth=1
	v_mbcnt_lo_u32_b32 v0, exec_lo, 0
	s_mov_b32 s26, exec_lo
	s_delay_alu instid0(VALU_DEP_1)
	v_cmpx_eq_u32_e32 0, v0
	s_wait_alu 0xfffe
	s_xor_b32 s26, exec_lo, s26
	s_cbranch_execz .LBB99_7
; %bb.26:                               ;   in Loop: Header=BB99_8 Depth=1
	s_add_nc_u64 s[24:25], s[20:21], s[24:25]
	s_mov_b32 s26, 0
	global_load_b64 v[2:3], v13, s[24:25]
.LBB99_27:                              ;   Parent Loop BB99_8 Depth=1
                                        ; =>  This Inner Loop Header: Depth=2
	s_wait_loadcnt 0x0
	v_add_f64_e32 v[0:1], v[2:3], v[6:7]
	global_atomic_cmpswap_b64 v[0:1], v13, v[0:3], s[24:25] th:TH_ATOMIC_RETURN scope:SCOPE_DEV
	s_wait_loadcnt 0x0
	v_cmp_eq_u64_e32 vcc_lo, v[0:1], v[2:3]
	v_dual_mov_b32 v3, v1 :: v_dual_mov_b32 v2, v0
	s_wait_alu 0xfffe
	s_or_b32 s26, vcc_lo, s26
	s_wait_alu 0xfffe
	s_and_not1_b32 exec_lo, exec_lo, s26
	s_cbranch_execnz .LBB99_27
; %bb.28:                               ;   in Loop: Header=BB99_8 Depth=1
	s_or_b32 exec_lo, exec_lo, s26
	s_branch .LBB99_7
.LBB99_29:
	s_lshl_b64 s[0:1], s[16:17], 3
	s_lshl_b64 s[2:3], s[18:19], 3
	s_wait_alu 0xfffe
	s_add_nc_u64 s[0:1], s[8:9], s[0:1]
	s_add_nc_u64 s[2:3], s[8:9], s[2:3]
	s_clause 0x1
	s_load_b64 s[0:1], s[0:1], 0x0
	s_load_b64 s[2:3], s[2:3], 0x0
	s_wait_kmcnt 0x0
	v_add_co_u32 v6, vcc_lo, s0, v11
	s_wait_alu 0xfffd
	v_add_co_ci_u32_e64 v7, null, s1, v12, vcc_lo
	s_sub_nc_u64 s[2:3], s[2:3], s[6:7]
	s_wait_alu 0xfffe
	v_cmp_gt_i64_e32 vcc_lo, s[2:3], v[6:7]
	s_and_b32 exec_lo, exec_lo, vcc_lo
	s_cbranch_execz .LBB99_39
; %bb.30:
	s_add_nc_u64 s[4:5], s[18:19], -1
	s_add_nc_u64 s[0:1], s[18:19], -2
	s_wait_alu 0xfffe
	v_cmp_lt_i64_e64 s7, s[16:17], s[4:5]
	s_cmp_lg_u64 s[16:17], s[0:1]
	s_cselect_b32 s0, -1, 0
	s_wait_alu 0xfffe
	s_and_b32 s1, s7, s0
	s_mov_b32 s7, 0
	s_branch .LBB99_32
.LBB99_31:                              ;   in Loop: Header=BB99_32 Depth=1
	s_wait_alu 0xfffe
	s_or_b32 exec_lo, exec_lo, s0
	v_add_co_u32 v6, vcc_lo, 0x100, v6
	s_wait_alu 0xfffd
	v_add_co_ci_u32_e64 v7, null, 0, v7, vcc_lo
	s_delay_alu instid0(VALU_DEP_1)
	v_cmp_le_i64_e32 vcc_lo, s[2:3], v[6:7]
	s_or_b32 s7, vcc_lo, s7
	s_wait_alu 0xfffe
	s_and_not1_b32 exec_lo, exec_lo, s7
	s_cbranch_execz .LBB99_39
.LBB99_32:                              ; =>This Loop Header: Depth=1
                                        ;     Child Loop BB99_34 Depth 2
                                        ;     Child Loop BB99_38 Depth 2
	v_dual_mov_b32 v0, s16 :: v_dual_mov_b32 v1, s17
	v_dual_mov_b32 v2, s4 :: v_dual_mov_b32 v3, s5
	s_wait_alu 0xfffe
	s_and_not1_b32 vcc_lo, exec_lo, s1
	s_wait_alu 0xfffe
	s_cbranch_vccnz .LBB99_36
; %bb.33:                               ;   in Loop: Header=BB99_32 Depth=1
	v_dual_mov_b32 v0, s16 :: v_dual_mov_b32 v1, s17
	v_dual_mov_b32 v2, s4 :: v_dual_mov_b32 v3, s5
	s_mov_b32 s18, 0
.LBB99_34:                              ;   Parent Loop BB99_32 Depth=1
                                        ; =>  This Inner Loop Header: Depth=2
	s_delay_alu instid0(VALU_DEP_1) | instskip(SKIP_1) | instid1(VALU_DEP_2)
	v_add_co_u32 v8, vcc_lo, v2, v0
	s_wait_alu 0xfffd
	v_add_co_ci_u32_e64 v9, null, v3, v1, vcc_lo
	s_delay_alu instid0(VALU_DEP_1) | instskip(NEXT) | instid1(VALU_DEP_1)
	v_lshrrev_b32_e32 v10, 31, v9
	v_add_co_u32 v8, vcc_lo, v8, v10
	s_wait_alu 0xfffd
	v_add_co_ci_u32_e64 v9, null, 0, v9, vcc_lo
	s_delay_alu instid0(VALU_DEP_1) | instskip(NEXT) | instid1(VALU_DEP_1)
	v_ashrrev_i64 v[8:9], 1, v[8:9]
	v_lshlrev_b64_e32 v[10:11], 3, v[8:9]
	s_delay_alu instid0(VALU_DEP_1) | instskip(SKIP_1) | instid1(VALU_DEP_2)
	v_add_co_u32 v10, vcc_lo, s8, v10
	s_wait_alu 0xfffd
	v_add_co_ci_u32_e64 v11, null, s9, v11, vcc_lo
	global_load_b64 v[10:11], v[10:11], off
	s_wait_loadcnt 0x0
	v_sub_co_u32 v10, vcc_lo, v10, s6
	s_wait_alu 0xfffd
	v_subrev_co_ci_u32_e64 v11, null, 0, v11, vcc_lo
	s_delay_alu instid0(VALU_DEP_1) | instskip(SKIP_3) | instid1(VALU_DEP_2)
	v_cmp_lt_i64_e32 vcc_lo, v[6:7], v[10:11]
	s_wait_alu 0xfffd
	v_dual_cndmask_b32 v3, v3, v9 :: v_dual_cndmask_b32 v2, v2, v8
	v_dual_cndmask_b32 v1, v9, v1 :: v_dual_cndmask_b32 v0, v8, v0
	v_add_co_u32 v8, vcc_lo, v2, -1
	s_wait_alu 0xfffd
	s_delay_alu instid0(VALU_DEP_3) | instskip(NEXT) | instid1(VALU_DEP_3)
	v_add_co_ci_u32_e64 v9, null, -1, v3, vcc_lo
	v_cmp_ge_i64_e32 vcc_lo, v[0:1], v[2:3]
	s_delay_alu instid0(VALU_DEP_2)
	v_cmp_eq_u64_e64 s0, v[0:1], v[8:9]
	s_or_b32 s0, vcc_lo, s0
	s_wait_alu 0xfffe
	s_and_b32 s0, exec_lo, s0
	s_wait_alu 0xfffe
	s_or_b32 s18, s0, s18
	s_wait_alu 0xfffe
	s_and_not1_b32 exec_lo, exec_lo, s18
	s_cbranch_execnz .LBB99_34
; %bb.35:                               ;   in Loop: Header=BB99_32 Depth=1
	s_or_b32 exec_lo, exec_lo, s18
.LBB99_36:                              ;   in Loop: Header=BB99_32 Depth=1
	v_lshlrev_b64_e32 v[8:9], 3, v[2:3]
	v_lshlrev_b64_e32 v[10:11], 3, v[6:7]
	s_mov_b32 s0, exec_lo
	s_delay_alu instid0(VALU_DEP_2) | instskip(SKIP_1) | instid1(VALU_DEP_3)
	v_add_co_u32 v8, vcc_lo, s8, v8
	s_wait_alu 0xfffd
	v_add_co_ci_u32_e64 v9, null, s9, v9, vcc_lo
	s_delay_alu instid0(VALU_DEP_3)
	v_add_co_u32 v10, vcc_lo, s10, v10
	s_wait_alu 0xfffd
	v_add_co_ci_u32_e64 v11, null, s11, v11, vcc_lo
	global_load_b64 v[8:9], v[8:9], off
	global_load_b64 v[10:11], v[10:11], off
	s_wait_loadcnt 0x1
	v_sub_co_u32 v8, vcc_lo, v8, s6
	s_wait_alu 0xfffd
	v_subrev_co_ci_u32_e64 v9, null, 0, v9, vcc_lo
	s_delay_alu instid0(VALU_DEP_1)
	v_cmp_lt_i64_e32 vcc_lo, v[6:7], v[8:9]
	s_wait_alu 0xfffd
	v_dual_cndmask_b32 v3, v3, v1 :: v_dual_cndmask_b32 v2, v2, v0
	s_wait_loadcnt 0x0
	v_sub_co_u32 v0, vcc_lo, v10, s6
	s_wait_alu 0xfffd
	v_subrev_co_ci_u32_e64 v1, null, 0, v11, vcc_lo
	s_delay_alu instid0(VALU_DEP_1)
	v_cmpx_ne_u64_e64 v[0:1], v[2:3]
	s_cbranch_execz .LBB99_31
; %bb.37:                               ;   in Loop: Header=BB99_32 Depth=1
	v_lshlrev_b64_e32 v[8:9], 2, v[6:7]
	v_lshlrev_b64_e32 v[2:3], 3, v[2:3]
	;; [unrolled: 1-line block ×3, first 2 shown]
	s_mov_b32 s18, 0
	s_delay_alu instid0(VALU_DEP_3)
	v_add_co_u32 v8, vcc_lo, s12, v8
	s_wait_alu 0xfffd
	v_add_co_ci_u32_e64 v9, null, s13, v9, vcc_lo
	v_add_co_u32 v2, vcc_lo, s14, v2
	s_wait_alu 0xfffd
	v_add_co_ci_u32_e64 v3, null, s15, v3, vcc_lo
	global_load_b32 v12, v[8:9], off
	v_add_co_u32 v8, vcc_lo, s20, v0
	global_load_b64 v[10:11], v[2:3], off
	s_wait_alu 0xfffd
	v_add_co_ci_u32_e64 v9, null, s21, v1, vcc_lo
	global_load_b64 v[2:3], v[8:9], off
	s_wait_loadcnt 0x2
	v_cvt_f64_f32_e32 v[0:1], v12
	s_delay_alu instid0(VALU_DEP_1) | instskip(SKIP_1) | instid1(VALU_DEP_1)
	v_mul_f64_e32 v[0:1], v[4:5], v[0:1]
	s_wait_loadcnt 0x1
	v_mul_f64_e32 v[10:11], v[10:11], v[0:1]
.LBB99_38:                              ;   Parent Loop BB99_32 Depth=1
                                        ; =>  This Inner Loop Header: Depth=2
	s_wait_loadcnt 0x0
	s_delay_alu instid0(VALU_DEP_1)
	v_add_f64_e32 v[0:1], v[2:3], v[10:11]
	global_atomic_cmpswap_b64 v[0:1], v[8:9], v[0:3], off th:TH_ATOMIC_RETURN scope:SCOPE_DEV
	s_wait_loadcnt 0x0
	v_cmp_eq_u64_e32 vcc_lo, v[0:1], v[2:3]
	v_dual_mov_b32 v3, v1 :: v_dual_mov_b32 v2, v0
	s_wait_alu 0xfffe
	s_or_b32 s18, vcc_lo, s18
	s_wait_alu 0xfffe
	s_and_not1_b32 exec_lo, exec_lo, s18
	s_cbranch_execnz .LBB99_38
	s_branch .LBB99_31
.LBB99_39:
	s_endpgm
	.section	.rodata,"a",@progbits
	.p2align	6, 0x0
	.amdhsa_kernel _ZL33csrmvn_symm_large_adaptive_kernelIllfdddEvbT_PKS0_N9rocsparse24const_host_device_scalarIT4_EES2_PKT0_PKT1_PKT2_S6_PT3_21rocsparse_index_base_b
		.amdhsa_group_segment_fixed_size 8192
		.amdhsa_private_segment_fixed_size 0
		.amdhsa_kernarg_size 88
		.amdhsa_user_sgpr_count 2
		.amdhsa_user_sgpr_dispatch_ptr 0
		.amdhsa_user_sgpr_queue_ptr 0
		.amdhsa_user_sgpr_kernarg_segment_ptr 1
		.amdhsa_user_sgpr_dispatch_id 0
		.amdhsa_user_sgpr_private_segment_size 0
		.amdhsa_wavefront_size32 1
		.amdhsa_uses_dynamic_stack 0
		.amdhsa_enable_private_segment 0
		.amdhsa_system_sgpr_workgroup_id_x 1
		.amdhsa_system_sgpr_workgroup_id_y 0
		.amdhsa_system_sgpr_workgroup_id_z 0
		.amdhsa_system_sgpr_workgroup_info 0
		.amdhsa_system_vgpr_workitem_id 0
		.amdhsa_next_free_vgpr 18
		.amdhsa_next_free_sgpr 32
		.amdhsa_reserve_vcc 1
		.amdhsa_float_round_mode_32 0
		.amdhsa_float_round_mode_16_64 0
		.amdhsa_float_denorm_mode_32 3
		.amdhsa_float_denorm_mode_16_64 3
		.amdhsa_fp16_overflow 0
		.amdhsa_workgroup_processor_mode 1
		.amdhsa_memory_ordered 1
		.amdhsa_forward_progress 1
		.amdhsa_inst_pref_size 18
		.amdhsa_round_robin_scheduling 0
		.amdhsa_exception_fp_ieee_invalid_op 0
		.amdhsa_exception_fp_denorm_src 0
		.amdhsa_exception_fp_ieee_div_zero 0
		.amdhsa_exception_fp_ieee_overflow 0
		.amdhsa_exception_fp_ieee_underflow 0
		.amdhsa_exception_fp_ieee_inexact 0
		.amdhsa_exception_int_div_zero 0
	.end_amdhsa_kernel
	.section	.text._ZL33csrmvn_symm_large_adaptive_kernelIllfdddEvbT_PKS0_N9rocsparse24const_host_device_scalarIT4_EES2_PKT0_PKT1_PKT2_S6_PT3_21rocsparse_index_base_b,"axG",@progbits,_ZL33csrmvn_symm_large_adaptive_kernelIllfdddEvbT_PKS0_N9rocsparse24const_host_device_scalarIT4_EES2_PKT0_PKT1_PKT2_S6_PT3_21rocsparse_index_base_b,comdat
.Lfunc_end99:
	.size	_ZL33csrmvn_symm_large_adaptive_kernelIllfdddEvbT_PKS0_N9rocsparse24const_host_device_scalarIT4_EES2_PKT0_PKT1_PKT2_S6_PT3_21rocsparse_index_base_b, .Lfunc_end99-_ZL33csrmvn_symm_large_adaptive_kernelIllfdddEvbT_PKS0_N9rocsparse24const_host_device_scalarIT4_EES2_PKT0_PKT1_PKT2_S6_PT3_21rocsparse_index_base_b
                                        ; -- End function
	.set _ZL33csrmvn_symm_large_adaptive_kernelIllfdddEvbT_PKS0_N9rocsparse24const_host_device_scalarIT4_EES2_PKT0_PKT1_PKT2_S6_PT3_21rocsparse_index_base_b.num_vgpr, 18
	.set _ZL33csrmvn_symm_large_adaptive_kernelIllfdddEvbT_PKS0_N9rocsparse24const_host_device_scalarIT4_EES2_PKT0_PKT1_PKT2_S6_PT3_21rocsparse_index_base_b.num_agpr, 0
	.set _ZL33csrmvn_symm_large_adaptive_kernelIllfdddEvbT_PKS0_N9rocsparse24const_host_device_scalarIT4_EES2_PKT0_PKT1_PKT2_S6_PT3_21rocsparse_index_base_b.numbered_sgpr, 32
	.set _ZL33csrmvn_symm_large_adaptive_kernelIllfdddEvbT_PKS0_N9rocsparse24const_host_device_scalarIT4_EES2_PKT0_PKT1_PKT2_S6_PT3_21rocsparse_index_base_b.num_named_barrier, 0
	.set _ZL33csrmvn_symm_large_adaptive_kernelIllfdddEvbT_PKS0_N9rocsparse24const_host_device_scalarIT4_EES2_PKT0_PKT1_PKT2_S6_PT3_21rocsparse_index_base_b.private_seg_size, 0
	.set _ZL33csrmvn_symm_large_adaptive_kernelIllfdddEvbT_PKS0_N9rocsparse24const_host_device_scalarIT4_EES2_PKT0_PKT1_PKT2_S6_PT3_21rocsparse_index_base_b.uses_vcc, 1
	.set _ZL33csrmvn_symm_large_adaptive_kernelIllfdddEvbT_PKS0_N9rocsparse24const_host_device_scalarIT4_EES2_PKT0_PKT1_PKT2_S6_PT3_21rocsparse_index_base_b.uses_flat_scratch, 0
	.set _ZL33csrmvn_symm_large_adaptive_kernelIllfdddEvbT_PKS0_N9rocsparse24const_host_device_scalarIT4_EES2_PKT0_PKT1_PKT2_S6_PT3_21rocsparse_index_base_b.has_dyn_sized_stack, 0
	.set _ZL33csrmvn_symm_large_adaptive_kernelIllfdddEvbT_PKS0_N9rocsparse24const_host_device_scalarIT4_EES2_PKT0_PKT1_PKT2_S6_PT3_21rocsparse_index_base_b.has_recursion, 0
	.set _ZL33csrmvn_symm_large_adaptive_kernelIllfdddEvbT_PKS0_N9rocsparse24const_host_device_scalarIT4_EES2_PKT0_PKT1_PKT2_S6_PT3_21rocsparse_index_base_b.has_indirect_call, 0
	.section	.AMDGPU.csdata,"",@progbits
; Kernel info:
; codeLenInByte = 2292
; TotalNumSgprs: 34
; NumVgprs: 18
; ScratchSize: 0
; MemoryBound: 0
; FloatMode: 240
; IeeeMode: 1
; LDSByteSize: 8192 bytes/workgroup (compile time only)
; SGPRBlocks: 0
; VGPRBlocks: 2
; NumSGPRsForWavesPerEU: 34
; NumVGPRsForWavesPerEU: 18
; Occupancy: 16
; WaveLimiterHint : 1
; COMPUTE_PGM_RSRC2:SCRATCH_EN: 0
; COMPUTE_PGM_RSRC2:USER_SGPR: 2
; COMPUTE_PGM_RSRC2:TRAP_HANDLER: 0
; COMPUTE_PGM_RSRC2:TGID_X_EN: 1
; COMPUTE_PGM_RSRC2:TGID_Y_EN: 0
; COMPUTE_PGM_RSRC2:TGID_Z_EN: 0
; COMPUTE_PGM_RSRC2:TIDIG_COMP_CNT: 0
	.section	.text._ZN9rocsparseL22csrmvn_adaptive_kernelIiid21rocsparse_complex_numIdES2_S2_EEvbT_PKS3_PjPKT0_NS_24const_host_device_scalarIT4_EES5_S9_PKT1_PKT2_SC_PT3_21rocsparse_index_base_b,"axG",@progbits,_ZN9rocsparseL22csrmvn_adaptive_kernelIiid21rocsparse_complex_numIdES2_S2_EEvbT_PKS3_PjPKT0_NS_24const_host_device_scalarIT4_EES5_S9_PKT1_PKT2_SC_PT3_21rocsparse_index_base_b,comdat
	.globl	_ZN9rocsparseL22csrmvn_adaptive_kernelIiid21rocsparse_complex_numIdES2_S2_EEvbT_PKS3_PjPKT0_NS_24const_host_device_scalarIT4_EES5_S9_PKT1_PKT2_SC_PT3_21rocsparse_index_base_b ; -- Begin function _ZN9rocsparseL22csrmvn_adaptive_kernelIiid21rocsparse_complex_numIdES2_S2_EEvbT_PKS3_PjPKT0_NS_24const_host_device_scalarIT4_EES5_S9_PKT1_PKT2_SC_PT3_21rocsparse_index_base_b
	.p2align	8
	.type	_ZN9rocsparseL22csrmvn_adaptive_kernelIiid21rocsparse_complex_numIdES2_S2_EEvbT_PKS3_PjPKT0_NS_24const_host_device_scalarIT4_EES5_S9_PKT1_PKT2_SC_PT3_21rocsparse_index_base_b,@function
_ZN9rocsparseL22csrmvn_adaptive_kernelIiid21rocsparse_complex_numIdES2_S2_EEvbT_PKS3_PjPKT0_NS_24const_host_device_scalarIT4_EES5_S9_PKT1_PKT2_SC_PT3_21rocsparse_index_base_b: ; @_ZN9rocsparseL22csrmvn_adaptive_kernelIiid21rocsparse_complex_numIdES2_S2_EEvbT_PKS3_PjPKT0_NS_24const_host_device_scalarIT4_EES5_S9_PKT1_PKT2_SC_PT3_21rocsparse_index_base_b
; %bb.0:
	s_clause 0x1
	s_load_b64 s[26:27], s[0:1], 0x68
	s_load_b64 s[2:3], s[0:1], 0x20
	s_add_nc_u64 s[4:5], s[0:1], 32
	s_load_b64 s[6:7], s[0:1], 0x50
	s_wait_kmcnt 0x0
	s_bitcmp1_b32 s27, 0
	s_cselect_b32 s2, s4, s2
	s_cselect_b32 s3, s5, s3
	s_delay_alu instid0(SALU_CYCLE_1)
	v_dual_mov_b32 v1, s2 :: v_dual_mov_b32 v2, s3
	s_add_nc_u64 s[2:3], s[0:1], 0x50
	s_wait_alu 0xfffe
	s_cselect_b32 s2, s2, s6
	s_cselect_b32 s3, s3, s7
	flat_load_b128 v[5:8], v[1:2]
	s_wait_alu 0xfffe
	v_dual_mov_b32 v1, s2 :: v_dual_mov_b32 v2, s3
	flat_load_b128 v[1:4], v[1:2]
	s_wait_loadcnt_dscnt 0x101
	v_cmp_eq_f64_e32 vcc_lo, 0, v[5:6]
	v_cmp_eq_f64_e64 s2, 0, v[7:8]
	s_and_b32 s4, vcc_lo, s2
	s_mov_b32 s2, -1
	s_and_saveexec_b32 s3, s4
	s_cbranch_execz .LBB100_2
; %bb.1:
	s_wait_loadcnt_dscnt 0x0
	v_cmp_neq_f64_e32 vcc_lo, 1.0, v[1:2]
	v_cmp_neq_f64_e64 s2, 0, v[3:4]
	s_wait_alu 0xfffe
	s_or_b32 s2, vcc_lo, s2
	s_wait_alu 0xfffe
	s_or_not1_b32 s2, s2, exec_lo
.LBB100_2:
	s_wait_alu 0xfffe
	s_or_b32 exec_lo, exec_lo, s3
	s_and_saveexec_b32 s3, s2
	s_cbranch_execz .LBB100_116
; %bb.3:
	s_clause 0x2
	s_load_b64 s[2:3], s[0:1], 0x8
	s_load_b64 s[4:5], s[0:1], 0x18
	;; [unrolled: 1-line block ×3, first 2 shown]
	s_mov_b32 s30, ttmp9
	s_ashr_i32 s31, ttmp9, 31
	s_delay_alu instid0(SALU_CYCLE_1)
	s_lshl_b64 s[34:35], s[30:31], 2
	s_wait_kmcnt 0x0
	s_add_nc_u64 s[2:3], s[2:3], s[34:35]
	s_add_nc_u64 s[4:5], s[4:5], s[34:35]
	s_load_b64 s[22:23], s[2:3], 0x0
	s_load_b256 s[12:19], s[0:1], 0x30
	s_wait_kmcnt 0x0
	s_ashr_i32 s29, s22, 31
	s_mov_b32 s28, s22
	s_delay_alu instid0(SALU_CYCLE_1)
	s_lshl_b64 s[2:3], s[28:29], 2
	s_wait_alu 0xfffe
	s_add_nc_u64 s[24:25], s[12:13], s[2:3]
	s_load_b32 s11, s[4:5], 0x0
	s_load_b32 s27, s[24:25], 0x0
	s_sub_co_i32 s3, s23, s22
	s_mov_b32 s2, -1
	s_wait_alu 0xfffe
	s_cmp_lt_i32 s3, 2
	s_cbranch_scc0 .LBB100_72
; %bb.4:
	s_cmp_lg_u32 s3, 1
	v_cmp_gt_u32_e64 s2, 0x80, v0
	s_cselect_b32 s4, -1, 0
	s_wait_kmcnt 0x0
	s_cmp_lg_u32 s11, 0
	v_cmp_gt_u32_e64 s3, 64, v0
	s_cselect_b32 s5, -1, 0
	v_cmp_gt_u32_e64 s6, 8, v0
	s_or_b32 s5, s4, s5
	v_cmp_gt_u32_e64 s4, 32, v0
	s_and_b32 vcc_lo, exec_lo, s5
	v_cmp_gt_u32_e64 s5, 16, v0
	v_cmp_gt_u32_e64 s7, 4, v0
	;; [unrolled: 1-line block ×3, first 2 shown]
	v_cmp_eq_u32_e64 s9, 0, v0
	s_mov_b32 s10, -1
	s_cbranch_vccnz .LBB100_32
; %bb.5:
	s_wait_loadcnt_dscnt 0x0
	v_cmp_neq_f64_e32 vcc_lo, 0, v[1:2]
	v_cmp_neq_f64_e64 s10, 0, v[3:4]
	v_mul_f64_e32 v[13:14], 0x80000000, v[7:8]
	v_mul_f64_e32 v[15:16], 0, v[5:6]
	v_subrev_nc_u32_e32 v22, s26, v0
	v_dual_mov_b32 v24, 0 :: v_dual_lshlrev_b32 v23, 4, v0
	s_mov_b32 s36, s22
	s_or_b32 s31, vcc_lo, s10
	s_branch .LBB100_8
.LBB100_6:                              ;   in Loop: Header=BB100_8 Depth=1
	s_or_b32 exec_lo, exec_lo, s33
	s_lshl_b64 s[38:39], s[36:37], 4
	s_wait_alu 0xfffe
	s_add_nc_u64 s[38:39], s[20:21], s[38:39]
	s_wait_dscnt 0x0
	global_store_b128 v24, v[9:12], s[38:39]
.LBB100_7:                              ;   in Loop: Header=BB100_8 Depth=1
	s_wait_alu 0xfffe
	s_or_b32 exec_lo, exec_lo, s10
	s_add_co_i32 s36, s36, 1
	s_delay_alu instid0(SALU_CYCLE_1)
	s_cmp_ge_i32 s36, s23
	s_cbranch_scc1 .LBB100_31
.LBB100_8:                              ; =>This Loop Header: Depth=1
                                        ;     Child Loop BB100_10 Depth 2
	s_ashr_i32 s37, s36, 31
	v_mov_b32_e32 v11, 0
	s_lshl_b64 s[38:39], s[36:37], 2
	v_mov_b32_e32 v9, 0
	s_wait_alu 0xfffe
	s_add_nc_u64 s[38:39], s[12:13], s[38:39]
	v_mov_b32_e32 v10, 0
	s_load_b64 s[38:39], s[38:39], 0x0
	s_mov_b32 s33, exec_lo
	s_wait_kmcnt 0x0
	v_dual_mov_b32 v12, 0 :: v_dual_add_nc_u32 v17, s38, v22
	s_sub_co_i32 s38, s39, s26
	s_wait_alu 0xfffe
	s_delay_alu instid0(VALU_DEP_1)
	v_cmpx_gt_i32_e64 s38, v17
	s_cbranch_execz .LBB100_12
; %bb.9:                                ;   in Loop: Header=BB100_8 Depth=1
	v_ashrrev_i32_e32 v18, 31, v17
	v_mov_b32_e32 v11, 0
	v_mov_b32_e32 v12, 0
	s_mov_b32 s39, 0
	s_delay_alu instid0(VALU_DEP_3) | instskip(SKIP_1) | instid1(VALU_DEP_2)
	v_lshlrev_b64_e32 v[9:10], 3, v[17:18]
	v_lshlrev_b64_e32 v[20:21], 2, v[17:18]
	v_add_co_u32 v18, vcc_lo, s16, v9
	s_wait_alu 0xfffd
	s_delay_alu instid0(VALU_DEP_3) | instskip(NEXT) | instid1(VALU_DEP_3)
	v_add_co_ci_u32_e64 v19, null, s17, v10, vcc_lo
	v_add_co_u32 v20, vcc_lo, s14, v20
	s_wait_alu 0xfffd
	v_add_co_ci_u32_e64 v21, null, s15, v21, vcc_lo
	v_dual_mov_b32 v9, v11 :: v_dual_mov_b32 v10, v12
.LBB100_10:                             ;   Parent Loop BB100_8 Depth=1
                                        ; =>  This Inner Loop Header: Depth=2
	global_load_b32 v25, v[20:21], off
	global_load_b64 v[29:30], v[18:19], off
	v_add_nc_u32_e32 v17, 0x100, v17
	v_add_co_u32 v20, s10, 0x400, v20
	s_wait_alu 0xf1ff
	v_add_co_ci_u32_e64 v21, null, 0, v21, s10
	s_wait_loadcnt 0x1
	v_subrev_nc_u32_e32 v25, s26, v25
	s_wait_loadcnt 0x0
	v_fma_f64 v[31:32], v[5:6], v[29:30], v[13:14]
	v_fma_f64 v[29:30], v[7:8], v[29:30], v[15:16]
	s_delay_alu instid0(VALU_DEP_3) | instskip(NEXT) | instid1(VALU_DEP_1)
	v_ashrrev_i32_e32 v26, 31, v25
	v_lshlrev_b64_e32 v[25:26], 4, v[25:26]
	s_delay_alu instid0(VALU_DEP_1) | instskip(SKIP_1) | instid1(VALU_DEP_2)
	v_add_co_u32 v25, vcc_lo, s18, v25
	s_wait_alu 0xfffd
	v_add_co_ci_u32_e64 v26, null, s19, v26, vcc_lo
	v_add_co_u32 v18, vcc_lo, 0x800, v18
	s_wait_alu 0xfffd
	v_add_co_ci_u32_e64 v19, null, 0, v19, vcc_lo
	global_load_b128 v[25:28], v[25:26], off
	v_cmp_le_i32_e32 vcc_lo, s38, v17
	s_wait_alu 0xfffe
	s_or_b32 s39, vcc_lo, s39
	s_wait_loadcnt 0x0
	v_fma_f64 v[9:10], v[31:32], v[25:26], v[9:10]
	v_fma_f64 v[11:12], v[29:30], v[25:26], v[11:12]
	s_delay_alu instid0(VALU_DEP_2) | instskip(NEXT) | instid1(VALU_DEP_2)
	v_fma_f64 v[9:10], -v[29:30], v[27:28], v[9:10]
	v_fma_f64 v[11:12], v[31:32], v[27:28], v[11:12]
	s_wait_alu 0xfffe
	s_and_not1_b32 exec_lo, exec_lo, s39
	s_cbranch_execnz .LBB100_10
; %bb.11:                               ;   in Loop: Header=BB100_8 Depth=1
	s_or_b32 exec_lo, exec_lo, s39
.LBB100_12:                             ;   in Loop: Header=BB100_8 Depth=1
	s_delay_alu instid0(SALU_CYCLE_1)
	s_or_b32 exec_lo, exec_lo, s33
	ds_store_b128 v23, v[9:12]
	s_wait_dscnt 0x0
	s_barrier_signal -1
	s_barrier_wait -1
	global_inv scope:SCOPE_SE
	s_and_saveexec_b32 s10, s2
	s_cbranch_execz .LBB100_14
; %bb.13:                               ;   in Loop: Header=BB100_8 Depth=1
	ds_load_b128 v[9:12], v23 offset:2048
	ds_load_b128 v[17:20], v23
	s_wait_dscnt 0x0
	v_add_f64_e32 v[9:10], v[9:10], v[17:18]
	v_add_f64_e32 v[11:12], v[11:12], v[19:20]
	ds_store_b128 v23, v[9:12]
.LBB100_14:                             ;   in Loop: Header=BB100_8 Depth=1
	s_wait_alu 0xfffe
	s_or_b32 exec_lo, exec_lo, s10
	s_wait_loadcnt_dscnt 0x0
	s_barrier_signal -1
	s_barrier_wait -1
	global_inv scope:SCOPE_SE
	s_and_saveexec_b32 s10, s3
	s_cbranch_execz .LBB100_16
; %bb.15:                               ;   in Loop: Header=BB100_8 Depth=1
	ds_load_b128 v[9:12], v23 offset:1024
	ds_load_b128 v[17:20], v23
	s_wait_dscnt 0x0
	v_add_f64_e32 v[9:10], v[9:10], v[17:18]
	v_add_f64_e32 v[11:12], v[11:12], v[19:20]
	ds_store_b128 v23, v[9:12]
.LBB100_16:                             ;   in Loop: Header=BB100_8 Depth=1
	s_wait_alu 0xfffe
	s_or_b32 exec_lo, exec_lo, s10
	s_wait_loadcnt_dscnt 0x0
	;; [unrolled: 16-line block ×6, first 2 shown]
	s_barrier_signal -1
	s_barrier_wait -1
	global_inv scope:SCOPE_SE
	s_and_saveexec_b32 s10, s8
	s_cbranch_execz .LBB100_26
; %bb.25:                               ;   in Loop: Header=BB100_8 Depth=1
	ds_load_b128 v[9:12], v23
	ds_load_b128 v[17:20], v23 offset:32
	s_wait_dscnt 0x0
	v_add_f64_e32 v[9:10], v[17:18], v[9:10]
	v_add_f64_e32 v[11:12], v[19:20], v[11:12]
	ds_store_b128 v23, v[9:12]
.LBB100_26:                             ;   in Loop: Header=BB100_8 Depth=1
	s_wait_alu 0xfffe
	s_or_b32 exec_lo, exec_lo, s10
	s_wait_loadcnt_dscnt 0x0
	s_barrier_signal -1
	s_barrier_wait -1
	global_inv scope:SCOPE_SE
	s_and_saveexec_b32 s10, s9
	s_cbranch_execz .LBB100_28
; %bb.27:                               ;   in Loop: Header=BB100_8 Depth=1
	ds_load_b128 v[9:12], v24
	ds_load_b128 v[17:20], v24 offset:16
	s_wait_dscnt 0x0
	v_add_f64_e32 v[9:10], v[17:18], v[9:10]
	v_add_f64_e32 v[11:12], v[19:20], v[11:12]
	ds_store_b128 v24, v[9:12]
.LBB100_28:                             ;   in Loop: Header=BB100_8 Depth=1
	s_wait_alu 0xfffe
	s_or_b32 exec_lo, exec_lo, s10
	s_wait_loadcnt_dscnt 0x0
	s_barrier_signal -1
	s_barrier_wait -1
	global_inv scope:SCOPE_SE
	s_and_saveexec_b32 s10, s9
	s_cbranch_execz .LBB100_7
; %bb.29:                               ;   in Loop: Header=BB100_8 Depth=1
	ds_load_b128 v[9:12], v24
	s_and_saveexec_b32 s33, s31
	s_cbranch_execz .LBB100_6
; %bb.30:                               ;   in Loop: Header=BB100_8 Depth=1
	s_lshl_b64 s[38:39], s[36:37], 4
	s_wait_alu 0xfffe
	s_add_nc_u64 s[38:39], s[20:21], s[38:39]
	global_load_b128 v[17:20], v24, s[38:39]
	s_wait_loadcnt_dscnt 0x0
	v_fma_f64 v[9:10], v[1:2], v[17:18], v[9:10]
	v_fma_f64 v[11:12], v[3:4], v[17:18], v[11:12]
	s_delay_alu instid0(VALU_DEP_2) | instskip(NEXT) | instid1(VALU_DEP_2)
	v_fma_f64 v[9:10], -v[3:4], v[19:20], v[9:10]
	v_fma_f64 v[11:12], v[1:2], v[19:20], v[11:12]
	s_branch .LBB100_6
.LBB100_31:
	s_mov_b32 s10, 0
.LBB100_32:
	s_wait_alu 0xfffe
	s_and_b32 vcc_lo, exec_lo, s10
	s_wait_alu 0xfffe
	s_cbranch_vccz .LBB100_71
; %bb.33:
	s_load_b64 s[6:7], s[0:1], 0x10
	v_mov_b32_e32 v13, 0
	v_mov_b32_e32 v9, 0
	v_dual_mov_b32 v10, 0 :: v_dual_mov_b32 v11, 0
	v_or_b32_e32 v14, s11, v0
	v_mov_b32_e32 v12, 0
	s_sub_co_i32 s8, s30, s11
	s_mov_b32 s2, exec_lo
	s_wait_kmcnt 0x0
	s_add_nc_u64 s[4:5], s[6:7], s[34:35]
	global_load_b32 v23, v13, s[4:5]
	v_cmpx_eq_u32_e32 0, v14
	s_cbranch_execz .LBB100_37
; %bb.34:
	s_lshl_b64 s[30:31], s[28:29], 4
	s_wait_loadcnt_dscnt 0x100
	v_add_f64_e32 v[9:10], -1.0, v[1:2]
	s_add_nc_u64 s[30:31], s[20:21], s[30:31]
	s_mov_b32 s3, exec_lo
	global_load_b128 v[11:14], v13, s[30:31]
	s_wait_alu 0xfffe
	v_mbcnt_lo_u32_b32 v17, s3, 0
	s_mov_b32 s10, exec_lo
	s_wait_loadcnt 0x0
	s_wait_storecnt 0x0
	global_inv scope:SCOPE_DEV
	v_mul_f64_e64 v[15:16], v[13:14], -v[3:4]
	v_mul_f64_e32 v[13:14], v[9:10], v[13:14]
	v_cmpx_eq_u32_e32 0, v17
	s_cbranch_execz .LBB100_36
; %bb.35:
	s_bcnt1_i32_b32 s3, s3
	s_ashr_i32 s9, s8, 31
	s_wait_alu 0xfffe
	s_and_b32 s3, s3, 1
	s_wait_alu 0xfffe
	v_dual_mov_b32 v17, 0 :: v_dual_mov_b32 v18, s3
	s_lshl_b64 s[30:31], s[8:9], 2
	s_delay_alu instid0(SALU_CYCLE_1)
	s_add_nc_u64 s[30:31], s[6:7], s[30:31]
	global_atomic_xor_b32 v17, v18, s[30:31] scope:SCOPE_DEV
.LBB100_36:
	s_wait_alu 0xfffe
	s_or_b32 exec_lo, exec_lo, s10
	s_delay_alu instid0(VALU_DEP_3) | instskip(NEXT) | instid1(VALU_DEP_3)
	v_fma_f64 v[9:10], v[9:10], v[11:12], v[15:16]
	v_fma_f64 v[11:12], v[3:4], v[11:12], v[13:14]
.LBB100_37:
	s_wait_alu 0xfffe
	s_or_b32 exec_lo, exec_lo, s2
	s_load_b32 s2, s[24:25], 0x4
	s_mul_i32 s3, s11, 0xc00
	s_sub_co_i32 s9, s27, s26
	s_wait_alu 0xfffe
	s_add_co_i32 s9, s9, s3
	s_mov_b32 s3, exec_lo
	v_add_nc_u32_e32 v13, s9, v0
	s_wait_kmcnt 0x0
	s_sub_co_i32 s2, s2, s26
	s_wait_alu 0xfffe
	s_delay_alu instid0(VALU_DEP_1)
	v_cmpx_gt_i32_e64 s2, v13
	s_cbranch_execz .LBB100_41
; %bb.38:
	v_mul_f64_e32 v[15:16], 0x80000000, v[7:8]
	v_mul_f64_e32 v[17:18], 0, v[5:6]
	v_ashrrev_i32_e32 v14, 31, v13
	s_addk_co_i32 s9, 0xc00
	s_mov_b32 s10, 0
	s_wait_alu 0xfffe
	s_min_i32 s9, s9, s2
	v_lshlrev_b64_e32 v[19:20], 3, v[13:14]
	v_lshlrev_b64_e32 v[21:22], 2, v[13:14]
	s_delay_alu instid0(VALU_DEP_2) | instskip(SKIP_1) | instid1(VALU_DEP_3)
	v_add_co_u32 v19, vcc_lo, s16, v19
	s_wait_alu 0xfffd
	v_add_co_ci_u32_e64 v20, null, s17, v20, vcc_lo
	s_delay_alu instid0(VALU_DEP_3)
	v_add_co_u32 v21, vcc_lo, s14, v21
	s_wait_alu 0xfffd
	v_add_co_ci_u32_e64 v22, null, s15, v22, vcc_lo
.LBB100_39:                             ; =>This Inner Loop Header: Depth=1
	global_load_b32 v14, v[21:22], off
	global_load_b64 v[28:29], v[19:20], off
	v_add_nc_u32_e32 v13, 0x100, v13
	v_add_co_u32 v21, s2, 0x400, v21
	s_wait_alu 0xf1ff
	v_add_co_ci_u32_e64 v22, null, 0, v22, s2
	s_wait_loadcnt 0x1
	v_subrev_nc_u32_e32 v24, s26, v14
	s_wait_loadcnt 0x0
	v_fma_f64 v[30:31], v[5:6], v[28:29], v[15:16]
	v_fma_f64 v[28:29], v[7:8], v[28:29], v[17:18]
	s_delay_alu instid0(VALU_DEP_3) | instskip(NEXT) | instid1(VALU_DEP_1)
	v_ashrrev_i32_e32 v25, 31, v24
	v_lshlrev_b64_e32 v[24:25], 4, v[24:25]
	s_delay_alu instid0(VALU_DEP_1) | instskip(SKIP_1) | instid1(VALU_DEP_2)
	v_add_co_u32 v24, vcc_lo, s18, v24
	s_wait_alu 0xfffd
	v_add_co_ci_u32_e64 v25, null, s19, v25, vcc_lo
	v_add_co_u32 v19, vcc_lo, 0x800, v19
	s_wait_alu 0xfffd
	v_add_co_ci_u32_e64 v20, null, 0, v20, vcc_lo
	global_load_b128 v[24:27], v[24:25], off
	s_wait_alu 0xfffe
	v_cmp_le_i32_e32 vcc_lo, s9, v13
	s_or_b32 s10, vcc_lo, s10
	s_wait_loadcnt 0x0
	v_fma_f64 v[9:10], v[30:31], v[24:25], v[9:10]
	v_fma_f64 v[11:12], v[28:29], v[24:25], v[11:12]
	s_delay_alu instid0(VALU_DEP_2) | instskip(NEXT) | instid1(VALU_DEP_2)
	v_fma_f64 v[9:10], -v[28:29], v[26:27], v[9:10]
	v_fma_f64 v[11:12], v[30:31], v[26:27], v[11:12]
	s_wait_alu 0xfffe
	s_and_not1_b32 exec_lo, exec_lo, s10
	s_cbranch_execnz .LBB100_39
; %bb.40:
	s_or_b32 exec_lo, exec_lo, s10
.LBB100_41:
	s_delay_alu instid0(SALU_CYCLE_1)
	s_or_b32 exec_lo, exec_lo, s3
	v_lshlrev_b32_e32 v13, 4, v0
	s_mov_b32 s2, exec_lo
	ds_store_b128 v13, v[9:12]
	s_wait_storecnt 0x0
	s_wait_loadcnt_dscnt 0x0
	s_barrier_signal -1
	s_barrier_wait -1
	global_inv scope:SCOPE_SE
	v_cmpx_gt_u32_e32 0x80, v0
	s_cbranch_execz .LBB100_43
; %bb.42:
	ds_load_b128 v[9:12], v13 offset:2048
	ds_load_b128 v[14:17], v13
	s_wait_dscnt 0x0
	v_add_f64_e32 v[9:10], v[9:10], v[14:15]
	v_add_f64_e32 v[11:12], v[11:12], v[16:17]
	ds_store_b128 v13, v[9:12]
.LBB100_43:
	s_wait_alu 0xfffe
	s_or_b32 exec_lo, exec_lo, s2
	s_delay_alu instid0(SALU_CYCLE_1)
	s_mov_b32 s2, exec_lo
	s_wait_loadcnt_dscnt 0x0
	s_barrier_signal -1
	s_barrier_wait -1
	global_inv scope:SCOPE_SE
	v_cmpx_gt_u32_e32 64, v0
	s_cbranch_execz .LBB100_45
; %bb.44:
	ds_load_b128 v[9:12], v13 offset:1024
	ds_load_b128 v[14:17], v13
	s_wait_dscnt 0x0
	v_add_f64_e32 v[9:10], v[9:10], v[14:15]
	v_add_f64_e32 v[11:12], v[11:12], v[16:17]
	ds_store_b128 v13, v[9:12]
.LBB100_45:
	s_wait_alu 0xfffe
	s_or_b32 exec_lo, exec_lo, s2
	s_delay_alu instid0(SALU_CYCLE_1)
	s_mov_b32 s2, exec_lo
	;; [unrolled: 18-line block ×6, first 2 shown]
	s_wait_loadcnt_dscnt 0x0
	s_barrier_signal -1
	s_barrier_wait -1
	global_inv scope:SCOPE_SE
	v_cmpx_gt_u32_e32 2, v0
	s_cbranch_execz .LBB100_55
; %bb.54:
	ds_load_b128 v[9:12], v13
	ds_load_b128 v[14:17], v13 offset:32
	s_wait_dscnt 0x0
	v_add_f64_e32 v[9:10], v[14:15], v[9:10]
	v_add_f64_e32 v[11:12], v[16:17], v[11:12]
	ds_store_b128 v13, v[9:12]
.LBB100_55:
	s_wait_alu 0xfffe
	s_or_b32 exec_lo, exec_lo, s2
	v_cmp_eq_u32_e32 vcc_lo, 0, v0
	s_wait_loadcnt_dscnt 0x0
	s_barrier_signal -1
	s_barrier_wait -1
	global_inv scope:SCOPE_SE
	s_and_saveexec_b32 s2, vcc_lo
	s_cbranch_execz .LBB100_57
; %bb.56:
	v_mov_b32_e32 v17, 0
	ds_load_b128 v[9:12], v17
	ds_load_b128 v[13:16], v17 offset:16
	s_wait_dscnt 0x0
	v_add_f64_e32 v[9:10], v[13:14], v[9:10]
	v_add_f64_e32 v[11:12], v[15:16], v[11:12]
	ds_store_b128 v17, v[9:12]
.LBB100_57:
	s_wait_alu 0xfffe
	s_or_b32 exec_lo, exec_lo, s2
	s_wait_loadcnt_dscnt 0x0
	s_barrier_signal -1
	s_barrier_wait -1
	global_inv scope:SCOPE_SE
	s_and_saveexec_b32 s10, vcc_lo
	s_cbranch_execz .LBB100_70
; %bb.58:
	s_cmp_eq_u32 s11, 0
	s_cbranch_scc1 .LBB100_64
; %bb.59:
	s_ashr_i32 s9, s8, 31
	v_mov_b32_e32 v9, 0
	s_wait_alu 0xfffe
	s_lshl_b64 s[2:3], s[8:9], 2
	s_wait_alu 0xfffe
	s_add_nc_u64 s[2:3], s[6:7], s[2:3]
	s_branch .LBB100_61
.LBB100_60:                             ;   in Loop: Header=BB100_61 Depth=1
	s_wait_alu 0xfffe
	s_or_b32 exec_lo, exec_lo, s6
	s_wait_loadcnt 0x0
	v_readfirstlane_b32 s6, v10
	s_wait_alu 0xf1ff
	s_delay_alu instid0(VALU_DEP_1)
	v_cmp_eq_u32_e32 vcc_lo, s6, v23
	s_cbranch_vccz .LBB100_63
.LBB100_61:                             ; =>This Inner Loop Header: Depth=1
	v_mbcnt_lo_u32_b32 v10, exec_lo, 0
	s_delay_alu instid0(VALU_DEP_1)
	v_cmp_eq_u32_e32 vcc_lo, 0, v10
                                        ; implicit-def: $vgpr10
	s_and_saveexec_b32 s6, vcc_lo
	s_cbranch_execz .LBB100_60
; %bb.62:                               ;   in Loop: Header=BB100_61 Depth=1
	global_load_b32 v10, v9, s[2:3] scope:SCOPE_DEV
	s_branch .LBB100_60
.LBB100_63:
	v_mov_b32_e32 v9, 0
	global_load_u16 v10, v9, s[4:5]
	s_wait_loadcnt 0x0
	v_xor_b32_e32 v10, 1, v10
	global_store_b16 v9, v10, s[4:5]
.LBB100_64:
	v_mov_b32_e32 v17, 0
	s_mov_b32 s5, exec_lo
	s_lshl_b64 s[2:3], s[28:29], 4
	v_mbcnt_lo_u32_b32 v13, s5, 0
	s_wait_alu 0xfffe
	s_add_nc_u64 s[2:3], s[20:21], s[2:3]
	ds_load_b128 v[9:12], v17
	s_mov_b32 s4, exec_lo
	v_cmpx_eq_u32_e32 0, v13
	s_cbranch_execz .LBB100_67
; %bb.65:
	global_load_b64 v[15:16], v17, s[2:3]
	s_bcnt1_i32_b32 s5, s5
	s_wait_alu 0xfffe
	v_cvt_f64_u32_e32 v[13:14], s5
	s_mov_b32 s5, 0
	s_wait_dscnt 0x0
	s_delay_alu instid0(VALU_DEP_1)
	v_mul_f64_e32 v[9:10], v[9:10], v[13:14]
.LBB100_66:                             ; =>This Inner Loop Header: Depth=1
	s_wait_loadcnt 0x0
	s_delay_alu instid0(VALU_DEP_1)
	v_add_f64_e32 v[13:14], v[15:16], v[9:10]
	global_atomic_cmpswap_b64 v[13:14], v17, v[13:16], s[2:3] th:TH_ATOMIC_RETURN scope:SCOPE_DEV
	s_wait_loadcnt 0x0
	v_cmp_eq_u64_e32 vcc_lo, v[13:14], v[15:16]
	v_dual_mov_b32 v16, v14 :: v_dual_mov_b32 v15, v13
	s_wait_alu 0xfffe
	s_or_b32 s5, vcc_lo, s5
	s_wait_alu 0xfffe
	s_and_not1_b32 exec_lo, exec_lo, s5
	s_cbranch_execnz .LBB100_66
.LBB100_67:
	s_wait_alu 0xfffe
	s_or_b32 exec_lo, exec_lo, s4
	s_delay_alu instid0(SALU_CYCLE_1) | instskip(SKIP_4) | instid1(VALU_DEP_1)
	s_mov_b32 s5, exec_lo
	s_mov_b32 s4, 0
	s_wait_dscnt 0x0
	s_wait_alu 0xfffe
	v_mbcnt_lo_u32_b32 v9, s5, 0
	v_cmp_eq_u32_e32 vcc_lo, 0, v9
	s_and_b32 s6, exec_lo, vcc_lo
	s_wait_alu 0xfffe
	s_mov_b32 exec_lo, s6
	s_cbranch_execz .LBB100_70
; %bb.68:
	v_mov_b32_e32 v15, 0
	s_bcnt1_i32_b32 s5, s5
	s_wait_alu 0xfffe
	v_cvt_f64_u32_e32 v[9:10], s5
	global_load_b64 v[13:14], v15, s[2:3] offset:8
	v_mul_f64_e32 v[9:10], v[11:12], v[9:10]
.LBB100_69:                             ; =>This Inner Loop Header: Depth=1
	s_wait_loadcnt 0x0
	s_delay_alu instid0(VALU_DEP_1)
	v_add_f64_e32 v[11:12], v[13:14], v[9:10]
	global_atomic_cmpswap_b64 v[11:12], v15, v[11:14], s[2:3] offset:8 th:TH_ATOMIC_RETURN scope:SCOPE_DEV
	s_wait_loadcnt 0x0
	v_cmp_eq_u64_e32 vcc_lo, v[11:12], v[13:14]
	v_dual_mov_b32 v14, v12 :: v_dual_mov_b32 v13, v11
	s_or_b32 s4, vcc_lo, s4
	s_wait_alu 0xfffe
	s_and_not1_b32 exec_lo, exec_lo, s4
	s_cbranch_execnz .LBB100_69
.LBB100_70:
	s_wait_alu 0xfffe
	s_or_b32 exec_lo, exec_lo, s10
.LBB100_71:
	s_mov_b32 s2, 0
.LBB100_72:
	s_wait_alu 0xfffe
	s_and_not1_b32 vcc_lo, exec_lo, s2
	s_wait_alu 0xfffe
	s_cbranch_vccnz .LBB100_116
; %bb.73:
	s_load_b32 s0, s[0:1], 0x4
	v_subrev_nc_u32_e32 v9, s26, v0
	s_wait_kmcnt 0x0
	s_delay_alu instid0(VALU_DEP_1) | instskip(NEXT) | instid1(VALU_DEP_1)
	v_add_nc_u32_e32 v9, s27, v9
	v_add_nc_u32_e32 v10, 0x300, v9
	s_delay_alu instid0(VALU_DEP_1)
	v_cmp_le_i32_e32 vcc_lo, s0, v10
	s_and_saveexec_b32 s0, vcc_lo
	s_wait_alu 0xfffe
	s_xor_b32 s0, exec_lo, s0
	s_cbranch_execz .LBB100_78
; %bb.74:
	s_ashr_i32 s3, s23, 31
	s_mov_b32 s2, s23
	s_wait_alu 0xfffe
	s_lshl_b64 s[2:3], s[2:3], 2
	s_wait_alu 0xfffe
	s_add_nc_u64 s[2:3], s[12:13], s[2:3]
	s_load_b32 s1, s[2:3], 0x0
	s_mov_b32 s2, exec_lo
	s_wait_kmcnt 0x0
	s_sub_co_i32 s1, s1, s26
	s_wait_alu 0xfffe
	v_cmpx_gt_i32_e64 s1, v9
	s_cbranch_execz .LBB100_77
; %bb.75:
	v_mul_f64_e32 v[11:12], 0x80000000, v[7:8]
	v_mul_f64_e32 v[13:14], 0, v[5:6]
	v_lshlrev_b32_e32 v15, 4, v0
	s_mov_b32 s3, 0
.LBB100_76:                             ; =>This Inner Loop Header: Depth=1
	v_ashrrev_i32_e32 v10, 31, v9
	s_delay_alu instid0(VALU_DEP_1) | instskip(NEXT) | instid1(VALU_DEP_1)
	v_lshlrev_b64_e32 v[16:17], 2, v[9:10]
	v_add_co_u32 v16, vcc_lo, s14, v16
	s_wait_alu 0xfffd
	s_delay_alu instid0(VALU_DEP_2) | instskip(SKIP_3) | instid1(VALU_DEP_2)
	v_add_co_ci_u32_e64 v17, null, s15, v17, vcc_lo
	global_load_b32 v18, v[16:17], off
	v_lshlrev_b64_e32 v[16:17], 3, v[9:10]
	v_add_nc_u32_e32 v9, 0x100, v9
	v_add_co_u32 v16, vcc_lo, s16, v16
	s_wait_alu 0xfffd
	s_delay_alu instid0(VALU_DEP_3) | instskip(SKIP_3) | instid1(VALU_DEP_1)
	v_add_co_ci_u32_e64 v17, null, s17, v17, vcc_lo
	global_load_b64 v[20:21], v[16:17], off
	s_wait_loadcnt 0x1
	v_subrev_nc_u32_e32 v16, s26, v18
	v_ashrrev_i32_e32 v17, 31, v16
	s_delay_alu instid0(VALU_DEP_1) | instskip(SKIP_3) | instid1(VALU_DEP_3)
	v_lshlrev_b64_e32 v[16:17], 4, v[16:17]
	s_wait_loadcnt 0x0
	v_fma_f64 v[22:23], v[7:8], v[20:21], v[13:14]
	v_fma_f64 v[20:21], v[5:6], v[20:21], v[11:12]
	v_add_co_u32 v16, vcc_lo, s18, v16
	s_wait_alu 0xfffd
	v_add_co_ci_u32_e64 v17, null, s19, v17, vcc_lo
	v_cmp_le_i32_e32 vcc_lo, s1, v9
	global_load_b128 v[16:19], v[16:17], off
	s_wait_alu 0xfffe
	s_or_b32 s3, vcc_lo, s3
	s_wait_loadcnt 0x0
	v_mul_f64_e64 v[24:25], v[18:19], -v[22:23]
	v_mul_f64_e32 v[26:27], v[20:21], v[18:19]
	s_delay_alu instid0(VALU_DEP_2) | instskip(NEXT) | instid1(VALU_DEP_2)
	v_fma_f64 v[18:19], v[20:21], v[16:17], v[24:25]
	v_fma_f64 v[20:21], v[22:23], v[16:17], v[26:27]
	ds_store_b128 v15, v[18:21]
	v_add_nc_u32_e32 v15, 0x1000, v15
	s_wait_alu 0xfffe
	s_and_not1_b32 exec_lo, exec_lo, s3
	s_cbranch_execnz .LBB100_76
.LBB100_77:
	s_or_b32 exec_lo, exec_lo, s2
                                        ; implicit-def: $vgpr7_vgpr8
                                        ; implicit-def: $vgpr9
.LBB100_78:
	s_wait_alu 0xfffe
	s_or_saveexec_b32 s0, s0
	v_lshlrev_b32_e32 v13, 4, v0
	s_wait_alu 0xfffe
	s_xor_b32 exec_lo, exec_lo, s0
	s_cbranch_execz .LBB100_80
; %bb.79:
	v_ashrrev_i32_e32 v10, 31, v9
	v_mul_f64_e32 v[34:35], 0, v[5:6]
	v_mul_f64_e32 v[36:37], 0x80000000, v[7:8]
	s_delay_alu instid0(VALU_DEP_3) | instskip(SKIP_1) | instid1(VALU_DEP_2)
	v_lshlrev_b64_e32 v[11:12], 2, v[9:10]
	v_lshlrev_b64_e32 v[9:10], 3, v[9:10]
	v_add_co_u32 v11, vcc_lo, s14, v11
	s_wait_alu 0xfffd
	s_delay_alu instid0(VALU_DEP_3) | instskip(NEXT) | instid1(VALU_DEP_3)
	v_add_co_ci_u32_e64 v12, null, s15, v12, vcc_lo
	v_add_co_u32 v9, vcc_lo, s16, v9
	s_wait_alu 0xfffd
	v_add_co_ci_u32_e64 v10, null, s17, v10, vcc_lo
	s_clause 0x3
	global_load_b32 v14, v[11:12], off
	global_load_b32 v15, v[11:12], off offset:1024
	global_load_b32 v16, v[11:12], off offset:2048
	;; [unrolled: 1-line block ×3, first 2 shown]
	s_clause 0x3
	global_load_b64 v[26:27], v[9:10], off
	global_load_b64 v[28:29], v[9:10], off offset:2048
	global_load_b64 v[30:31], v[9:10], off offset:4096
	;; [unrolled: 1-line block ×3, first 2 shown]
	s_wait_loadcnt 0x7
	v_subrev_nc_u32_e32 v9, s26, v14
	s_wait_loadcnt 0x6
	v_subrev_nc_u32_e32 v11, s26, v15
	;; [unrolled: 2-line block ×4, first 2 shown]
	s_wait_loadcnt 0x3
	v_fma_f64 v[38:39], v[7:8], v[26:27], v[34:35]
	v_ashrrev_i32_e32 v10, 31, v9
	v_ashrrev_i32_e32 v12, 31, v11
	;; [unrolled: 1-line block ×4, first 2 shown]
	v_fma_f64 v[26:27], v[5:6], v[26:27], v[36:37]
	v_lshlrev_b64_e32 v[9:10], 4, v[9:10]
	v_lshlrev_b64_e32 v[11:12], 4, v[11:12]
	;; [unrolled: 1-line block ×4, first 2 shown]
	s_wait_loadcnt 0x2
	v_fma_f64 v[40:41], v[7:8], v[28:29], v[34:35]
	v_fma_f64 v[28:29], v[5:6], v[28:29], v[36:37]
	v_add_co_u32 v9, vcc_lo, s18, v9
	s_wait_alu 0xfffd
	v_add_co_ci_u32_e64 v10, null, s19, v10, vcc_lo
	v_add_co_u32 v18, vcc_lo, s18, v11
	s_wait_alu 0xfffd
	v_add_co_ci_u32_e64 v19, null, s19, v12, vcc_lo
	v_add_co_u32 v20, vcc_lo, s18, v14
	s_wait_alu 0xfffd
	v_add_co_ci_u32_e64 v21, null, s19, v15, vcc_lo
	v_add_co_u32 v22, vcc_lo, s18, v16
	global_load_b128 v[9:12], v[9:10], off
	s_wait_alu 0xfffd
	v_add_co_ci_u32_e64 v23, null, s19, v17, vcc_lo
	s_clause 0x2
	global_load_b128 v[14:17], v[18:19], off
	global_load_b128 v[18:21], v[20:21], off
	;; [unrolled: 1-line block ×3, first 2 shown]
	s_wait_loadcnt 0x5
	v_fma_f64 v[42:43], v[7:8], v[30:31], v[34:35]
	v_fma_f64 v[30:31], v[5:6], v[30:31], v[36:37]
	s_wait_loadcnt 0x4
	v_fma_f64 v[34:35], v[7:8], v[32:33], v[34:35]
	v_fma_f64 v[32:33], v[5:6], v[32:33], v[36:37]
	s_wait_loadcnt 0x3
	v_mul_f64_e64 v[5:6], v[11:12], -v[38:39]
	v_mul_f64_e32 v[7:8], v[26:27], v[11:12]
	s_wait_loadcnt 0x2
	v_mul_f64_e64 v[11:12], v[16:17], -v[40:41]
	v_mul_f64_e32 v[16:17], v[28:29], v[16:17]
	;; [unrolled: 3-line block ×4, first 2 shown]
	v_fma_f64 v[5:6], v[26:27], v[9:10], v[5:6]
	v_fma_f64 v[7:8], v[38:39], v[9:10], v[7:8]
	;; [unrolled: 1-line block ×8, first 2 shown]
	ds_store_b128 v13, v[5:8]
	ds_store_b128 v13, v[9:12] offset:4096
	ds_store_b128 v13, v[14:17] offset:8192
	;; [unrolled: 1-line block ×3, first 2 shown]
.LBB100_80:
	s_or_b32 exec_lo, exec_lo, s0
	s_cmp_lt_i32 s11, 2
	s_mov_b32 s0, -1
	s_wait_storecnt 0x0
	s_wait_loadcnt_dscnt 0x0
	s_barrier_signal -1
	s_barrier_wait -1
	global_inv scope:SCOPE_SE
	s_cbranch_scc0 .LBB100_91
; %bb.81:
	v_add_nc_u32_e32 v9, s22, v0
	s_mov_b32 s1, exec_lo
	s_delay_alu instid0(VALU_DEP_1)
	v_cmpx_gt_i32_e64 s23, v9
	s_cbranch_execz .LBB100_90
; %bb.82:
	v_cmp_neq_f64_e32 vcc_lo, 0, v[1:2]
	v_cmp_neq_f64_e64 s0, 0, v[3:4]
	s_lshl_b32 s4, s27, 4
	s_mov_b32 s2, 0
	s_wait_alu 0xfffe
	s_sub_co_i32 s4, 0, s4
	s_or_b32 s3, vcc_lo, s0
	s_branch .LBB100_84
.LBB100_83:                             ;   in Loop: Header=BB100_84 Depth=1
	s_wait_alu 0xfffe
	s_or_b32 exec_lo, exec_lo, s0
	v_add_nc_u32_e32 v9, 0x100, v9
	v_add_co_u32 v10, s0, s20, v10
	s_wait_alu 0xf1ff
	v_add_co_ci_u32_e64 v11, null, s21, v11, s0
	s_delay_alu instid0(VALU_DEP_3)
	v_cmp_le_i32_e32 vcc_lo, s23, v9
	global_store_b128 v[10:11], v[5:8], off
	s_or_b32 s2, vcc_lo, s2
	s_wait_alu 0xfffe
	s_and_not1_b32 exec_lo, exec_lo, s2
	s_cbranch_execz .LBB100_90
.LBB100_84:                             ; =>This Loop Header: Depth=1
                                        ;     Child Loop BB100_86 Depth 2
	v_ashrrev_i32_e32 v10, 31, v9
	v_mov_b32_e32 v7, 0
	v_mov_b32_e32 v8, 0
	s_mov_b32 s0, exec_lo
	s_delay_alu instid0(VALU_DEP_3) | instskip(NEXT) | instid1(VALU_DEP_1)
	v_lshlrev_b64_e32 v[5:6], 2, v[9:10]
	v_add_co_u32 v5, vcc_lo, s12, v5
	s_wait_alu 0xfffd
	s_delay_alu instid0(VALU_DEP_2)
	v_add_co_ci_u32_e64 v6, null, s13, v6, vcc_lo
	global_load_b64 v[11:12], v[5:6], off
	v_mov_b32_e32 v5, 0
	v_mov_b32_e32 v6, 0
	s_wait_loadcnt 0x0
	v_cmpx_lt_i32_e64 v11, v12
	s_cbranch_execz .LBB100_88
; %bb.85:                               ;   in Loop: Header=BB100_84 Depth=1
	v_mov_b32_e32 v7, 0
	v_mov_b32_e32 v8, 0
	v_subrev_nc_u32_e32 v12, s27, v12
	v_subrev_nc_u32_e32 v14, s27, v11
	s_wait_alu 0xfffe
	v_lshl_add_u32 v11, v11, 4, s4
	v_dual_mov_b32 v5, v7 :: v_dual_mov_b32 v6, v8
	s_mov_b32 s5, 0
.LBB100_86:                             ;   Parent Loop BB100_84 Depth=1
                                        ; =>  This Inner Loop Header: Depth=2
	ds_load_b128 v[15:18], v11
	v_add_nc_u32_e32 v14, 1, v14
	v_add_nc_u32_e32 v11, 16, v11
	s_delay_alu instid0(VALU_DEP_2)
	v_cmp_ge_i32_e32 vcc_lo, v14, v12
	s_wait_alu 0xfffe
	s_or_b32 s5, vcc_lo, s5
	s_wait_dscnt 0x0
	v_add_f64_e32 v[5:6], v[5:6], v[15:16]
	v_add_f64_e32 v[7:8], v[7:8], v[17:18]
	s_wait_alu 0xfffe
	s_and_not1_b32 exec_lo, exec_lo, s5
	s_cbranch_execnz .LBB100_86
; %bb.87:                               ;   in Loop: Header=BB100_84 Depth=1
	s_or_b32 exec_lo, exec_lo, s5
.LBB100_88:                             ;   in Loop: Header=BB100_84 Depth=1
	s_wait_alu 0xfffe
	s_or_b32 exec_lo, exec_lo, s0
	v_lshlrev_b64_e32 v[10:11], 4, v[9:10]
	s_and_saveexec_b32 s0, s3
	s_cbranch_execz .LBB100_83
; %bb.89:                               ;   in Loop: Header=BB100_84 Depth=1
	s_delay_alu instid0(VALU_DEP_1) | instskip(SKIP_1) | instid1(VALU_DEP_2)
	v_add_co_u32 v14, vcc_lo, s20, v10
	s_wait_alu 0xfffd
	v_add_co_ci_u32_e64 v15, null, s21, v11, vcc_lo
	global_load_b128 v[14:17], v[14:15], off
	s_wait_loadcnt 0x0
	v_fma_f64 v[5:6], v[1:2], v[14:15], v[5:6]
	v_fma_f64 v[7:8], v[3:4], v[14:15], v[7:8]
	s_delay_alu instid0(VALU_DEP_2) | instskip(NEXT) | instid1(VALU_DEP_2)
	v_fma_f64 v[5:6], -v[3:4], v[16:17], v[5:6]
	v_fma_f64 v[7:8], v[1:2], v[16:17], v[7:8]
	s_branch .LBB100_83
.LBB100_90:
	s_wait_alu 0xfffe
	s_or_b32 exec_lo, exec_lo, s1
	s_mov_b32 s0, 0
.LBB100_91:
	s_wait_alu 0xfffe
	s_and_not1_b32 vcc_lo, exec_lo, s0
	s_wait_alu 0xfffe
	s_cbranch_vccnz .LBB100_116
; %bb.92:
	s_clz_i32_u32 s0, s11
	s_mov_b32 s1, exec_lo
	s_wait_alu 0xfffe
	s_xor_b32 s0, s0, 31
	s_wait_alu 0xfffe
	v_lshrrev_b32_e32 v10, s0, v0
	s_add_co_i32 s0, s11, -1
	s_wait_alu 0xfffe
	v_dual_mov_b32 v5, 0 :: v_dual_and_b32 v0, s0, v0
	s_delay_alu instid0(VALU_DEP_2) | instskip(NEXT) | instid1(VALU_DEP_1)
	v_dual_mov_b32 v6, 0 :: v_dual_add_nc_u32 v9, s22, v10
	v_dual_mov_b32 v8, v6 :: v_dual_mov_b32 v7, v5
	s_delay_alu instid0(VALU_DEP_2)
	v_cmp_le_i32_e32 vcc_lo, s23, v9
	v_cmpx_gt_i32_e64 s23, v9
	s_cbranch_execz .LBB100_98
; %bb.93:
	v_lshlrev_b32_e32 v5, 2, v10
	v_subrev_nc_u32_e32 v7, s27, v0
	s_mov_b32 s2, exec_lo
	global_load_b64 v[5:6], v5, s[24:25]
	s_wait_loadcnt 0x0
	v_subrev_nc_u32_e32 v10, s27, v6
	v_add_nc_u32_e32 v11, v5, v7
	v_mov_b32_e32 v7, 0
	v_dual_mov_b32 v5, 0 :: v_dual_mov_b32 v8, 0
	v_mov_b32_e32 v6, 0
	s_delay_alu instid0(VALU_DEP_4)
	v_cmpx_lt_i32_e64 v11, v10
	s_cbranch_execz .LBB100_97
; %bb.94:
	v_dual_mov_b32 v7, 0 :: v_dual_lshlrev_b32 v12, 4, v11
	v_mov_b32_e32 v8, 0
	s_delay_alu instid0(VALU_DEP_2) | instskip(SKIP_2) | instid1(VALU_DEP_2)
	v_mov_b32_e32 v5, v7
	s_lshl_b32 s4, s11, 4
	s_mov_b32 s3, 0
	v_mov_b32_e32 v6, v8
.LBB100_95:                             ; =>This Inner Loop Header: Depth=1
	ds_load_b128 v[14:17], v12
	v_add_nc_u32_e32 v11, s11, v11
	s_wait_alu 0xfffe
	v_add_nc_u32_e32 v12, s4, v12
	s_delay_alu instid0(VALU_DEP_2)
	v_cmp_ge_i32_e64 s0, v11, v10
	s_or_b32 s3, s0, s3
	s_wait_dscnt 0x0
	v_add_f64_e32 v[5:6], v[5:6], v[14:15]
	v_add_f64_e32 v[7:8], v[7:8], v[16:17]
	s_wait_alu 0xfffe
	s_and_not1_b32 exec_lo, exec_lo, s3
	s_cbranch_execnz .LBB100_95
; %bb.96:
	s_or_b32 exec_lo, exec_lo, s3
.LBB100_97:
	s_wait_alu 0xfffe
	s_or_b32 exec_lo, exec_lo, s2
.LBB100_98:
	s_delay_alu instid0(SALU_CYCLE_1)
	s_or_b32 exec_lo, exec_lo, s1
	s_cmp_lt_u32 s11, 0x81
	s_wait_loadcnt 0x0
	s_wait_storecnt 0x0
	s_barrier_signal -1
	s_barrier_wait -1
	global_inv scope:SCOPE_SE
	ds_store_b128 v13, v[5:8]
	s_wait_loadcnt_dscnt 0x0
	s_barrier_signal -1
	s_barrier_wait -1
	global_inv scope:SCOPE_SE
	s_cbranch_scc1 .LBB100_100
; %bb.99:
	ds_load_b128 v[14:17], v13 offset:2048
	s_wait_loadcnt_dscnt 0x0
	s_barrier_signal -1
	s_barrier_wait -1
	global_inv scope:SCOPE_SE
	v_add_f64_e32 v[5:6], v[5:6], v[14:15]
	v_add_f64_e32 v[7:8], v[7:8], v[16:17]
	ds_store_b128 v13, v[5:8]
.LBB100_100:
	s_cmp_lt_u32 s11, 0x41
	s_wait_loadcnt_dscnt 0x0
	s_barrier_signal -1
	s_barrier_wait -1
	global_inv scope:SCOPE_SE
	s_cbranch_scc1 .LBB100_102
; %bb.101:
	ds_load_b128 v[14:17], v13 offset:1024
	s_wait_loadcnt_dscnt 0x0
	s_barrier_signal -1
	s_barrier_wait -1
	global_inv scope:SCOPE_SE
	v_add_f64_e32 v[5:6], v[5:6], v[14:15]
	v_add_f64_e32 v[7:8], v[7:8], v[16:17]
	ds_store_b128 v13, v[5:8]
.LBB100_102:
	s_cmp_lt_u32 s11, 33
	s_wait_loadcnt_dscnt 0x0
	s_barrier_signal -1
	s_barrier_wait -1
	global_inv scope:SCOPE_SE
	s_cbranch_scc1 .LBB100_104
; %bb.103:
	ds_load_b128 v[14:17], v13 offset:512
	s_wait_loadcnt_dscnt 0x0
	s_barrier_signal -1
	s_barrier_wait -1
	global_inv scope:SCOPE_SE
	v_add_f64_e32 v[5:6], v[5:6], v[14:15]
	v_add_f64_e32 v[7:8], v[7:8], v[16:17]
	ds_store_b128 v13, v[5:8]
.LBB100_104:
	s_cmp_lt_u32 s11, 17
	s_wait_loadcnt_dscnt 0x0
	s_barrier_signal -1
	s_barrier_wait -1
	global_inv scope:SCOPE_SE
	s_cbranch_scc1 .LBB100_106
; %bb.105:
	ds_load_b128 v[14:17], v13 offset:256
	s_wait_loadcnt_dscnt 0x0
	s_barrier_signal -1
	s_barrier_wait -1
	global_inv scope:SCOPE_SE
	v_add_f64_e32 v[5:6], v[5:6], v[14:15]
	v_add_f64_e32 v[7:8], v[7:8], v[16:17]
	ds_store_b128 v13, v[5:8]
.LBB100_106:
	s_cmp_lt_u32 s11, 9
	s_wait_loadcnt_dscnt 0x0
	s_barrier_signal -1
	s_barrier_wait -1
	global_inv scope:SCOPE_SE
	s_cbranch_scc1 .LBB100_108
; %bb.107:
	ds_load_b128 v[14:17], v13 offset:128
	s_wait_loadcnt_dscnt 0x0
	s_barrier_signal -1
	s_barrier_wait -1
	global_inv scope:SCOPE_SE
	v_add_f64_e32 v[5:6], v[5:6], v[14:15]
	v_add_f64_e32 v[7:8], v[7:8], v[16:17]
	ds_store_b128 v13, v[5:8]
.LBB100_108:
	s_cmp_lt_u32 s11, 5
	s_wait_loadcnt_dscnt 0x0
	s_barrier_signal -1
	s_barrier_wait -1
	global_inv scope:SCOPE_SE
	s_cbranch_scc1 .LBB100_110
; %bb.109:
	ds_load_b128 v[14:17], v13 offset:64
	s_wait_loadcnt_dscnt 0x0
	s_barrier_signal -1
	s_barrier_wait -1
	global_inv scope:SCOPE_SE
	v_add_f64_e32 v[5:6], v[5:6], v[14:15]
	v_add_f64_e32 v[7:8], v[7:8], v[16:17]
	ds_store_b128 v13, v[5:8]
.LBB100_110:
	s_cmp_eq_u32 s11, 2
	s_wait_loadcnt_dscnt 0x0
	s_barrier_signal -1
	s_barrier_wait -1
	global_inv scope:SCOPE_SE
	s_cbranch_scc1 .LBB100_112
; %bb.111:
	ds_load_b128 v[14:17], v13 offset:32
	s_wait_loadcnt_dscnt 0x0
	s_barrier_signal -1
	s_barrier_wait -1
	global_inv scope:SCOPE_SE
	v_add_f64_e32 v[5:6], v[5:6], v[14:15]
	v_add_f64_e32 v[7:8], v[7:8], v[16:17]
	ds_store_b128 v13, v[5:8]
.LBB100_112:
	s_wait_loadcnt_dscnt 0x0
	s_barrier_signal -1
	s_barrier_wait -1
	global_inv scope:SCOPE_SE
	ds_load_b128 v[14:17], v13 offset:16
	v_cmp_eq_u32_e64 s0, 0, v0
	s_xor_b32 s1, vcc_lo, -1
	s_wait_loadcnt_dscnt 0x0
	s_barrier_signal -1
	s_barrier_wait -1
	s_wait_alu 0xfffe
	s_and_b32 s0, s0, s1
	global_inv scope:SCOPE_SE
	v_add_f64_e32 v[5:6], v[5:6], v[14:15]
	v_add_f64_e32 v[7:8], v[7:8], v[16:17]
	ds_store_b128 v13, v[5:8]
	s_wait_alu 0xfffe
	s_and_b32 exec_lo, exec_lo, s0
	s_cbranch_execz .LBB100_116
; %bb.113:
	v_cmp_neq_f64_e32 vcc_lo, 0, v[1:2]
	v_cmp_neq_f64_e64 s0, 0, v[3:4]
	v_ashrrev_i32_e32 v10, 31, v9
	s_delay_alu instid0(VALU_DEP_1)
	v_lshlrev_b64_e32 v[9:10], 4, v[9:10]
	s_or_b32 s1, vcc_lo, s0
	s_wait_alu 0xfffe
	s_and_saveexec_b32 s0, s1
	s_cbranch_execz .LBB100_115
; %bb.114:
	s_delay_alu instid0(VALU_DEP_1)
	v_add_co_u32 v11, vcc_lo, s20, v9
	s_wait_alu 0xfffd
	v_add_co_ci_u32_e64 v12, null, s21, v10, vcc_lo
	global_load_b128 v[11:14], v[11:12], off
	s_wait_loadcnt 0x0
	v_fma_f64 v[5:6], v[1:2], v[11:12], v[5:6]
	v_fma_f64 v[7:8], v[3:4], v[11:12], v[7:8]
	s_delay_alu instid0(VALU_DEP_2) | instskip(NEXT) | instid1(VALU_DEP_2)
	v_fma_f64 v[5:6], -v[3:4], v[13:14], v[5:6]
	v_fma_f64 v[7:8], v[1:2], v[13:14], v[7:8]
.LBB100_115:
	s_wait_alu 0xfffe
	s_or_b32 exec_lo, exec_lo, s0
	v_add_co_u32 v0, vcc_lo, s20, v9
	s_wait_alu 0xfffd
	v_add_co_ci_u32_e64 v1, null, s21, v10, vcc_lo
	global_store_b128 v[0:1], v[5:8], off
.LBB100_116:
	s_endpgm
	.section	.rodata,"a",@progbits
	.p2align	6, 0x0
	.amdhsa_kernel _ZN9rocsparseL22csrmvn_adaptive_kernelIiid21rocsparse_complex_numIdES2_S2_EEvbT_PKS3_PjPKT0_NS_24const_host_device_scalarIT4_EES5_S9_PKT1_PKT2_SC_PT3_21rocsparse_index_base_b
		.amdhsa_group_segment_fixed_size 16384
		.amdhsa_private_segment_fixed_size 0
		.amdhsa_kernarg_size 112
		.amdhsa_user_sgpr_count 2
		.amdhsa_user_sgpr_dispatch_ptr 0
		.amdhsa_user_sgpr_queue_ptr 0
		.amdhsa_user_sgpr_kernarg_segment_ptr 1
		.amdhsa_user_sgpr_dispatch_id 0
		.amdhsa_user_sgpr_private_segment_size 0
		.amdhsa_wavefront_size32 1
		.amdhsa_uses_dynamic_stack 0
		.amdhsa_enable_private_segment 0
		.amdhsa_system_sgpr_workgroup_id_x 1
		.amdhsa_system_sgpr_workgroup_id_y 0
		.amdhsa_system_sgpr_workgroup_id_z 0
		.amdhsa_system_sgpr_workgroup_info 0
		.amdhsa_system_vgpr_workitem_id 0
		.amdhsa_next_free_vgpr 46
		.amdhsa_next_free_sgpr 40
		.amdhsa_reserve_vcc 1
		.amdhsa_float_round_mode_32 0
		.amdhsa_float_round_mode_16_64 0
		.amdhsa_float_denorm_mode_32 3
		.amdhsa_float_denorm_mode_16_64 3
		.amdhsa_fp16_overflow 0
		.amdhsa_workgroup_processor_mode 1
		.amdhsa_memory_ordered 1
		.amdhsa_forward_progress 1
		.amdhsa_inst_pref_size 48
		.amdhsa_round_robin_scheduling 0
		.amdhsa_exception_fp_ieee_invalid_op 0
		.amdhsa_exception_fp_denorm_src 0
		.amdhsa_exception_fp_ieee_div_zero 0
		.amdhsa_exception_fp_ieee_overflow 0
		.amdhsa_exception_fp_ieee_underflow 0
		.amdhsa_exception_fp_ieee_inexact 0
		.amdhsa_exception_int_div_zero 0
	.end_amdhsa_kernel
	.section	.text._ZN9rocsparseL22csrmvn_adaptive_kernelIiid21rocsparse_complex_numIdES2_S2_EEvbT_PKS3_PjPKT0_NS_24const_host_device_scalarIT4_EES5_S9_PKT1_PKT2_SC_PT3_21rocsparse_index_base_b,"axG",@progbits,_ZN9rocsparseL22csrmvn_adaptive_kernelIiid21rocsparse_complex_numIdES2_S2_EEvbT_PKS3_PjPKT0_NS_24const_host_device_scalarIT4_EES5_S9_PKT1_PKT2_SC_PT3_21rocsparse_index_base_b,comdat
.Lfunc_end100:
	.size	_ZN9rocsparseL22csrmvn_adaptive_kernelIiid21rocsparse_complex_numIdES2_S2_EEvbT_PKS3_PjPKT0_NS_24const_host_device_scalarIT4_EES5_S9_PKT1_PKT2_SC_PT3_21rocsparse_index_base_b, .Lfunc_end100-_ZN9rocsparseL22csrmvn_adaptive_kernelIiid21rocsparse_complex_numIdES2_S2_EEvbT_PKS3_PjPKT0_NS_24const_host_device_scalarIT4_EES5_S9_PKT1_PKT2_SC_PT3_21rocsparse_index_base_b
                                        ; -- End function
	.set _ZN9rocsparseL22csrmvn_adaptive_kernelIiid21rocsparse_complex_numIdES2_S2_EEvbT_PKS3_PjPKT0_NS_24const_host_device_scalarIT4_EES5_S9_PKT1_PKT2_SC_PT3_21rocsparse_index_base_b.num_vgpr, 46
	.set _ZN9rocsparseL22csrmvn_adaptive_kernelIiid21rocsparse_complex_numIdES2_S2_EEvbT_PKS3_PjPKT0_NS_24const_host_device_scalarIT4_EES5_S9_PKT1_PKT2_SC_PT3_21rocsparse_index_base_b.num_agpr, 0
	.set _ZN9rocsparseL22csrmvn_adaptive_kernelIiid21rocsparse_complex_numIdES2_S2_EEvbT_PKS3_PjPKT0_NS_24const_host_device_scalarIT4_EES5_S9_PKT1_PKT2_SC_PT3_21rocsparse_index_base_b.numbered_sgpr, 40
	.set _ZN9rocsparseL22csrmvn_adaptive_kernelIiid21rocsparse_complex_numIdES2_S2_EEvbT_PKS3_PjPKT0_NS_24const_host_device_scalarIT4_EES5_S9_PKT1_PKT2_SC_PT3_21rocsparse_index_base_b.num_named_barrier, 0
	.set _ZN9rocsparseL22csrmvn_adaptive_kernelIiid21rocsparse_complex_numIdES2_S2_EEvbT_PKS3_PjPKT0_NS_24const_host_device_scalarIT4_EES5_S9_PKT1_PKT2_SC_PT3_21rocsparse_index_base_b.private_seg_size, 0
	.set _ZN9rocsparseL22csrmvn_adaptive_kernelIiid21rocsparse_complex_numIdES2_S2_EEvbT_PKS3_PjPKT0_NS_24const_host_device_scalarIT4_EES5_S9_PKT1_PKT2_SC_PT3_21rocsparse_index_base_b.uses_vcc, 1
	.set _ZN9rocsparseL22csrmvn_adaptive_kernelIiid21rocsparse_complex_numIdES2_S2_EEvbT_PKS3_PjPKT0_NS_24const_host_device_scalarIT4_EES5_S9_PKT1_PKT2_SC_PT3_21rocsparse_index_base_b.uses_flat_scratch, 0
	.set _ZN9rocsparseL22csrmvn_adaptive_kernelIiid21rocsparse_complex_numIdES2_S2_EEvbT_PKS3_PjPKT0_NS_24const_host_device_scalarIT4_EES5_S9_PKT1_PKT2_SC_PT3_21rocsparse_index_base_b.has_dyn_sized_stack, 0
	.set _ZN9rocsparseL22csrmvn_adaptive_kernelIiid21rocsparse_complex_numIdES2_S2_EEvbT_PKS3_PjPKT0_NS_24const_host_device_scalarIT4_EES5_S9_PKT1_PKT2_SC_PT3_21rocsparse_index_base_b.has_recursion, 0
	.set _ZN9rocsparseL22csrmvn_adaptive_kernelIiid21rocsparse_complex_numIdES2_S2_EEvbT_PKS3_PjPKT0_NS_24const_host_device_scalarIT4_EES5_S9_PKT1_PKT2_SC_PT3_21rocsparse_index_base_b.has_indirect_call, 0
	.section	.AMDGPU.csdata,"",@progbits
; Kernel info:
; codeLenInByte = 6132
; TotalNumSgprs: 42
; NumVgprs: 46
; ScratchSize: 0
; MemoryBound: 0
; FloatMode: 240
; IeeeMode: 1
; LDSByteSize: 16384 bytes/workgroup (compile time only)
; SGPRBlocks: 0
; VGPRBlocks: 5
; NumSGPRsForWavesPerEU: 42
; NumVGPRsForWavesPerEU: 46
; Occupancy: 16
; WaveLimiterHint : 1
; COMPUTE_PGM_RSRC2:SCRATCH_EN: 0
; COMPUTE_PGM_RSRC2:USER_SGPR: 2
; COMPUTE_PGM_RSRC2:TRAP_HANDLER: 0
; COMPUTE_PGM_RSRC2:TGID_X_EN: 1
; COMPUTE_PGM_RSRC2:TGID_Y_EN: 0
; COMPUTE_PGM_RSRC2:TGID_Z_EN: 0
; COMPUTE_PGM_RSRC2:TIDIG_COMP_CNT: 0
	.section	.text._ZN9rocsparseL27csrmvn_symm_adaptive_kernelIiid21rocsparse_complex_numIdES2_S2_EEvbT_S3_PKS3_NS_24const_host_device_scalarIT4_EES5_PKT0_PKT1_PKT2_S8_PT3_21rocsparse_index_base_b,"axG",@progbits,_ZN9rocsparseL27csrmvn_symm_adaptive_kernelIiid21rocsparse_complex_numIdES2_S2_EEvbT_S3_PKS3_NS_24const_host_device_scalarIT4_EES5_PKT0_PKT1_PKT2_S8_PT3_21rocsparse_index_base_b,comdat
	.globl	_ZN9rocsparseL27csrmvn_symm_adaptive_kernelIiid21rocsparse_complex_numIdES2_S2_EEvbT_S3_PKS3_NS_24const_host_device_scalarIT4_EES5_PKT0_PKT1_PKT2_S8_PT3_21rocsparse_index_base_b ; -- Begin function _ZN9rocsparseL27csrmvn_symm_adaptive_kernelIiid21rocsparse_complex_numIdES2_S2_EEvbT_S3_PKS3_NS_24const_host_device_scalarIT4_EES5_PKT0_PKT1_PKT2_S8_PT3_21rocsparse_index_base_b
	.p2align	8
	.type	_ZN9rocsparseL27csrmvn_symm_adaptive_kernelIiid21rocsparse_complex_numIdES2_S2_EEvbT_S3_PKS3_NS_24const_host_device_scalarIT4_EES5_PKT0_PKT1_PKT2_S8_PT3_21rocsparse_index_base_b,@function
_ZN9rocsparseL27csrmvn_symm_adaptive_kernelIiid21rocsparse_complex_numIdES2_S2_EEvbT_S3_PKS3_NS_24const_host_device_scalarIT4_EES5_PKT0_PKT1_PKT2_S8_PT3_21rocsparse_index_base_b: ; @_ZN9rocsparseL27csrmvn_symm_adaptive_kernelIiid21rocsparse_complex_numIdES2_S2_EEvbT_S3_PKS3_NS_24const_host_device_scalarIT4_EES5_PKT0_PKT1_PKT2_S8_PT3_21rocsparse_index_base_b
; %bb.0:
	s_clause 0x1
	s_load_b64 s[20:21], s[0:1], 0x60
	s_load_b64 s[4:5], s[0:1], 0x18
	s_add_nc_u64 s[6:7], s[0:1], 24
	s_wait_kmcnt 0x0
	s_bitcmp1_b32 s21, 0
	s_cselect_b32 s3, -1, 0
	s_delay_alu instid0(SALU_CYCLE_1) | instskip(SKIP_2) | instid1(SALU_CYCLE_1)
	s_and_b32 s2, s3, exec_lo
	s_cselect_b32 s2, s6, s4
	s_cselect_b32 s4, s7, s5
	v_dual_mov_b32 v1, s2 :: v_dual_mov_b32 v2, s4
	flat_load_b128 v[1:4], v[1:2]
	s_wait_loadcnt_dscnt 0x0
	v_cmp_eq_f64_e32 vcc_lo, 0, v[1:2]
	v_cmp_eq_f64_e64 s2, 0, v[3:4]
	s_and_b32 s5, vcc_lo, s2
	s_mov_b32 s2, -1
	s_wait_alu 0xfffe
	s_and_saveexec_b32 s4, s5
	s_cbranch_execz .LBB101_2
; %bb.1:
	s_load_b64 s[6:7], s[0:1], 0x48
	s_add_nc_u64 s[8:9], s[0:1], 0x48
	s_and_b32 s2, s3, exec_lo
	s_wait_kmcnt 0x0
	s_cselect_b32 s2, s8, s6
	s_cselect_b32 s3, s9, s7
	s_wait_alu 0xfffe
	v_dual_mov_b32 v5, s2 :: v_dual_mov_b32 v6, s3
	flat_load_b128 v[5:8], v[5:6]
	s_wait_loadcnt_dscnt 0x0
	v_cmp_neq_f64_e32 vcc_lo, 1.0, v[5:6]
	v_cmp_neq_f64_e64 s2, 0, v[7:8]
	s_or_b32 s2, vcc_lo, s2
	s_wait_alu 0xfffe
	s_or_not1_b32 s2, s2, exec_lo
.LBB101_2:
	s_wait_alu 0xfffe
	s_or_b32 exec_lo, exec_lo, s4
	s_and_saveexec_b32 s3, s2
	s_cbranch_execz .LBB101_203
; %bb.3:
	s_load_b64 s[8:9], s[0:1], 0x10
	s_mov_b32 s4, 0
	s_mov_b32 s2, ttmp9
	s_wait_alu 0xfffe
	s_mov_b32 s7, s4
	s_mov_b32 s5, s4
	;; [unrolled: 1-line block ×3, first 2 shown]
	v_dual_mov_b32 v8, s7 :: v_dual_lshlrev_b32 v27, 4, v0
	s_ashr_i32 s3, ttmp9, 31
	s_wait_alu 0xfffe
	v_dual_mov_b32 v7, s6 :: v_dual_mov_b32 v6, s5
	v_mov_b32_e32 v5, s4
	s_lshl_b64 s[2:3], s[2:3], 2
	ds_store_b128 v27, v[5:8]
	ds_store_b128 v27, v[5:8] offset:4096
	ds_store_b128 v27, v[5:8] offset:8192
	;; [unrolled: 1-line block ×3, first 2 shown]
	s_wait_dscnt 0x0
	s_barrier_signal -1
	s_barrier_wait -1
	s_wait_kmcnt 0x0
	s_wait_alu 0xfffe
	s_add_nc_u64 s[2:3], s[8:9], s[2:3]
	global_inv scope:SCOPE_SE
	s_load_b64 s[18:19], s[2:3], 0x0
	s_clause 0x1
	s_load_b64 s[16:17], s[0:1], 0x58
	s_load_b256 s[8:15], s[0:1], 0x28
	v_subrev_nc_u32_e32 v28, s20, v0
	s_mov_b32 s2, -1
	s_wait_kmcnt 0x0
	s_sub_co_i32 s21, s19, s18
	s_wait_alu 0xfffe
	s_cmp_gt_i32 s21, 2
	s_cbranch_scc1 .LBB101_45
; %bb.4:
	s_cmp_le_i32 s19, s18
	s_cbranch_scc1 .LBB101_32
; %bb.5:
	v_cmp_gt_u32_e64 s2, 16, v0
	v_cmp_gt_u32_e64 s3, 4, v0
	v_cmp_eq_u32_e64 s4, 0, v0
	v_mov_b32_e32 v15, 0
	s_mov_b32 s22, s18
	v_cmp_gt_u32_e32 vcc_lo, 64, v0
	s_branch .LBB101_7
.LBB101_6:                              ;   in Loop: Header=BB101_7 Depth=1
	s_wait_alu 0xfffe
	s_or_b32 exec_lo, exec_lo, s24
	s_add_co_i32 s22, s22, 1
	s_wait_alu 0xfffe
	s_cmp_ge_i32 s22, s19
	s_cbranch_scc1 .LBB101_32
.LBB101_7:                              ; =>This Loop Header: Depth=1
                                        ;     Child Loop BB101_9 Depth 2
                                        ;     Child Loop BB101_21 Depth 2
	;; [unrolled: 1-line block ×5, first 2 shown]
	s_ashr_i32 s23, s22, 31
	v_mov_b32_e32 v7, 0
	s_wait_alu 0xfffe
	s_lshl_b64 s[6:7], s[22:23], 2
	v_mov_b32_e32 v5, 0
	s_wait_alu 0xfffe
	s_add_nc_u64 s[6:7], s[8:9], s[6:7]
	v_mov_b32_e32 v6, 0
	s_load_b64 s[6:7], s[6:7], 0x0
	s_wait_kmcnt 0x0
	v_dual_mov_b32 v8, 0 :: v_dual_add_nc_u32 v9, s6, v28
	s_sub_co_i32 s24, s7, s20
	s_mov_b32 s7, exec_lo
	s_wait_alu 0xfffe
	s_delay_alu instid0(VALU_DEP_1)
	v_cmpx_gt_i32_e64 s24, v9
	s_cbranch_execz .LBB101_11
; %bb.8:                                ;   in Loop: Header=BB101_7 Depth=1
	v_ashrrev_i32_e32 v10, 31, v9
	v_mov_b32_e32 v7, 0
	v_mov_b32_e32 v8, 0
	s_mov_b32 s25, 0
	s_delay_alu instid0(VALU_DEP_3) | instskip(SKIP_1) | instid1(VALU_DEP_2)
	v_lshlrev_b64_e32 v[5:6], 2, v[9:10]
	v_lshlrev_b64_e32 v[12:13], 3, v[9:10]
	v_add_co_u32 v10, s5, s10, v5
	s_wait_alu 0xf1ff
	s_delay_alu instid0(VALU_DEP_3) | instskip(NEXT) | instid1(VALU_DEP_3)
	v_add_co_ci_u32_e64 v11, null, s11, v6, s5
	v_add_co_u32 v12, s5, s12, v12
	s_wait_alu 0xf1ff
	v_add_co_ci_u32_e64 v13, null, s13, v13, s5
	v_dual_mov_b32 v5, v7 :: v_dual_mov_b32 v6, v8
.LBB101_9:                              ;   Parent Loop BB101_7 Depth=1
                                        ; =>  This Inner Loop Header: Depth=2
	global_load_b32 v14, v[10:11], off
	v_add_nc_u32_e32 v9, 0x100, v9
	s_wait_loadcnt 0x0
	v_subrev_nc_u32_e32 v16, s20, v14
	s_delay_alu instid0(VALU_DEP_1) | instskip(NEXT) | instid1(VALU_DEP_1)
	v_ashrrev_i32_e32 v17, 31, v16
	v_lshlrev_b64_e32 v[16:17], 4, v[16:17]
	s_delay_alu instid0(VALU_DEP_1) | instskip(SKIP_1) | instid1(VALU_DEP_2)
	v_add_co_u32 v16, s5, s14, v16
	s_wait_alu 0xf1ff
	v_add_co_ci_u32_e64 v17, null, s15, v17, s5
	v_add_co_u32 v10, s5, 0x400, v10
	global_load_b64 v[20:21], v[12:13], off
	global_load_b128 v[16:19], v[16:17], off
	s_wait_alu 0xf1ff
	v_add_co_ci_u32_e64 v11, null, 0, v11, s5
	v_cmp_le_i32_e64 s5, s24, v9
	v_add_co_u32 v12, s6, 0x800, v12
	s_wait_alu 0xf1ff
	v_add_co_ci_u32_e64 v13, null, 0, v13, s6
	s_wait_alu 0xfffe
	s_or_b32 s25, s5, s25
	s_wait_loadcnt 0x0
	v_fma_f64 v[5:6], v[20:21], v[16:17], v[5:6]
	v_fma_f64 v[7:8], v[16:17], 0, v[7:8]
	s_delay_alu instid0(VALU_DEP_2) | instskip(NEXT) | instid1(VALU_DEP_2)
	v_fma_f64 v[5:6], 0x80000000, v[18:19], v[5:6]
	v_fma_f64 v[7:8], v[20:21], v[18:19], v[7:8]
	s_wait_alu 0xfffe
	s_and_not1_b32 exec_lo, exec_lo, s25
	s_cbranch_execnz .LBB101_9
; %bb.10:                               ;   in Loop: Header=BB101_7 Depth=1
	s_or_b32 exec_lo, exec_lo, s25
.LBB101_11:                             ;   in Loop: Header=BB101_7 Depth=1
	s_wait_alu 0xfffe
	s_or_b32 exec_lo, exec_lo, s7
	ds_store_b128 v27, v[5:8]
	s_wait_loadcnt_dscnt 0x0
	s_barrier_signal -1
	s_barrier_wait -1
	global_inv scope:SCOPE_SE
	ds_load_b128 v[5:8], v27 offset:4096
	ds_load_b128 v[9:12], v27 offset:8192
	ds_load_b128 v[16:19], v27 offset:12288
	ds_load_b128 v[20:23], v27
	s_wait_dscnt 0x2
	v_add_f64_e32 v[5:6], v[9:10], v[5:6]
	v_add_f64_e32 v[7:8], v[11:12], v[7:8]
	s_wait_dscnt 0x1
	s_delay_alu instid0(VALU_DEP_2) | instskip(NEXT) | instid1(VALU_DEP_2)
	v_add_f64_e32 v[5:6], v[5:6], v[16:17]
	v_add_f64_e32 v[7:8], v[7:8], v[18:19]
	s_wait_dscnt 0x0
	s_delay_alu instid0(VALU_DEP_2) | instskip(NEXT) | instid1(VALU_DEP_2)
	v_add_f64_e32 v[5:6], v[5:6], v[20:21]
	v_add_f64_e32 v[7:8], v[7:8], v[22:23]
	ds_store_b128 v27, v[5:8]
	s_wait_loadcnt_dscnt 0x0
	s_barrier_signal -1
	s_barrier_wait -1
	global_inv scope:SCOPE_SE
	s_and_saveexec_b32 s5, vcc_lo
	s_cbranch_execz .LBB101_13
; %bb.12:                               ;   in Loop: Header=BB101_7 Depth=1
	ds_load_b128 v[5:8], v27 offset:1024
	ds_load_b128 v[9:12], v27 offset:2048
	ds_load_b128 v[16:19], v27 offset:3072
	ds_load_b128 v[20:23], v27
	s_wait_dscnt 0x2
	v_add_f64_e32 v[5:6], v[9:10], v[5:6]
	v_add_f64_e32 v[7:8], v[11:12], v[7:8]
	s_wait_dscnt 0x1
	s_delay_alu instid0(VALU_DEP_2) | instskip(NEXT) | instid1(VALU_DEP_2)
	v_add_f64_e32 v[5:6], v[5:6], v[16:17]
	v_add_f64_e32 v[7:8], v[7:8], v[18:19]
	s_wait_dscnt 0x0
	s_delay_alu instid0(VALU_DEP_2) | instskip(NEXT) | instid1(VALU_DEP_2)
	v_add_f64_e32 v[5:6], v[5:6], v[20:21]
	v_add_f64_e32 v[7:8], v[7:8], v[22:23]
	ds_store_b128 v27, v[5:8]
.LBB101_13:                             ;   in Loop: Header=BB101_7 Depth=1
	s_wait_alu 0xfffe
	s_or_b32 exec_lo, exec_lo, s5
	s_wait_loadcnt_dscnt 0x0
	s_barrier_signal -1
	s_barrier_wait -1
	global_inv scope:SCOPE_SE
	s_and_saveexec_b32 s5, s2
	s_cbranch_execz .LBB101_15
; %bb.14:                               ;   in Loop: Header=BB101_7 Depth=1
	ds_load_b128 v[5:8], v27 offset:256
	ds_load_b128 v[9:12], v27 offset:512
	ds_load_b128 v[16:19], v27 offset:768
	ds_load_b128 v[20:23], v27
	s_wait_dscnt 0x2
	v_add_f64_e32 v[5:6], v[9:10], v[5:6]
	v_add_f64_e32 v[7:8], v[11:12], v[7:8]
	s_wait_dscnt 0x1
	s_delay_alu instid0(VALU_DEP_2) | instskip(NEXT) | instid1(VALU_DEP_2)
	v_add_f64_e32 v[5:6], v[5:6], v[16:17]
	v_add_f64_e32 v[7:8], v[7:8], v[18:19]
	s_wait_dscnt 0x0
	s_delay_alu instid0(VALU_DEP_2) | instskip(NEXT) | instid1(VALU_DEP_2)
	v_add_f64_e32 v[5:6], v[5:6], v[20:21]
	v_add_f64_e32 v[7:8], v[7:8], v[22:23]
	ds_store_b128 v27, v[5:8]
.LBB101_15:                             ;   in Loop: Header=BB101_7 Depth=1
	s_wait_alu 0xfffe
	s_or_b32 exec_lo, exec_lo, s5
	s_wait_loadcnt_dscnt 0x0
	s_barrier_signal -1
	s_barrier_wait -1
	global_inv scope:SCOPE_SE
	s_and_saveexec_b32 s5, s3
	;; [unrolled: 26-line block ×4, first 2 shown]
	s_cbranch_execz .LBB101_6
; %bb.20:                               ;   in Loop: Header=BB101_7 Depth=1
	ds_load_b128 v[5:8], v15
	v_mov_b32_e32 v13, 0
	v_bfrev_b32_e32 v14, 1
	s_mov_b32 s5, exec_lo
	s_wait_dscnt 0x0
	v_mul_f64_e64 v[9:10], v[7:8], -v[3:4]
	s_delay_alu instid0(VALU_DEP_1)
	v_fma_f64 v[9:10], v[1:2], v[5:6], v[9:10]
.LBB101_21:                             ;   Parent Loop BB101_7 Depth=1
                                        ; =>  This Inner Loop Header: Depth=2
	s_wait_alu 0xfffe
	s_ctz_i32_b32 s25, s5
	s_wait_alu 0xfffe
	s_delay_alu instid0(VALU_DEP_1) | instskip(NEXT) | instid1(VALU_DEP_2)
	v_readlane_b32 s7, v10, s25
	v_readlane_b32 s6, v9, s25
	s_wait_alu 0xf1ff
	s_delay_alu instid0(VALU_DEP_1)
	v_add_f64_e32 v[13:14], s[6:7], v[13:14]
	s_lshl_b32 s6, 1, s25
	s_wait_alu 0xfffe
	s_and_not1_b32 s5, s5, s6
	s_wait_alu 0xfffe
	s_cmp_lg_u32 s5, 0
	s_cbranch_scc1 .LBB101_21
; %bb.22:                               ;   in Loop: Header=BB101_7 Depth=1
	v_mbcnt_lo_u32_b32 v9, exec_lo, 0
	s_lshl_b64 s[6:7], s[22:23], 4
	s_mov_b32 s23, exec_lo
	s_wait_alu 0xfffe
	s_add_nc_u64 s[6:7], s[16:17], s[6:7]
	v_cmpx_eq_u32_e32 0, v9
	s_xor_b32 s23, exec_lo, s23
	s_cbranch_execz .LBB101_26
; %bb.23:                               ;   in Loop: Header=BB101_7 Depth=1
	global_load_b64 v[11:12], v15, s[6:7]
	s_mov_b32 s25, 0
.LBB101_24:                             ;   Parent Loop BB101_7 Depth=1
                                        ; =>  This Inner Loop Header: Depth=2
	s_wait_loadcnt 0x0
	v_add_f64_e32 v[9:10], v[11:12], v[13:14]
	global_atomic_cmpswap_b64 v[9:10], v15, v[9:12], s[6:7] th:TH_ATOMIC_RETURN scope:SCOPE_DEV
	s_wait_loadcnt 0x0
	v_cmp_eq_u64_e64 s5, v[9:10], v[11:12]
	v_dual_mov_b32 v12, v10 :: v_dual_mov_b32 v11, v9
	s_wait_alu 0xfffe
	s_or_b32 s25, s5, s25
	s_wait_alu 0xfffe
	s_and_not1_b32 exec_lo, exec_lo, s25
	s_cbranch_execnz .LBB101_24
; %bb.25:                               ;   in Loop: Header=BB101_7 Depth=1
	s_or_b32 exec_lo, exec_lo, s25
.LBB101_26:                             ;   in Loop: Header=BB101_7 Depth=1
	s_wait_alu 0xfffe
	s_or_b32 exec_lo, exec_lo, s23
	v_mul_f64_e32 v[7:8], v[1:2], v[7:8]
	v_mov_b32_e32 v9, 0
	v_bfrev_b32_e32 v10, 1
	s_mov_b32 s5, exec_lo
	s_delay_alu instid0(VALU_DEP_3)
	v_fma_f64 v[5:6], v[3:4], v[5:6], v[7:8]
.LBB101_27:                             ;   Parent Loop BB101_7 Depth=1
                                        ; =>  This Inner Loop Header: Depth=2
	s_wait_alu 0xfffe
	s_ctz_i32_b32 s23, s5
	s_wait_alu 0xfffe
	s_delay_alu instid0(VALU_DEP_1) | instskip(NEXT) | instid1(VALU_DEP_2)
	v_readlane_b32 s27, v6, s23
	v_readlane_b32 s26, v5, s23
	s_lshl_b32 s23, 1, s23
	s_wait_alu 0xfffe
	s_and_not1_b32 s5, s5, s23
	v_add_f64_e32 v[9:10], s[26:27], v[9:10]
	s_wait_alu 0xfffe
	s_cmp_lg_u32 s5, 0
	s_cbranch_scc1 .LBB101_27
; %bb.28:                               ;   in Loop: Header=BB101_7 Depth=1
	v_mbcnt_lo_u32_b32 v5, exec_lo, 0
	s_mov_b32 s23, exec_lo
	s_delay_alu instid0(VALU_DEP_1)
	v_cmpx_eq_u32_e32 0, v5
	s_wait_alu 0xfffe
	s_xor_b32 s23, exec_lo, s23
	s_cbranch_execz .LBB101_6
; %bb.29:                               ;   in Loop: Header=BB101_7 Depth=1
	global_load_b64 v[7:8], v15, s[6:7] offset:8
	s_mov_b32 s23, 0
.LBB101_30:                             ;   Parent Loop BB101_7 Depth=1
                                        ; =>  This Inner Loop Header: Depth=2
	s_wait_loadcnt 0x0
	v_add_f64_e32 v[5:6], v[7:8], v[9:10]
	global_atomic_cmpswap_b64 v[5:6], v15, v[5:8], s[6:7] offset:8 th:TH_ATOMIC_RETURN scope:SCOPE_DEV
	s_wait_loadcnt 0x0
	v_cmp_eq_u64_e64 s5, v[5:6], v[7:8]
	v_dual_mov_b32 v8, v6 :: v_dual_mov_b32 v7, v5
	s_wait_alu 0xfffe
	s_or_b32 s23, s5, s23
	s_wait_alu 0xfffe
	s_and_not1_b32 exec_lo, exec_lo, s23
	s_cbranch_execnz .LBB101_30
; %bb.31:                               ;   in Loop: Header=BB101_7 Depth=1
	s_or_b32 exec_lo, exec_lo, s23
	s_branch .LBB101_6
.LBB101_32:
	s_ashr_i32 s3, s18, 31
	s_mov_b32 s2, s18
	s_ashr_i32 s5, s19, 31
	s_wait_alu 0xfffe
	s_lshl_b64 s[2:3], s[2:3], 2
	s_mov_b32 s4, s19
	s_wait_alu 0xfffe
	s_add_nc_u64 s[2:3], s[8:9], s[2:3]
	s_lshl_b64 s[4:5], s[4:5], 2
	s_load_b32 s6, s[2:3], 0x0
	s_add_nc_u64 s[2:3], s[8:9], s[4:5]
	s_mov_b32 s4, exec_lo
	s_load_b32 s2, s[2:3], 0x0
	s_wait_kmcnt 0x0
	v_add_nc_u32_e32 v13, s6, v28
	s_sub_co_i32 s3, s2, s20
	s_wait_alu 0xfffe
	s_delay_alu instid0(VALU_DEP_1)
	v_cmpx_gt_i32_e64 s3, v13
	s_cbranch_execz .LBB101_44
; %bb.33:
	v_mul_f64_e32 v[15:16], 0x80000000, v[3:4]
	v_mul_f64_e32 v[17:18], 0, v[1:2]
	s_add_co_i32 s5, s19, -1
	s_mov_b32 s7, 0
	s_wait_alu 0xfffe
	s_cmp_lt_i32 s18, s5
	s_cselect_b32 s2, -1, 0
	s_add_co_i32 s6, s19, -2
	s_wait_alu 0xfffe
	s_cmp_lg_u32 s18, s6
	s_cselect_b32 s6, -1, 0
	s_wait_alu 0xfffe
	s_and_b32 s6, s2, s6
	s_branch .LBB101_35
.LBB101_34:                             ;   in Loop: Header=BB101_35 Depth=1
	s_wait_alu 0xfffe
	s_or_b32 exec_lo, exec_lo, s2
	v_add_nc_u32_e32 v13, 0x100, v13
	s_delay_alu instid0(VALU_DEP_1)
	v_cmp_le_i32_e32 vcc_lo, s3, v13
	s_or_b32 s7, vcc_lo, s7
	s_wait_alu 0xfffe
	s_and_not1_b32 exec_lo, exec_lo, s7
	s_cbranch_execz .LBB101_44
.LBB101_35:                             ; =>This Loop Header: Depth=1
                                        ;     Child Loop BB101_37 Depth 2
                                        ;     Child Loop BB101_41 Depth 2
                                        ;     Child Loop BB101_43 Depth 2
	v_mov_b32_e32 v7, s18
	v_mov_b32_e32 v5, s5
	s_wait_alu 0xfffe
	s_and_not1_b32 vcc_lo, exec_lo, s6
	s_wait_alu 0xfffe
	s_cbranch_vccnz .LBB101_39
; %bb.36:                               ;   in Loop: Header=BB101_35 Depth=1
	v_mov_b32_e32 v7, s18
	v_mov_b32_e32 v5, s5
	s_mov_b32 s22, 0
.LBB101_37:                             ;   Parent Loop BB101_35 Depth=1
                                        ; =>  This Inner Loop Header: Depth=2
	s_delay_alu instid0(VALU_DEP_1) | instskip(NEXT) | instid1(VALU_DEP_1)
	v_add_nc_u32_e32 v6, v5, v7
	v_lshrrev_b32_e32 v8, 31, v6
	s_delay_alu instid0(VALU_DEP_1) | instskip(NEXT) | instid1(VALU_DEP_1)
	v_add_nc_u32_e32 v6, v6, v8
	v_ashrrev_i32_e32 v8, 1, v6
	s_delay_alu instid0(VALU_DEP_1) | instskip(NEXT) | instid1(VALU_DEP_1)
	v_ashrrev_i32_e32 v9, 31, v8
	v_lshlrev_b64_e32 v[9:10], 2, v[8:9]
	s_delay_alu instid0(VALU_DEP_1) | instskip(SKIP_1) | instid1(VALU_DEP_2)
	v_add_co_u32 v9, vcc_lo, s8, v9
	s_wait_alu 0xfffd
	v_add_co_ci_u32_e64 v10, null, s9, v10, vcc_lo
	global_load_b32 v6, v[9:10], off
	s_wait_loadcnt 0x0
	v_subrev_nc_u32_e32 v6, s20, v6
	s_delay_alu instid0(VALU_DEP_1) | instskip(SKIP_2) | instid1(VALU_DEP_1)
	v_cmp_lt_i32_e32 vcc_lo, v13, v6
	s_wait_alu 0xfffd
	v_cndmask_b32_e32 v5, v5, v8, vcc_lo
	v_dual_cndmask_b32 v7, v8, v7 :: v_dual_add_nc_u32 v6, -1, v5
	s_delay_alu instid0(VALU_DEP_1) | instskip(NEXT) | instid1(VALU_DEP_2)
	v_cmp_ge_i32_e32 vcc_lo, v7, v5
	v_cmp_eq_u32_e64 s2, v7, v6
	s_or_b32 s2, vcc_lo, s2
	s_wait_alu 0xfffe
	s_and_b32 s2, exec_lo, s2
	s_wait_alu 0xfffe
	s_or_b32 s22, s2, s22
	s_wait_alu 0xfffe
	s_and_not1_b32 exec_lo, exec_lo, s22
	s_cbranch_execnz .LBB101_37
; %bb.38:                               ;   in Loop: Header=BB101_35 Depth=1
	s_or_b32 exec_lo, exec_lo, s22
.LBB101_39:                             ;   in Loop: Header=BB101_35 Depth=1
	v_ashrrev_i32_e32 v6, 31, v5
	v_ashrrev_i32_e32 v14, 31, v13
	s_mov_b32 s2, exec_lo
	s_delay_alu instid0(VALU_DEP_2) | instskip(NEXT) | instid1(VALU_DEP_2)
	v_lshlrev_b64_e32 v[8:9], 2, v[5:6]
	v_lshlrev_b64_e32 v[10:11], 2, v[13:14]
	s_delay_alu instid0(VALU_DEP_2) | instskip(SKIP_1) | instid1(VALU_DEP_3)
	v_add_co_u32 v8, vcc_lo, s8, v8
	s_wait_alu 0xfffd
	v_add_co_ci_u32_e64 v9, null, s9, v9, vcc_lo
	global_load_b32 v6, v[8:9], off
	v_add_co_u32 v8, vcc_lo, s10, v10
	s_wait_alu 0xfffd
	v_add_co_ci_u32_e64 v9, null, s11, v11, vcc_lo
	global_load_b32 v8, v[8:9], off
	s_wait_loadcnt 0x1
	v_subrev_nc_u32_e32 v6, s20, v6
	s_delay_alu instid0(VALU_DEP_1) | instskip(SKIP_4) | instid1(VALU_DEP_1)
	v_cmp_lt_i32_e32 vcc_lo, v13, v6
	s_wait_loadcnt 0x0
	v_subrev_nc_u32_e32 v9, s20, v8
	s_wait_alu 0xfffd
	v_cndmask_b32_e32 v5, v5, v7, vcc_lo
	v_cmpx_ne_u32_e64 v9, v5
	s_cbranch_execz .LBB101_34
; %bb.40:                               ;   in Loop: Header=BB101_35 Depth=1
	v_lshlrev_b64_e32 v[6:7], 3, v[13:14]
	v_ashrrev_i32_e32 v10, 31, v9
	s_mov_b32 s22, 0
	s_delay_alu instid0(VALU_DEP_1) | instskip(NEXT) | instid1(VALU_DEP_3)
	v_lshlrev_b64_e32 v[9:10], 4, v[9:10]
	v_add_co_u32 v6, vcc_lo, s12, v6
	s_wait_alu 0xfffd
	v_add_co_ci_u32_e64 v7, null, s13, v7, vcc_lo
	global_load_b64 v[23:24], v[6:7], off
	v_ashrrev_i32_e32 v6, 31, v5
	s_delay_alu instid0(VALU_DEP_1) | instskip(NEXT) | instid1(VALU_DEP_1)
	v_lshlrev_b64_e32 v[5:6], 4, v[5:6]
	v_add_co_u32 v5, vcc_lo, s14, v5
	s_wait_alu 0xfffd
	s_delay_alu instid0(VALU_DEP_2)
	v_add_co_ci_u32_e64 v6, null, s15, v6, vcc_lo
	v_add_co_u32 v19, vcc_lo, s16, v9
	s_wait_alu 0xfffd
	v_add_co_ci_u32_e64 v20, null, s17, v10, vcc_lo
	global_load_b128 v[5:8], v[5:6], off
	global_load_b64 v[11:12], v[19:20], off
	s_wait_loadcnt 0x2
	v_fma_f64 v[21:22], v[3:4], v[23:24], v[17:18]
	v_fma_f64 v[23:24], v[1:2], v[23:24], v[15:16]
	s_wait_loadcnt 0x1
	s_delay_alu instid0(VALU_DEP_2) | instskip(NEXT) | instid1(VALU_DEP_1)
	v_mul_f64_e64 v[9:10], v[7:8], -v[21:22]
	v_fma_f64 v[25:26], v[23:24], v[5:6], v[9:10]
.LBB101_41:                             ;   Parent Loop BB101_35 Depth=1
                                        ; =>  This Inner Loop Header: Depth=2
	s_wait_loadcnt 0x0
	s_delay_alu instid0(VALU_DEP_1)
	v_add_f64_e32 v[9:10], v[11:12], v[25:26]
	global_atomic_cmpswap_b64 v[9:10], v[19:20], v[9:12], off th:TH_ATOMIC_RETURN scope:SCOPE_DEV
	s_wait_loadcnt 0x0
	v_cmp_eq_u64_e32 vcc_lo, v[9:10], v[11:12]
	v_dual_mov_b32 v12, v10 :: v_dual_mov_b32 v11, v9
	s_wait_alu 0xfffe
	s_or_b32 s22, vcc_lo, s22
	s_wait_alu 0xfffe
	s_and_not1_b32 exec_lo, exec_lo, s22
	s_cbranch_execnz .LBB101_41
; %bb.42:                               ;   in Loop: Header=BB101_35 Depth=1
	s_or_b32 exec_lo, exec_lo, s22
	global_load_b64 v[9:10], v[19:20], off offset:8
	v_mul_f64_e32 v[7:8], v[23:24], v[7:8]
	s_mov_b32 s22, 0
	s_delay_alu instid0(VALU_DEP_1)
	v_fma_f64 v[5:6], v[21:22], v[5:6], v[7:8]
.LBB101_43:                             ;   Parent Loop BB101_35 Depth=1
                                        ; =>  This Inner Loop Header: Depth=2
	s_wait_loadcnt 0x0
	s_delay_alu instid0(VALU_DEP_1)
	v_add_f64_e32 v[7:8], v[9:10], v[5:6]
	global_atomic_cmpswap_b64 v[7:8], v[19:20], v[7:10], off offset:8 th:TH_ATOMIC_RETURN scope:SCOPE_DEV
	s_wait_loadcnt 0x0
	v_cmp_eq_u64_e32 vcc_lo, v[7:8], v[9:10]
	v_dual_mov_b32 v10, v8 :: v_dual_mov_b32 v9, v7
	s_wait_alu 0xfffe
	s_or_b32 s22, vcc_lo, s22
	s_wait_alu 0xfffe
	s_and_not1_b32 exec_lo, exec_lo, s22
	s_cbranch_execnz .LBB101_43
	s_branch .LBB101_34
.LBB101_44:
	s_or_b32 exec_lo, exec_lo, s4
	s_mov_b32 s2, 0
.LBB101_45:
	s_wait_alu 0xfffe
	s_and_b32 vcc_lo, exec_lo, s2
	s_wait_alu 0xfffe
	s_cbranch_vccz .LBB101_203
; %bb.46:
	s_ashr_i32 s3, s18, 31
	s_mov_b32 s2, s18
	s_cvt_f32_u32 s4, s21
	s_wait_alu 0xfffe
	s_lshl_b64 s[2:3], s[2:3], 2
	s_mov_b32 s5, 0
	s_wait_alu 0xfffe
	s_add_nc_u64 s[2:3], s[8:9], s[2:3]
	v_rcp_iflag_f32_e32 v5, s4
	s_load_b32 s24, s[2:3], 0x0
	s_clause 0x1
	s_load_b64 s[6:7], s[0:1], 0x4
	s_load_b32 s1, s[0:1], 0x74
	s_delay_alu instid0(TRANS32_DEP_1) | instskip(SKIP_1) | instid1(SALU_CYCLE_3)
	v_readfirstlane_b32 s0, v5
	s_mul_f32 s0, s0, 0x4f7ffffe
	s_cvt_u32_f32 s22, s0
	s_sub_co_i32 s0, 0, s21
	s_wait_kmcnt 0x0
	v_add_nc_u32_e32 v9, s24, v28
	s_wait_alu 0xfffe
	s_mul_i32 s0, s0, s22
	s_delay_alu instid0(VALU_DEP_1) | instskip(NEXT) | instid1(VALU_DEP_1)
	v_add_nc_u32_e32 v20, 0x300, v9
	v_cmp_le_i32_e32 vcc_lo, s6, v20
	s_mul_hi_u32 s6, s22, s0
	s_and_saveexec_b32 s0, vcc_lo
	s_delay_alu instid0(SALU_CYCLE_1)
	s_xor_b32 s4, exec_lo, s0
	s_cbranch_execz .LBB101_51
; %bb.47:
	s_ashr_i32 s27, s19, 31
	s_mov_b32 s26, s19
	s_mov_b32 s25, exec_lo
	s_wait_alu 0xfffe
	s_lshl_b64 s[26:27], s[26:27], 2
	s_wait_alu 0xfffe
	s_add_nc_u64 s[26:27], s[8:9], s[26:27]
	s_load_b32 s0, s[26:27], 0x0
	s_wait_kmcnt 0x0
	s_sub_co_i32 s23, s0, s24
	s_wait_alu 0xfffe
	v_cmpx_gt_i32_e64 s23, v0
	s_cbranch_execz .LBB101_50
; %bb.48:
	v_mul_f64_e32 v[5:6], 0x80000000, v[3:4]
	v_mul_f64_e32 v[7:8], 0, v[1:2]
	v_dual_mov_b32 v10, v27 :: v_dual_mov_b32 v11, v0
	s_sub_co_i32 s26, s24, s20
	s_mov_b32 s27, 0
.LBB101_49:                             ; =>This Inner Loop Header: Depth=1
	s_wait_alu 0xfffe
	s_delay_alu instid0(VALU_DEP_1) | instskip(SKIP_1) | instid1(VALU_DEP_2)
	v_add_nc_u32_e32 v12, s26, v11
	v_add_nc_u32_e32 v11, 0x100, v11
	v_ashrrev_i32_e32 v13, 31, v12
	s_delay_alu instid0(VALU_DEP_1) | instskip(NEXT) | instid1(VALU_DEP_1)
	v_lshlrev_b64_e32 v[12:13], 3, v[12:13]
	v_add_co_u32 v12, s0, s12, v12
	s_wait_alu 0xf1ff
	s_delay_alu instid0(VALU_DEP_2)
	v_add_co_ci_u32_e64 v13, null, s13, v13, s0
	v_cmp_le_i32_e64 s0, s23, v11
	global_load_b64 v[14:15], v[12:13], off
	s_or_b32 s27, s0, s27
	s_wait_loadcnt 0x0
	v_fma_f64 v[12:13], v[1:2], v[14:15], v[5:6]
	v_fma_f64 v[14:15], v[3:4], v[14:15], v[7:8]
	ds_store_b128 v10, v[12:15]
	v_add_nc_u32_e32 v10, 0x1000, v10
	s_wait_alu 0xfffe
	s_and_not1_b32 exec_lo, exec_lo, s27
	s_cbranch_execnz .LBB101_49
.LBB101_50:
	s_or_b32 exec_lo, exec_lo, s25
                                        ; implicit-def: $vgpr3_vgpr4
.LBB101_51:
	s_wait_alu 0xfffe
	s_or_saveexec_b32 s23, s4
	v_ashrrev_i32_e32 v10, 31, v9
	s_and_b32 s4, s1, 0xffff
	s_add_co_i32 s22, s22, s6
	s_wait_alu 0xfffe
	s_xor_b32 exec_lo, exec_lo, s23
	s_cbranch_execz .LBB101_53
; %bb.52:
	v_lshlrev_b64_e32 v[5:6], 3, v[9:10]
	v_mul_f64_e32 v[23:24], 0x80000000, v[3:4]
	v_mul_f64_e32 v[25:26], 0, v[1:2]
	s_delay_alu instid0(VALU_DEP_3) | instskip(SKIP_1) | instid1(VALU_DEP_4)
	v_add_co_u32 v5, s0, s12, v5
	s_wait_alu 0xf1ff
	v_add_co_ci_u32_e64 v6, null, s13, v6, s0
	s_clause 0x3
	global_load_b64 v[7:8], v[5:6], off
	global_load_b64 v[13:14], v[5:6], off offset:2048
	global_load_b64 v[17:18], v[5:6], off offset:4096
	;; [unrolled: 1-line block ×3, first 2 shown]
	s_wait_loadcnt 0x3
	v_fma_f64 v[5:6], v[1:2], v[7:8], v[23:24]
	v_fma_f64 v[7:8], v[3:4], v[7:8], v[25:26]
	s_wait_loadcnt 0x2
	v_fma_f64 v[11:12], v[1:2], v[13:14], v[23:24]
	v_fma_f64 v[13:14], v[3:4], v[13:14], v[25:26]
	;; [unrolled: 3-line block ×4, first 2 shown]
	ds_store_b128 v27, v[5:8]
	ds_store_b128 v27, v[11:14] offset:4096
	ds_store_b128 v27, v[15:18] offset:8192
	;; [unrolled: 1-line block ×3, first 2 shown]
.LBB101_53:
	s_or_b32 exec_lo, exec_lo, s23
	s_mov_b32 s23, s5
	s_mov_b32 s1, exec_lo
	v_cmpx_gt_i32_e64 s7, v0
	s_cbranch_execz .LBB101_56
; %bb.54:
	s_mov_b32 s12, 0
	v_lshl_add_u32 v5, v0, 4, 0x4000
	s_wait_alu 0xfffe
	s_mov_b32 s13, s12
	s_mov_b32 s26, s12
	;; [unrolled: 1-line block ×3, first 2 shown]
	s_wait_alu 0xfffe
	v_dual_mov_b32 v1, s12 :: v_dual_mov_b32 v2, s13
	v_dual_mov_b32 v3, s26 :: v_dual_mov_b32 v4, s27
	v_mov_b32_e32 v6, v0
.LBB101_55:                             ; =>This Inner Loop Header: Depth=1
	s_delay_alu instid0(VALU_DEP_1)
	v_add_nc_u32_e32 v6, 0x100, v6
	ds_store_2addr_b64 v5, v[1:2], v[3:4] offset1:1
	v_add_nc_u32_e32 v5, 0x1000, v5
	v_cmp_le_i32_e64 s0, s7, v6
	s_or_b32 s12, s0, s12
	s_wait_alu 0xfffe
	s_and_not1_b32 exec_lo, exec_lo, s12
	s_cbranch_execnz .LBB101_55
.LBB101_56:
	s_wait_alu 0xfffe
	s_or_b32 exec_lo, exec_lo, s1
	s_mul_u64 s[0:1], s[4:5], s[22:23]
	s_sub_co_i32 s0, s19, s7
	s_cmp_ge_i32 s19, s7
	s_wait_loadcnt_dscnt 0x0
	s_wait_alu 0xfffe
	s_cselect_b32 s5, s0, 0
	s_barrier_signal -1
	s_barrier_wait -1
	global_inv scope:SCOPE_SE
	s_and_saveexec_b32 s0, vcc_lo
	s_wait_alu 0xfffe
	s_xor_b32 s6, exec_lo, s0
	s_cbranch_execz .LBB101_81
; %bb.57:
	s_ashr_i32 s13, s19, 31
	s_mov_b32 s12, s19
	s_wait_alu 0xfffe
	s_lshl_b64 s[12:13], s[12:13], 2
	s_wait_alu 0xfffe
	s_add_nc_u64 s[12:13], s[8:9], s[12:13]
	s_load_b32 s0, s[12:13], 0x0
	s_mov_b32 s13, exec_lo
	s_wait_kmcnt 0x0
	s_sub_co_i32 s12, s0, s24
	s_wait_alu 0xfffe
	v_cmpx_gt_i32_e64 s12, v0
	s_cbranch_execz .LBB101_80
; %bb.58:
	s_add_co_i32 s23, s19, -2
	s_add_co_i32 s22, s19, -1
	s_wait_alu 0xfffe
	s_cmp_lg_u32 s18, s23
	s_mov_b32 s26, 0
	s_cselect_b32 s23, -1, 0
	s_sub_co_i32 s25, s0, s20
	s_mov_b32 s27, 0
	s_branch .LBB101_61
.LBB101_59:                             ;   in Loop: Header=BB101_61 Depth=1
	s_wait_alu 0xfffe
	s_or_b32 exec_lo, exec_lo, s0
	v_xor_b32_e32 v6, 0x80000000, v4
	v_mov_b32_e32 v5, v3
.LBB101_60:                             ;   in Loop: Header=BB101_61 Depth=1
	s_or_b32 exec_lo, exec_lo, s28
	v_ashrrev_i32_e32 v11, 31, v10
	s_addk_co_i32 s27, 0x100
	s_delay_alu instid0(VALU_DEP_1) | instskip(NEXT) | instid1(VALU_DEP_1)
	v_lshlrev_b64_e32 v[7:8], 4, v[10:11]
	v_add_co_u32 v7, vcc_lo, s14, v7
	s_wait_alu 0xfffd
	s_delay_alu instid0(VALU_DEP_2) | instskip(SKIP_4) | instid1(VALU_DEP_2)
	v_add_co_ci_u32_e64 v8, null, s15, v8, vcc_lo
	global_load_b128 v[10:13], v[7:8], off
	s_wait_loadcnt 0x0
	v_mul_f64_e32 v[5:6], v[12:13], v[5:6]
	v_mul_f64_e32 v[7:8], v[12:13], v[1:2]
	v_fma_f64 v[1:2], v[1:2], v[10:11], v[5:6]
	s_delay_alu instid0(VALU_DEP_2) | instskip(SKIP_2) | instid1(VALU_DEP_1)
	v_fma_f64 v[3:4], v[3:4], v[10:11], v[7:8]
	s_wait_alu 0xfffe
	v_add_nc_u32_e32 v5, s27, v0
	v_cmp_le_i32_e32 vcc_lo, s12, v5
	s_or_b32 s26, vcc_lo, s26
	ds_store_b128 v18, v[1:4]
	s_wait_alu 0xfffe
	s_and_not1_b32 exec_lo, exec_lo, s26
	s_cbranch_execz .LBB101_80
.LBB101_61:                             ; =>This Loop Header: Depth=1
                                        ;     Child Loop BB101_63 Depth 2
                                        ;     Child Loop BB101_70 Depth 2
	;; [unrolled: 1-line block ×5, first 2 shown]
	s_wait_alu 0xfffe
	v_add_nc_u32_e32 v1, s27, v9
	v_mov_b32_e32 v5, s18
	v_mov_b32_e32 v3, s22
	s_and_not1_b32 vcc_lo, exec_lo, s23
	s_wait_alu 0xfffe
	s_cbranch_vccnz .LBB101_65
; %bb.62:                               ;   in Loop: Header=BB101_61 Depth=1
	v_mov_b32_e32 v5, s18
	v_mov_b32_e32 v3, s22
	s_mov_b32 s28, 0
.LBB101_63:                             ;   Parent Loop BB101_61 Depth=1
                                        ; =>  This Inner Loop Header: Depth=2
	s_delay_alu instid0(VALU_DEP_1) | instskip(NEXT) | instid1(VALU_DEP_1)
	v_add_nc_u32_e32 v2, v3, v5
	v_lshrrev_b32_e32 v4, 31, v2
	s_delay_alu instid0(VALU_DEP_1) | instskip(NEXT) | instid1(VALU_DEP_1)
	v_add_nc_u32_e32 v2, v2, v4
	v_ashrrev_i32_e32 v6, 1, v2
	s_delay_alu instid0(VALU_DEP_1) | instskip(NEXT) | instid1(VALU_DEP_1)
	v_ashrrev_i32_e32 v7, 31, v6
	v_lshlrev_b64_e32 v[7:8], 2, v[6:7]
	s_delay_alu instid0(VALU_DEP_1) | instskip(SKIP_1) | instid1(VALU_DEP_2)
	v_add_co_u32 v7, vcc_lo, s8, v7
	s_wait_alu 0xfffd
	v_add_co_ci_u32_e64 v8, null, s9, v8, vcc_lo
	global_load_b32 v2, v[7:8], off
	s_wait_loadcnt 0x0
	v_subrev_nc_u32_e32 v2, s20, v2
	s_delay_alu instid0(VALU_DEP_1) | instskip(SKIP_2) | instid1(VALU_DEP_1)
	v_cmp_lt_i32_e32 vcc_lo, v1, v2
	s_wait_alu 0xfffd
	v_cndmask_b32_e32 v3, v3, v6, vcc_lo
	v_dual_cndmask_b32 v5, v6, v5 :: v_dual_add_nc_u32 v2, -1, v3
	s_delay_alu instid0(VALU_DEP_1) | instskip(NEXT) | instid1(VALU_DEP_2)
	v_cmp_ge_i32_e32 vcc_lo, v5, v3
	v_cmp_eq_u32_e64 s0, v5, v2
	s_or_b32 s0, vcc_lo, s0
	s_wait_alu 0xfffe
	s_and_b32 s0, exec_lo, s0
	s_wait_alu 0xfffe
	s_or_b32 s28, s0, s28
	s_delay_alu instid0(SALU_CYCLE_1)
	s_and_not1_b32 exec_lo, exec_lo, s28
	s_cbranch_execnz .LBB101_63
; %bb.64:                               ;   in Loop: Header=BB101_61 Depth=1
	s_or_b32 exec_lo, exec_lo, s28
.LBB101_65:                             ;   in Loop: Header=BB101_61 Depth=1
	s_delay_alu instid0(VALU_DEP_1) | instskip(SKIP_3) | instid1(VALU_DEP_4)
	v_ashrrev_i32_e32 v4, 31, v3
	v_ashrrev_i32_e32 v2, 31, v1
	v_cmp_le_i32_e64 s0, s25, v1
	v_lshl_add_u32 v18, s27, 4, v27
	v_lshlrev_b64_e32 v[6:7], 2, v[3:4]
	s_delay_alu instid0(VALU_DEP_4) | instskip(NEXT) | instid1(VALU_DEP_2)
	v_lshlrev_b64_e32 v[10:11], 2, v[1:2]
	v_add_co_u32 v6, vcc_lo, s8, v6
	s_wait_alu 0xfffd
	s_delay_alu instid0(VALU_DEP_3) | instskip(NEXT) | instid1(VALU_DEP_3)
	v_add_co_ci_u32_e64 v7, null, s9, v7, vcc_lo
	v_add_co_u32 v10, vcc_lo, s10, v10
	s_wait_alu 0xfffd
	v_add_co_ci_u32_e64 v11, null, s11, v11, vcc_lo
	global_load_b32 v2, v[6:7], off
	global_load_b32 v4, v[10:11], off
	s_wait_loadcnt 0x1
	v_subrev_nc_u32_e32 v2, s20, v2
	s_wait_loadcnt 0x0
	v_subrev_nc_u32_e32 v10, s20, v4
	s_delay_alu instid0(VALU_DEP_2) | instskip(SKIP_2) | instid1(VALU_DEP_1)
	v_cmp_lt_i32_e32 vcc_lo, v1, v2
	s_wait_alu 0xfffd
	v_cndmask_b32_e32 v7, v3, v5, vcc_lo
                                        ; implicit-def: $vgpr1_vgpr2
                                        ; implicit-def: $vgpr5_vgpr6
	v_cmp_eq_u32_e32 vcc_lo, v10, v7
	s_or_b32 s0, vcc_lo, s0
	s_wait_alu 0xfffe
	s_and_saveexec_b32 s28, s0
	s_delay_alu instid0(SALU_CYCLE_1)
	s_xor_b32 s0, exec_lo, s28
	s_cbranch_execz .LBB101_67
; %bb.66:                               ;   in Loop: Header=BB101_61 Depth=1
	ds_load_b128 v[1:4], v18
                                        ; implicit-def: $vgpr7
	s_wait_dscnt 0x0
	v_xor_b32_e32 v6, 0x80000000, v4
	v_mov_b32_e32 v5, v3
.LBB101_67:                             ;   in Loop: Header=BB101_61 Depth=1
	s_wait_alu 0xfffe
	s_and_not1_saveexec_b32 s28, s0
	s_cbranch_execz .LBB101_60
; %bb.68:                               ;   in Loop: Header=BB101_61 Depth=1
	v_ashrrev_i32_e32 v8, 31, v7
	v_cmp_le_i32_e64 s0, s19, v10
	s_delay_alu instid0(VALU_DEP_2) | instskip(NEXT) | instid1(VALU_DEP_1)
	v_lshlrev_b64_e32 v[1:2], 4, v[7:8]
	v_add_co_u32 v1, vcc_lo, s14, v1
	s_wait_alu 0xfffd
	s_delay_alu instid0(VALU_DEP_2)
	v_add_co_ci_u32_e64 v2, null, s15, v2, vcc_lo
	v_cmp_gt_i32_e32 vcc_lo, s5, v10
	global_load_b128 v[5:8], v[1:2], off
	ds_load_b128 v[1:4], v18
	s_or_b32 s0, vcc_lo, s0
	s_wait_loadcnt_dscnt 0x0
	v_mul_f64_e64 v[11:12], v[7:8], -v[3:4]
	v_mul_f64_e32 v[7:8], v[7:8], v[1:2]
	s_delay_alu instid0(VALU_DEP_2) | instskip(NEXT) | instid1(VALU_DEP_2)
	v_fma_f64 v[14:15], v[1:2], v[5:6], v[11:12]
	v_fma_f64 v[12:13], v[3:4], v[5:6], v[7:8]
	s_wait_alu 0xfffe
	s_and_saveexec_b32 s29, s0
	s_delay_alu instid0(SALU_CYCLE_1)
	s_xor_b32 s0, exec_lo, s29
	s_cbranch_execz .LBB101_74
; %bb.69:                               ;   in Loop: Header=BB101_61 Depth=1
	v_ashrrev_i32_e32 v11, 31, v10
	s_mov_b32 s29, 0
	s_delay_alu instid0(VALU_DEP_1) | instskip(NEXT) | instid1(VALU_DEP_1)
	v_lshlrev_b64_e32 v[5:6], 4, v[10:11]
	v_add_co_u32 v16, vcc_lo, s16, v5
	s_wait_alu 0xfffd
	s_delay_alu instid0(VALU_DEP_2)
	v_add_co_ci_u32_e64 v17, null, s17, v6, vcc_lo
	global_load_b64 v[7:8], v[16:17], off
.LBB101_70:                             ;   Parent Loop BB101_61 Depth=1
                                        ; =>  This Inner Loop Header: Depth=2
	s_wait_loadcnt 0x0
	v_add_f64_e32 v[5:6], v[7:8], v[14:15]
	global_atomic_cmpswap_b64 v[5:6], v[16:17], v[5:8], off th:TH_ATOMIC_RETURN scope:SCOPE_DEV
	s_wait_loadcnt 0x0
	v_cmp_eq_u64_e32 vcc_lo, v[5:6], v[7:8]
	v_dual_mov_b32 v8, v6 :: v_dual_mov_b32 v7, v5
	s_or_b32 s29, vcc_lo, s29
	s_delay_alu instid0(SALU_CYCLE_1)
	s_and_not1_b32 exec_lo, exec_lo, s29
	s_cbranch_execnz .LBB101_70
; %bb.71:                               ;   in Loop: Header=BB101_61 Depth=1
	s_or_b32 exec_lo, exec_lo, s29
	global_load_b64 v[7:8], v[16:17], off offset:8
	s_mov_b32 s29, 0
.LBB101_72:                             ;   Parent Loop BB101_61 Depth=1
                                        ; =>  This Inner Loop Header: Depth=2
	s_wait_loadcnt 0x0
	v_add_f64_e32 v[5:6], v[7:8], v[12:13]
	global_atomic_cmpswap_b64 v[5:6], v[16:17], v[5:8], off offset:8 th:TH_ATOMIC_RETURN scope:SCOPE_DEV
	s_wait_loadcnt 0x0
	v_cmp_eq_u64_e32 vcc_lo, v[5:6], v[7:8]
	v_dual_mov_b32 v8, v6 :: v_dual_mov_b32 v7, v5
	s_or_b32 s29, vcc_lo, s29
	s_delay_alu instid0(SALU_CYCLE_1)
	s_and_not1_b32 exec_lo, exec_lo, s29
	s_cbranch_execnz .LBB101_72
; %bb.73:                               ;   in Loop: Header=BB101_61 Depth=1
	s_or_b32 exec_lo, exec_lo, s29
                                        ; implicit-def: $vgpr12_vgpr13
                                        ; implicit-def: $vgpr14_vgpr15
.LBB101_74:                             ;   in Loop: Header=BB101_61 Depth=1
	s_wait_alu 0xfffe
	s_and_not1_saveexec_b32 s0, s0
	s_cbranch_execz .LBB101_59
; %bb.75:                               ;   in Loop: Header=BB101_61 Depth=1
	v_subrev_nc_u32_e32 v5, s5, v10
	s_mov_b32 s29, 0
	s_delay_alu instid0(VALU_DEP_1)
	v_lshl_add_u32 v7, v5, 4, 0x4000
	ds_load_b64 v[5:6], v7
.LBB101_76:                             ;   Parent Loop BB101_61 Depth=1
                                        ; =>  This Inner Loop Header: Depth=2
	s_wait_dscnt 0x0
	v_add_f64_e32 v[16:17], v[5:6], v[14:15]
	ds_cmpstore_rtn_b64 v[16:17], v7, v[16:17], v[5:6]
	s_wait_dscnt 0x0
	v_cmp_eq_u64_e32 vcc_lo, v[16:17], v[5:6]
	v_dual_mov_b32 v5, v16 :: v_dual_mov_b32 v6, v17
	s_or_b32 s29, vcc_lo, s29
	s_delay_alu instid0(SALU_CYCLE_1)
	s_and_not1_b32 exec_lo, exec_lo, s29
	s_cbranch_execnz .LBB101_76
; %bb.77:                               ;   in Loop: Header=BB101_61 Depth=1
	s_or_b32 exec_lo, exec_lo, s29
	ds_load_b64 v[5:6], v7 offset:8
	s_mov_b32 s29, 0
.LBB101_78:                             ;   Parent Loop BB101_61 Depth=1
                                        ; =>  This Inner Loop Header: Depth=2
	s_wait_dscnt 0x0
	v_add_f64_e32 v[14:15], v[5:6], v[12:13]
	ds_cmpstore_rtn_b64 v[14:15], v7, v[14:15], v[5:6] offset:8
	s_wait_dscnt 0x0
	v_cmp_eq_u64_e32 vcc_lo, v[14:15], v[5:6]
	v_dual_mov_b32 v5, v14 :: v_dual_mov_b32 v6, v15
	s_or_b32 s29, vcc_lo, s29
	s_delay_alu instid0(SALU_CYCLE_1)
	s_and_not1_b32 exec_lo, exec_lo, s29
	s_cbranch_execnz .LBB101_78
; %bb.79:                               ;   in Loop: Header=BB101_61 Depth=1
	s_or_b32 exec_lo, exec_lo, s29
	s_branch .LBB101_59
.LBB101_80:
	s_or_b32 exec_lo, exec_lo, s13
                                        ; implicit-def: $vgpr20
                                        ; implicit-def: $vgpr9
.LBB101_81:
	s_wait_alu 0xfffe
	s_and_not1_saveexec_b32 s6, s6
	s_cbranch_execz .LBB101_167
; %bb.82:
	s_add_co_i32 s12, s19, -1
	s_add_co_i32 s0, s19, -2
	v_mov_b32_e32 v3, s18
	s_wait_alu 0xfffe
	v_mov_b32_e32 v1, s12
	s_cmp_lg_u32 s18, s0
	s_cselect_b32 s13, -1, 0
	s_cmp_eq_u32 s18, s0
	s_cbranch_scc1 .LBB101_86
; %bb.83:
	v_mov_b32_e32 v3, s18
	v_mov_b32_e32 v1, s12
	s_mov_b32 s22, 0
.LBB101_84:                             ; =>This Inner Loop Header: Depth=1
	s_delay_alu instid0(VALU_DEP_1) | instskip(NEXT) | instid1(VALU_DEP_1)
	v_add_nc_u32_e32 v2, v1, v3
	v_lshrrev_b32_e32 v4, 31, v2
	s_delay_alu instid0(VALU_DEP_1) | instskip(NEXT) | instid1(VALU_DEP_1)
	v_add_nc_u32_e32 v2, v2, v4
	v_ashrrev_i32_e32 v4, 1, v2
	s_delay_alu instid0(VALU_DEP_1) | instskip(NEXT) | instid1(VALU_DEP_1)
	v_ashrrev_i32_e32 v5, 31, v4
	v_lshlrev_b64_e32 v[5:6], 2, v[4:5]
	s_delay_alu instid0(VALU_DEP_1) | instskip(SKIP_1) | instid1(VALU_DEP_2)
	v_add_co_u32 v5, vcc_lo, s8, v5
	s_wait_alu 0xfffd
	v_add_co_ci_u32_e64 v6, null, s9, v6, vcc_lo
	global_load_b32 v2, v[5:6], off
	s_wait_loadcnt 0x0
	v_subrev_nc_u32_e32 v2, s20, v2
	s_delay_alu instid0(VALU_DEP_1) | instskip(SKIP_2) | instid1(VALU_DEP_1)
	v_cmp_lt_i32_e32 vcc_lo, v9, v2
	s_wait_alu 0xfffd
	v_cndmask_b32_e32 v1, v1, v4, vcc_lo
	v_dual_cndmask_b32 v3, v4, v3 :: v_dual_add_nc_u32 v2, -1, v1
	s_delay_alu instid0(VALU_DEP_1) | instskip(NEXT) | instid1(VALU_DEP_2)
	v_cmp_ge_i32_e32 vcc_lo, v3, v1
	v_cmp_eq_u32_e64 s0, v3, v2
	s_or_b32 s0, vcc_lo, s0
	s_wait_alu 0xfffe
	s_and_b32 s0, exec_lo, s0
	s_wait_alu 0xfffe
	s_or_b32 s22, s0, s22
	s_wait_alu 0xfffe
	s_and_not1_b32 exec_lo, exec_lo, s22
	s_cbranch_execnz .LBB101_84
; %bb.85:
	s_or_b32 exec_lo, exec_lo, s22
.LBB101_86:
	v_ashrrev_i32_e32 v2, 31, v1
	v_lshlrev_b64_e32 v[6:7], 2, v[9:10]
	s_mov_b32 s0, exec_lo
	s_delay_alu instid0(VALU_DEP_2) | instskip(NEXT) | instid1(VALU_DEP_1)
	v_lshlrev_b64_e32 v[4:5], 2, v[1:2]
	v_add_co_u32 v4, vcc_lo, s8, v4
	s_wait_alu 0xfffd
	s_delay_alu instid0(VALU_DEP_2)
	v_add_co_ci_u32_e64 v5, null, s9, v5, vcc_lo
	v_add_co_u32 v10, vcc_lo, s10, v6
	s_wait_alu 0xfffd
	v_add_co_ci_u32_e64 v11, null, s11, v7, vcc_lo
	global_load_b32 v2, v[4:5], off
	s_ashr_i32 s11, s19, 31
	s_mov_b32 s10, s19
	global_load_b32 v4, v[10:11], off
	s_wait_alu 0xfffe
	s_lshl_b64 s[10:11], s[10:11], 2
	s_wait_alu 0xfffe
	s_add_nc_u64 s[10:11], s[8:9], s[10:11]
	s_wait_loadcnt 0x1
	v_subrev_nc_u32_e32 v2, s20, v2
	s_wait_loadcnt 0x0
	v_subrev_nc_u32_e32 v12, s20, v4
	s_delay_alu instid0(VALU_DEP_2) | instskip(SKIP_2) | instid1(VALU_DEP_1)
	v_cmp_lt_i32_e32 vcc_lo, v9, v2
	s_wait_alu 0xfffd
	v_cndmask_b32_e32 v5, v1, v3, vcc_lo
                                        ; implicit-def: $vgpr1_vgpr2
	v_cmpx_ne_u32_e64 v12, v5
	s_xor_b32 s22, exec_lo, s0
	s_cbranch_execz .LBB101_101
; %bb.87:
	s_load_b32 s0, s[10:11], 0x0
	ds_load_b128 v[1:4], v27
	s_mov_b32 s23, exec_lo
	s_wait_kmcnt 0x0
	s_sub_co_i32 s0, s0, s20
	s_wait_alu 0xfffe
	v_cmpx_gt_i32_e64 s0, v9
	s_cbranch_execz .LBB101_100
; %bb.88:
	v_ashrrev_i32_e32 v6, 31, v5
	v_cmp_le_i32_e64 s0, s19, v12
	s_delay_alu instid0(VALU_DEP_2) | instskip(NEXT) | instid1(VALU_DEP_1)
	v_lshlrev_b64_e32 v[5:6], 4, v[5:6]
	v_add_co_u32 v5, vcc_lo, s14, v5
	s_wait_alu 0xfffd
	s_delay_alu instid0(VALU_DEP_2)
	v_add_co_ci_u32_e64 v6, null, s15, v6, vcc_lo
	v_cmp_gt_i32_e32 vcc_lo, s5, v12
	global_load_b128 v[5:8], v[5:6], off
	s_or_b32 s0, vcc_lo, s0
	s_wait_loadcnt_dscnt 0x0
	v_mul_f64_e64 v[13:14], v[7:8], -v[3:4]
	v_mul_f64_e32 v[7:8], v[7:8], v[1:2]
	s_delay_alu instid0(VALU_DEP_2) | instskip(NEXT) | instid1(VALU_DEP_2)
	v_fma_f64 v[16:17], v[1:2], v[5:6], v[13:14]
	v_fma_f64 v[14:15], v[3:4], v[5:6], v[7:8]
	s_wait_alu 0xfffe
	s_and_saveexec_b32 s25, s0
	s_wait_alu 0xfffe
	s_xor_b32 s0, exec_lo, s25
	s_cbranch_execz .LBB101_94
; %bb.89:
	v_ashrrev_i32_e32 v13, 31, v12
	s_mov_b32 s25, 0
	s_delay_alu instid0(VALU_DEP_1) | instskip(NEXT) | instid1(VALU_DEP_1)
	v_lshlrev_b64_e32 v[5:6], 4, v[12:13]
	v_add_co_u32 v18, vcc_lo, s16, v5
	s_wait_alu 0xfffd
	s_delay_alu instid0(VALU_DEP_2)
	v_add_co_ci_u32_e64 v19, null, s17, v6, vcc_lo
	global_load_b64 v[7:8], v[18:19], off
.LBB101_90:                             ; =>This Inner Loop Header: Depth=1
	s_wait_loadcnt 0x0
	v_add_f64_e32 v[5:6], v[7:8], v[16:17]
	global_atomic_cmpswap_b64 v[5:6], v[18:19], v[5:8], off th:TH_ATOMIC_RETURN scope:SCOPE_DEV
	s_wait_loadcnt 0x0
	v_cmp_eq_u64_e32 vcc_lo, v[5:6], v[7:8]
	v_dual_mov_b32 v8, v6 :: v_dual_mov_b32 v7, v5
	s_wait_alu 0xfffe
	s_or_b32 s25, vcc_lo, s25
	s_wait_alu 0xfffe
	s_and_not1_b32 exec_lo, exec_lo, s25
	s_cbranch_execnz .LBB101_90
; %bb.91:
	s_or_b32 exec_lo, exec_lo, s25
	global_load_b64 v[7:8], v[18:19], off offset:8
	s_mov_b32 s25, 0
.LBB101_92:                             ; =>This Inner Loop Header: Depth=1
	s_wait_loadcnt 0x0
	v_add_f64_e32 v[5:6], v[7:8], v[14:15]
	global_atomic_cmpswap_b64 v[5:6], v[18:19], v[5:8], off offset:8 th:TH_ATOMIC_RETURN scope:SCOPE_DEV
	s_wait_loadcnt 0x0
	v_cmp_eq_u64_e32 vcc_lo, v[5:6], v[7:8]
	v_dual_mov_b32 v8, v6 :: v_dual_mov_b32 v7, v5
	s_wait_alu 0xfffe
	s_or_b32 s25, vcc_lo, s25
	s_wait_alu 0xfffe
	s_and_not1_b32 exec_lo, exec_lo, s25
	s_cbranch_execnz .LBB101_92
; %bb.93:
	s_or_b32 exec_lo, exec_lo, s25
                                        ; implicit-def: $vgpr14_vgpr15
                                        ; implicit-def: $vgpr16_vgpr17
.LBB101_94:
	s_wait_alu 0xfffe
	s_and_not1_saveexec_b32 s0, s0
	s_cbranch_execz .LBB101_100
; %bb.95:
	v_subrev_nc_u32_e32 v5, s5, v12
	s_mov_b32 s0, 0
	s_delay_alu instid0(VALU_DEP_1)
	v_lshl_add_u32 v7, v5, 4, 0x4000
	ds_load_b64 v[5:6], v7
.LBB101_96:                             ; =>This Inner Loop Header: Depth=1
	s_wait_dscnt 0x0
	v_add_f64_e32 v[18:19], v[5:6], v[16:17]
	ds_cmpstore_rtn_b64 v[18:19], v7, v[18:19], v[5:6]
	s_wait_dscnt 0x0
	v_cmp_eq_u64_e32 vcc_lo, v[18:19], v[5:6]
	v_dual_mov_b32 v5, v18 :: v_dual_mov_b32 v6, v19
	s_wait_alu 0xfffe
	s_or_b32 s0, vcc_lo, s0
	s_wait_alu 0xfffe
	s_and_not1_b32 exec_lo, exec_lo, s0
	s_cbranch_execnz .LBB101_96
; %bb.97:
	s_or_b32 exec_lo, exec_lo, s0
	ds_load_b64 v[5:6], v7 offset:8
	s_mov_b32 s0, 0
.LBB101_98:                             ; =>This Inner Loop Header: Depth=1
	s_wait_dscnt 0x0
	v_add_f64_e32 v[16:17], v[5:6], v[14:15]
	ds_cmpstore_rtn_b64 v[16:17], v7, v[16:17], v[5:6] offset:8
	s_wait_dscnt 0x0
	v_cmp_eq_u64_e32 vcc_lo, v[16:17], v[5:6]
	v_dual_mov_b32 v5, v16 :: v_dual_mov_b32 v6, v17
	s_wait_alu 0xfffe
	s_or_b32 s0, vcc_lo, s0
	s_wait_alu 0xfffe
	s_and_not1_b32 exec_lo, exec_lo, s0
	s_cbranch_execnz .LBB101_98
; %bb.99:
	s_or_b32 exec_lo, exec_lo, s0
.LBB101_100:
	s_delay_alu instid0(SALU_CYCLE_1)
	s_or_b32 exec_lo, exec_lo, s23
.LBB101_101:
	s_wait_alu 0xfffe
	s_and_not1_saveexec_b32 s0, s22
	s_cbranch_execz .LBB101_103
; %bb.102:
	s_wait_dscnt 0x0
	ds_load_b128 v[1:4], v27
.LBB101_103:
	s_wait_alu 0xfffe
	s_or_b32 exec_lo, exec_lo, s0
	v_ashrrev_i32_e32 v13, 31, v12
	v_cndmask_b32_e64 v21, 0, 1, s13
	s_delay_alu instid0(VALU_DEP_2) | instskip(NEXT) | instid1(VALU_DEP_1)
	v_lshlrev_b64_e32 v[5:6], 4, v[12:13]
	v_add_co_u32 v5, vcc_lo, s14, v5
	s_wait_alu 0xfffd
	s_delay_alu instid0(VALU_DEP_2)
	v_add_co_ci_u32_e64 v6, null, s15, v6, vcc_lo
	s_and_not1_b32 vcc_lo, exec_lo, s13
	global_load_b128 v[5:8], v[5:6], off
	s_wait_loadcnt_dscnt 0x0
	v_mul_f64_e64 v[12:13], v[7:8], -v[3:4]
	v_mul_f64_e32 v[7:8], v[7:8], v[1:2]
	s_delay_alu instid0(VALU_DEP_2) | instskip(NEXT) | instid1(VALU_DEP_2)
	v_fma_f64 v[12:13], v[1:2], v[5:6], v[12:13]
	v_fma_f64 v[14:15], v[3:4], v[5:6], v[7:8]
	v_dual_mov_b32 v3, s18 :: v_dual_add_nc_u32 v6, 0x100, v9
	v_mov_b32_e32 v1, s12
	ds_store_b128 v27, v[12:15]
	s_wait_alu 0xfffe
	s_cbranch_vccnz .LBB101_107
; %bb.104:
	v_mov_b32_e32 v3, s18
	v_mov_b32_e32 v1, s12
	s_mov_b32 s13, 0
.LBB101_105:                            ; =>This Inner Loop Header: Depth=1
	s_delay_alu instid0(VALU_DEP_1) | instskip(NEXT) | instid1(VALU_DEP_1)
	v_add_nc_u32_e32 v2, v1, v3
	v_lshrrev_b32_e32 v4, 31, v2
	s_delay_alu instid0(VALU_DEP_1) | instskip(NEXT) | instid1(VALU_DEP_1)
	v_add_nc_u32_e32 v2, v2, v4
	v_ashrrev_i32_e32 v4, 1, v2
	s_delay_alu instid0(VALU_DEP_1) | instskip(NEXT) | instid1(VALU_DEP_1)
	v_ashrrev_i32_e32 v5, 31, v4
	v_lshlrev_b64_e32 v[7:8], 2, v[4:5]
	s_delay_alu instid0(VALU_DEP_1) | instskip(SKIP_1) | instid1(VALU_DEP_2)
	v_add_co_u32 v7, vcc_lo, s8, v7
	s_wait_alu 0xfffd
	v_add_co_ci_u32_e64 v8, null, s9, v8, vcc_lo
	global_load_b32 v2, v[7:8], off
	s_wait_loadcnt 0x0
	v_subrev_nc_u32_e32 v2, s20, v2
	s_delay_alu instid0(VALU_DEP_1) | instskip(SKIP_2) | instid1(VALU_DEP_1)
	v_cmp_lt_i32_e32 vcc_lo, v6, v2
	s_wait_alu 0xfffd
	v_cndmask_b32_e32 v1, v1, v4, vcc_lo
	v_dual_cndmask_b32 v3, v4, v3 :: v_dual_add_nc_u32 v2, -1, v1
	s_delay_alu instid0(VALU_DEP_1) | instskip(NEXT) | instid1(VALU_DEP_2)
	v_cmp_ge_i32_e32 vcc_lo, v3, v1
	v_cmp_eq_u32_e64 s0, v3, v2
	s_or_b32 s0, vcc_lo, s0
	s_wait_alu 0xfffe
	s_and_b32 s0, exec_lo, s0
	s_wait_alu 0xfffe
	s_or_b32 s13, s0, s13
	s_wait_alu 0xfffe
	s_and_not1_b32 exec_lo, exec_lo, s13
	s_cbranch_execnz .LBB101_105
; %bb.106:
	s_or_b32 exec_lo, exec_lo, s13
.LBB101_107:
	v_ashrrev_i32_e32 v2, 31, v1
	s_mov_b32 s0, exec_lo
	s_delay_alu instid0(VALU_DEP_1) | instskip(NEXT) | instid1(VALU_DEP_1)
	v_lshlrev_b64_e32 v[4:5], 2, v[1:2]
	v_add_co_u32 v4, vcc_lo, s8, v4
	s_wait_alu 0xfffd
	s_delay_alu instid0(VALU_DEP_2)
	v_add_co_ci_u32_e64 v5, null, s9, v5, vcc_lo
	global_load_b32 v2, v[4:5], off
	global_load_b32 v4, v[10:11], off offset:1024
	s_wait_loadcnt 0x1
	v_subrev_nc_u32_e32 v2, s20, v2
	s_wait_loadcnt 0x0
	v_subrev_nc_u32_e32 v12, s20, v4
	s_delay_alu instid0(VALU_DEP_2) | instskip(SKIP_2) | instid1(VALU_DEP_1)
	v_cmp_lt_i32_e32 vcc_lo, v6, v2
	s_wait_alu 0xfffd
	v_cndmask_b32_e32 v5, v1, v3, vcc_lo
                                        ; implicit-def: $vgpr1_vgpr2
	v_cmpx_ne_u32_e64 v12, v5
	s_wait_alu 0xfffe
	s_xor_b32 s13, exec_lo, s0
	s_cbranch_execz .LBB101_122
; %bb.108:
	s_load_b32 s0, s[10:11], 0x0
	ds_load_b128 v[1:4], v27 offset:4096
	s_mov_b32 s22, exec_lo
	s_wait_kmcnt 0x0
	s_sub_co_i32 s0, s0, s20
	s_wait_alu 0xfffe
	v_cmpx_gt_i32_e64 s0, v6
	s_cbranch_execz .LBB101_121
; %bb.109:
	v_ashrrev_i32_e32 v6, 31, v5
	v_cmp_le_i32_e64 s0, s19, v12
	s_delay_alu instid0(VALU_DEP_2) | instskip(NEXT) | instid1(VALU_DEP_1)
	v_lshlrev_b64_e32 v[5:6], 4, v[5:6]
	v_add_co_u32 v5, vcc_lo, s14, v5
	s_wait_alu 0xfffd
	s_delay_alu instid0(VALU_DEP_2)
	v_add_co_ci_u32_e64 v6, null, s15, v6, vcc_lo
	v_cmp_gt_i32_e32 vcc_lo, s5, v12
	global_load_b128 v[5:8], v[5:6], off
	s_or_b32 s0, vcc_lo, s0
	s_wait_loadcnt_dscnt 0x0
	v_mul_f64_e64 v[13:14], v[7:8], -v[3:4]
	v_mul_f64_e32 v[7:8], v[7:8], v[1:2]
	s_delay_alu instid0(VALU_DEP_2) | instskip(NEXT) | instid1(VALU_DEP_2)
	v_fma_f64 v[16:17], v[1:2], v[5:6], v[13:14]
	v_fma_f64 v[14:15], v[3:4], v[5:6], v[7:8]
	s_wait_alu 0xfffe
	s_and_saveexec_b32 s23, s0
	s_wait_alu 0xfffe
	s_xor_b32 s0, exec_lo, s23
	s_cbranch_execz .LBB101_115
; %bb.110:
	v_ashrrev_i32_e32 v13, 31, v12
	s_mov_b32 s23, 0
	s_delay_alu instid0(VALU_DEP_1) | instskip(NEXT) | instid1(VALU_DEP_1)
	v_lshlrev_b64_e32 v[5:6], 4, v[12:13]
	v_add_co_u32 v18, vcc_lo, s16, v5
	s_wait_alu 0xfffd
	s_delay_alu instid0(VALU_DEP_2)
	v_add_co_ci_u32_e64 v19, null, s17, v6, vcc_lo
	global_load_b64 v[7:8], v[18:19], off
.LBB101_111:                            ; =>This Inner Loop Header: Depth=1
	s_wait_loadcnt 0x0
	v_add_f64_e32 v[5:6], v[7:8], v[16:17]
	global_atomic_cmpswap_b64 v[5:6], v[18:19], v[5:8], off th:TH_ATOMIC_RETURN scope:SCOPE_DEV
	s_wait_loadcnt 0x0
	v_cmp_eq_u64_e32 vcc_lo, v[5:6], v[7:8]
	v_dual_mov_b32 v8, v6 :: v_dual_mov_b32 v7, v5
	s_wait_alu 0xfffe
	s_or_b32 s23, vcc_lo, s23
	s_wait_alu 0xfffe
	s_and_not1_b32 exec_lo, exec_lo, s23
	s_cbranch_execnz .LBB101_111
; %bb.112:
	s_or_b32 exec_lo, exec_lo, s23
	global_load_b64 v[7:8], v[18:19], off offset:8
	s_mov_b32 s23, 0
.LBB101_113:                            ; =>This Inner Loop Header: Depth=1
	s_wait_loadcnt 0x0
	v_add_f64_e32 v[5:6], v[7:8], v[14:15]
	global_atomic_cmpswap_b64 v[5:6], v[18:19], v[5:8], off offset:8 th:TH_ATOMIC_RETURN scope:SCOPE_DEV
	s_wait_loadcnt 0x0
	v_cmp_eq_u64_e32 vcc_lo, v[5:6], v[7:8]
	v_dual_mov_b32 v8, v6 :: v_dual_mov_b32 v7, v5
	s_wait_alu 0xfffe
	s_or_b32 s23, vcc_lo, s23
	s_wait_alu 0xfffe
	s_and_not1_b32 exec_lo, exec_lo, s23
	s_cbranch_execnz .LBB101_113
; %bb.114:
	s_or_b32 exec_lo, exec_lo, s23
                                        ; implicit-def: $vgpr14_vgpr15
                                        ; implicit-def: $vgpr16_vgpr17
.LBB101_115:
	s_wait_alu 0xfffe
	s_and_not1_saveexec_b32 s0, s0
	s_cbranch_execz .LBB101_121
; %bb.116:
	v_subrev_nc_u32_e32 v5, s5, v12
	s_mov_b32 s0, 0
	s_delay_alu instid0(VALU_DEP_1)
	v_lshl_add_u32 v7, v5, 4, 0x4000
	ds_load_b64 v[5:6], v7
.LBB101_117:                            ; =>This Inner Loop Header: Depth=1
	s_wait_dscnt 0x0
	v_add_f64_e32 v[18:19], v[5:6], v[16:17]
	ds_cmpstore_rtn_b64 v[18:19], v7, v[18:19], v[5:6]
	s_wait_dscnt 0x0
	v_cmp_eq_u64_e32 vcc_lo, v[18:19], v[5:6]
	v_dual_mov_b32 v5, v18 :: v_dual_mov_b32 v6, v19
	s_wait_alu 0xfffe
	s_or_b32 s0, vcc_lo, s0
	s_wait_alu 0xfffe
	s_and_not1_b32 exec_lo, exec_lo, s0
	s_cbranch_execnz .LBB101_117
; %bb.118:
	s_or_b32 exec_lo, exec_lo, s0
	ds_load_b64 v[5:6], v7 offset:8
	s_mov_b32 s0, 0
.LBB101_119:                            ; =>This Inner Loop Header: Depth=1
	s_wait_dscnt 0x0
	v_add_f64_e32 v[16:17], v[5:6], v[14:15]
	ds_cmpstore_rtn_b64 v[16:17], v7, v[16:17], v[5:6] offset:8
	s_wait_dscnt 0x0
	v_cmp_eq_u64_e32 vcc_lo, v[16:17], v[5:6]
	v_dual_mov_b32 v5, v16 :: v_dual_mov_b32 v6, v17
	s_wait_alu 0xfffe
	s_or_b32 s0, vcc_lo, s0
	s_wait_alu 0xfffe
	s_and_not1_b32 exec_lo, exec_lo, s0
	s_cbranch_execnz .LBB101_119
; %bb.120:
	s_or_b32 exec_lo, exec_lo, s0
.LBB101_121:
	s_delay_alu instid0(SALU_CYCLE_1)
	s_or_b32 exec_lo, exec_lo, s22
.LBB101_122:
	s_wait_alu 0xfffe
	s_and_not1_saveexec_b32 s0, s13
	s_cbranch_execz .LBB101_124
; %bb.123:
	s_wait_dscnt 0x0
	ds_load_b128 v[1:4], v27 offset:4096
.LBB101_124:
	s_wait_alu 0xfffe
	s_or_b32 exec_lo, exec_lo, s0
	v_ashrrev_i32_e32 v13, 31, v12
	s_delay_alu instid0(VALU_DEP_1) | instskip(NEXT) | instid1(VALU_DEP_1)
	v_lshlrev_b64_e32 v[5:6], 4, v[12:13]
	v_add_co_u32 v5, vcc_lo, s14, v5
	s_wait_alu 0xfffd
	s_delay_alu instid0(VALU_DEP_2)
	v_add_co_ci_u32_e64 v6, null, s15, v6, vcc_lo
	v_cmp_ne_u32_e32 vcc_lo, 1, v21
	global_load_b128 v[5:8], v[5:6], off
	s_and_b32 vcc_lo, exec_lo, vcc_lo
	s_wait_loadcnt_dscnt 0x0
	v_mul_f64_e64 v[12:13], v[7:8], -v[3:4]
	v_mul_f64_e32 v[7:8], v[7:8], v[1:2]
	s_delay_alu instid0(VALU_DEP_2) | instskip(NEXT) | instid1(VALU_DEP_2)
	v_fma_f64 v[12:13], v[1:2], v[5:6], v[12:13]
	v_fma_f64 v[14:15], v[3:4], v[5:6], v[7:8]
	v_dual_mov_b32 v3, s18 :: v_dual_add_nc_u32 v6, 0x200, v9
	v_mov_b32_e32 v1, s12
	ds_store_b128 v27, v[12:15] offset:4096
	s_wait_alu 0xfffe
	s_cbranch_vccnz .LBB101_128
; %bb.125:
	v_mov_b32_e32 v3, s18
	v_mov_b32_e32 v1, s12
	s_mov_b32 s13, 0
.LBB101_126:                            ; =>This Inner Loop Header: Depth=1
	s_delay_alu instid0(VALU_DEP_1) | instskip(NEXT) | instid1(VALU_DEP_1)
	v_add_nc_u32_e32 v2, v1, v3
	v_lshrrev_b32_e32 v4, 31, v2
	s_delay_alu instid0(VALU_DEP_1) | instskip(NEXT) | instid1(VALU_DEP_1)
	v_add_nc_u32_e32 v2, v2, v4
	v_ashrrev_i32_e32 v4, 1, v2
	s_delay_alu instid0(VALU_DEP_1) | instskip(NEXT) | instid1(VALU_DEP_1)
	v_ashrrev_i32_e32 v5, 31, v4
	v_lshlrev_b64_e32 v[7:8], 2, v[4:5]
	s_delay_alu instid0(VALU_DEP_1) | instskip(SKIP_1) | instid1(VALU_DEP_2)
	v_add_co_u32 v7, vcc_lo, s8, v7
	s_wait_alu 0xfffd
	v_add_co_ci_u32_e64 v8, null, s9, v8, vcc_lo
	global_load_b32 v2, v[7:8], off
	s_wait_loadcnt 0x0
	v_subrev_nc_u32_e32 v2, s20, v2
	s_delay_alu instid0(VALU_DEP_1) | instskip(SKIP_2) | instid1(VALU_DEP_1)
	v_cmp_lt_i32_e32 vcc_lo, v6, v2
	s_wait_alu 0xfffd
	v_cndmask_b32_e32 v1, v1, v4, vcc_lo
	v_dual_cndmask_b32 v3, v4, v3 :: v_dual_add_nc_u32 v2, -1, v1
	s_delay_alu instid0(VALU_DEP_1) | instskip(NEXT) | instid1(VALU_DEP_2)
	v_cmp_ge_i32_e32 vcc_lo, v3, v1
	v_cmp_eq_u32_e64 s0, v3, v2
	s_or_b32 s0, vcc_lo, s0
	s_wait_alu 0xfffe
	s_and_b32 s0, exec_lo, s0
	s_wait_alu 0xfffe
	s_or_b32 s13, s0, s13
	s_wait_alu 0xfffe
	s_and_not1_b32 exec_lo, exec_lo, s13
	s_cbranch_execnz .LBB101_126
; %bb.127:
	s_or_b32 exec_lo, exec_lo, s13
.LBB101_128:
	v_ashrrev_i32_e32 v2, 31, v1
	s_mov_b32 s0, exec_lo
	s_delay_alu instid0(VALU_DEP_1) | instskip(NEXT) | instid1(VALU_DEP_1)
	v_lshlrev_b64_e32 v[4:5], 2, v[1:2]
	v_add_co_u32 v4, vcc_lo, s8, v4
	s_wait_alu 0xfffd
	s_delay_alu instid0(VALU_DEP_2)
	v_add_co_ci_u32_e64 v5, null, s9, v5, vcc_lo
	global_load_b32 v2, v[4:5], off
	global_load_b32 v4, v[10:11], off offset:2048
	s_wait_loadcnt 0x1
	v_subrev_nc_u32_e32 v2, s20, v2
	s_wait_loadcnt 0x0
	v_subrev_nc_u32_e32 v12, s20, v4
	s_delay_alu instid0(VALU_DEP_2) | instskip(SKIP_2) | instid1(VALU_DEP_1)
	v_cmp_lt_i32_e32 vcc_lo, v6, v2
	s_wait_alu 0xfffd
	v_cndmask_b32_e32 v5, v1, v3, vcc_lo
                                        ; implicit-def: $vgpr1_vgpr2
	v_cmpx_ne_u32_e64 v12, v5
	s_wait_alu 0xfffe
	s_xor_b32 s13, exec_lo, s0
	s_cbranch_execz .LBB101_143
; %bb.129:
	s_load_b32 s0, s[10:11], 0x0
	ds_load_b128 v[1:4], v27 offset:8192
	s_mov_b32 s22, exec_lo
	s_wait_kmcnt 0x0
	s_sub_co_i32 s0, s0, s20
	s_wait_alu 0xfffe
	v_cmpx_gt_i32_e64 s0, v6
	s_cbranch_execz .LBB101_142
; %bb.130:
	v_ashrrev_i32_e32 v6, 31, v5
	v_cmp_le_i32_e64 s0, s19, v12
	s_delay_alu instid0(VALU_DEP_2) | instskip(NEXT) | instid1(VALU_DEP_1)
	v_lshlrev_b64_e32 v[5:6], 4, v[5:6]
	v_add_co_u32 v5, vcc_lo, s14, v5
	s_wait_alu 0xfffd
	s_delay_alu instid0(VALU_DEP_2)
	v_add_co_ci_u32_e64 v6, null, s15, v6, vcc_lo
	v_cmp_gt_i32_e32 vcc_lo, s5, v12
	global_load_b128 v[5:8], v[5:6], off
	s_or_b32 s0, vcc_lo, s0
	s_wait_loadcnt_dscnt 0x0
	v_mul_f64_e64 v[13:14], v[7:8], -v[3:4]
	v_mul_f64_e32 v[7:8], v[7:8], v[1:2]
	s_delay_alu instid0(VALU_DEP_2) | instskip(NEXT) | instid1(VALU_DEP_2)
	v_fma_f64 v[16:17], v[1:2], v[5:6], v[13:14]
	v_fma_f64 v[14:15], v[3:4], v[5:6], v[7:8]
	s_wait_alu 0xfffe
	s_and_saveexec_b32 s23, s0
	s_wait_alu 0xfffe
	s_xor_b32 s0, exec_lo, s23
	s_cbranch_execz .LBB101_136
; %bb.131:
	v_ashrrev_i32_e32 v13, 31, v12
	s_mov_b32 s23, 0
	s_delay_alu instid0(VALU_DEP_1) | instskip(NEXT) | instid1(VALU_DEP_1)
	v_lshlrev_b64_e32 v[5:6], 4, v[12:13]
	v_add_co_u32 v18, vcc_lo, s16, v5
	s_wait_alu 0xfffd
	s_delay_alu instid0(VALU_DEP_2)
	v_add_co_ci_u32_e64 v19, null, s17, v6, vcc_lo
	global_load_b64 v[7:8], v[18:19], off
.LBB101_132:                            ; =>This Inner Loop Header: Depth=1
	s_wait_loadcnt 0x0
	v_add_f64_e32 v[5:6], v[7:8], v[16:17]
	global_atomic_cmpswap_b64 v[5:6], v[18:19], v[5:8], off th:TH_ATOMIC_RETURN scope:SCOPE_DEV
	s_wait_loadcnt 0x0
	v_cmp_eq_u64_e32 vcc_lo, v[5:6], v[7:8]
	v_dual_mov_b32 v8, v6 :: v_dual_mov_b32 v7, v5
	s_wait_alu 0xfffe
	s_or_b32 s23, vcc_lo, s23
	s_wait_alu 0xfffe
	s_and_not1_b32 exec_lo, exec_lo, s23
	s_cbranch_execnz .LBB101_132
; %bb.133:
	s_or_b32 exec_lo, exec_lo, s23
	global_load_b64 v[7:8], v[18:19], off offset:8
	s_mov_b32 s23, 0
.LBB101_134:                            ; =>This Inner Loop Header: Depth=1
	s_wait_loadcnt 0x0
	v_add_f64_e32 v[5:6], v[7:8], v[14:15]
	global_atomic_cmpswap_b64 v[5:6], v[18:19], v[5:8], off offset:8 th:TH_ATOMIC_RETURN scope:SCOPE_DEV
	s_wait_loadcnt 0x0
	v_cmp_eq_u64_e32 vcc_lo, v[5:6], v[7:8]
	v_dual_mov_b32 v8, v6 :: v_dual_mov_b32 v7, v5
	s_wait_alu 0xfffe
	s_or_b32 s23, vcc_lo, s23
	s_wait_alu 0xfffe
	s_and_not1_b32 exec_lo, exec_lo, s23
	s_cbranch_execnz .LBB101_134
; %bb.135:
	s_or_b32 exec_lo, exec_lo, s23
                                        ; implicit-def: $vgpr14_vgpr15
                                        ; implicit-def: $vgpr16_vgpr17
.LBB101_136:
	s_wait_alu 0xfffe
	s_and_not1_saveexec_b32 s0, s0
	s_cbranch_execz .LBB101_142
; %bb.137:
	v_subrev_nc_u32_e32 v5, s5, v12
	s_mov_b32 s0, 0
	s_delay_alu instid0(VALU_DEP_1)
	v_lshl_add_u32 v7, v5, 4, 0x4000
	ds_load_b64 v[5:6], v7
.LBB101_138:                            ; =>This Inner Loop Header: Depth=1
	s_wait_dscnt 0x0
	v_add_f64_e32 v[8:9], v[5:6], v[16:17]
	ds_cmpstore_rtn_b64 v[8:9], v7, v[8:9], v[5:6]
	s_wait_dscnt 0x0
	v_cmp_eq_u64_e32 vcc_lo, v[8:9], v[5:6]
	v_dual_mov_b32 v5, v8 :: v_dual_mov_b32 v6, v9
	s_wait_alu 0xfffe
	s_or_b32 s0, vcc_lo, s0
	s_wait_alu 0xfffe
	s_and_not1_b32 exec_lo, exec_lo, s0
	s_cbranch_execnz .LBB101_138
; %bb.139:
	s_or_b32 exec_lo, exec_lo, s0
	ds_load_b64 v[5:6], v7 offset:8
	s_mov_b32 s0, 0
.LBB101_140:                            ; =>This Inner Loop Header: Depth=1
	s_wait_dscnt 0x0
	v_add_f64_e32 v[8:9], v[5:6], v[14:15]
	ds_cmpstore_rtn_b64 v[8:9], v7, v[8:9], v[5:6] offset:8
	s_wait_dscnt 0x0
	v_cmp_eq_u64_e32 vcc_lo, v[8:9], v[5:6]
	v_dual_mov_b32 v5, v8 :: v_dual_mov_b32 v6, v9
	s_wait_alu 0xfffe
	s_or_b32 s0, vcc_lo, s0
	s_wait_alu 0xfffe
	s_and_not1_b32 exec_lo, exec_lo, s0
	s_cbranch_execnz .LBB101_140
; %bb.141:
	s_or_b32 exec_lo, exec_lo, s0
.LBB101_142:
	s_delay_alu instid0(SALU_CYCLE_1)
	s_or_b32 exec_lo, exec_lo, s22
.LBB101_143:
	s_wait_alu 0xfffe
	s_and_not1_saveexec_b32 s0, s13
	s_cbranch_execz .LBB101_145
; %bb.144:
	s_wait_dscnt 0x0
	ds_load_b128 v[1:4], v27 offset:8192
.LBB101_145:
	s_wait_alu 0xfffe
	s_or_b32 exec_lo, exec_lo, s0
	v_ashrrev_i32_e32 v13, 31, v12
	s_delay_alu instid0(VALU_DEP_1) | instskip(NEXT) | instid1(VALU_DEP_1)
	v_lshlrev_b64_e32 v[5:6], 4, v[12:13]
	v_add_co_u32 v5, vcc_lo, s14, v5
	s_wait_alu 0xfffd
	s_delay_alu instid0(VALU_DEP_2)
	v_add_co_ci_u32_e64 v6, null, s15, v6, vcc_lo
	v_cmp_ne_u32_e32 vcc_lo, 1, v21
	global_load_b128 v[5:8], v[5:6], off
	s_and_b32 vcc_lo, exec_lo, vcc_lo
	s_wait_loadcnt_dscnt 0x0
	v_mul_f64_e64 v[12:13], v[7:8], -v[3:4]
	v_mul_f64_e32 v[7:8], v[7:8], v[1:2]
	s_delay_alu instid0(VALU_DEP_2) | instskip(NEXT) | instid1(VALU_DEP_2)
	v_fma_f64 v[12:13], v[1:2], v[5:6], v[12:13]
	v_fma_f64 v[14:15], v[3:4], v[5:6], v[7:8]
	v_mov_b32_e32 v3, s18
	v_mov_b32_e32 v1, s12
	ds_store_b128 v27, v[12:15] offset:8192
	s_wait_alu 0xfffe
	s_cbranch_vccnz .LBB101_149
; %bb.146:
	v_mov_b32_e32 v3, s18
	v_mov_b32_e32 v1, s12
	s_mov_b32 s12, 0
.LBB101_147:                            ; =>This Inner Loop Header: Depth=1
	s_delay_alu instid0(VALU_DEP_1) | instskip(NEXT) | instid1(VALU_DEP_1)
	v_add_nc_u32_e32 v2, v1, v3
	v_lshrrev_b32_e32 v4, 31, v2
	s_delay_alu instid0(VALU_DEP_1) | instskip(NEXT) | instid1(VALU_DEP_1)
	v_add_nc_u32_e32 v2, v2, v4
	v_ashrrev_i32_e32 v4, 1, v2
	s_delay_alu instid0(VALU_DEP_1) | instskip(NEXT) | instid1(VALU_DEP_1)
	v_ashrrev_i32_e32 v5, 31, v4
	v_lshlrev_b64_e32 v[5:6], 2, v[4:5]
	s_delay_alu instid0(VALU_DEP_1) | instskip(SKIP_1) | instid1(VALU_DEP_2)
	v_add_co_u32 v5, vcc_lo, s8, v5
	s_wait_alu 0xfffd
	v_add_co_ci_u32_e64 v6, null, s9, v6, vcc_lo
	global_load_b32 v2, v[5:6], off
	s_wait_loadcnt 0x0
	v_subrev_nc_u32_e32 v2, s20, v2
	s_delay_alu instid0(VALU_DEP_1) | instskip(SKIP_2) | instid1(VALU_DEP_1)
	v_cmp_lt_i32_e32 vcc_lo, v20, v2
	s_wait_alu 0xfffd
	v_cndmask_b32_e32 v1, v1, v4, vcc_lo
	v_dual_cndmask_b32 v3, v4, v3 :: v_dual_add_nc_u32 v2, -1, v1
	s_delay_alu instid0(VALU_DEP_1) | instskip(NEXT) | instid1(VALU_DEP_2)
	v_cmp_ge_i32_e32 vcc_lo, v3, v1
	v_cmp_eq_u32_e64 s0, v3, v2
	s_or_b32 s0, vcc_lo, s0
	s_wait_alu 0xfffe
	s_and_b32 s0, exec_lo, s0
	s_wait_alu 0xfffe
	s_or_b32 s12, s0, s12
	s_wait_alu 0xfffe
	s_and_not1_b32 exec_lo, exec_lo, s12
	s_cbranch_execnz .LBB101_147
; %bb.148:
	s_or_b32 exec_lo, exec_lo, s12
.LBB101_149:
	v_ashrrev_i32_e32 v2, 31, v1
	s_mov_b32 s0, exec_lo
	s_delay_alu instid0(VALU_DEP_1) | instskip(NEXT) | instid1(VALU_DEP_1)
	v_lshlrev_b64_e32 v[4:5], 2, v[1:2]
	v_add_co_u32 v4, vcc_lo, s8, v4
	s_wait_alu 0xfffd
	s_delay_alu instid0(VALU_DEP_2)
	v_add_co_ci_u32_e64 v5, null, s9, v5, vcc_lo
	global_load_b32 v2, v[4:5], off
	global_load_b32 v4, v[10:11], off offset:3072
	s_wait_loadcnt 0x1
	v_subrev_nc_u32_e32 v2, s20, v2
	s_wait_loadcnt 0x0
	v_subrev_nc_u32_e32 v9, s20, v4
	s_delay_alu instid0(VALU_DEP_2) | instskip(SKIP_2) | instid1(VALU_DEP_1)
	v_cmp_lt_i32_e32 vcc_lo, v20, v2
	s_wait_alu 0xfffd
	v_cndmask_b32_e32 v5, v1, v3, vcc_lo
                                        ; implicit-def: $vgpr1_vgpr2
	v_cmpx_ne_u32_e64 v9, v5
	s_wait_alu 0xfffe
	s_xor_b32 s12, exec_lo, s0
	s_cbranch_execz .LBB101_164
; %bb.150:
	s_load_b32 s0, s[10:11], 0x0
	ds_load_b128 v[1:4], v27 offset:12288
	s_mov_b32 s10, exec_lo
	s_wait_kmcnt 0x0
	s_sub_co_i32 s0, s0, s20
	s_wait_alu 0xfffe
	v_cmpx_gt_i32_e64 s0, v20
	s_cbranch_execz .LBB101_163
; %bb.151:
	v_ashrrev_i32_e32 v6, 31, v5
	v_cmp_le_i32_e64 s0, s19, v9
	s_delay_alu instid0(VALU_DEP_2) | instskip(NEXT) | instid1(VALU_DEP_1)
	v_lshlrev_b64_e32 v[5:6], 4, v[5:6]
	v_add_co_u32 v5, vcc_lo, s14, v5
	s_wait_alu 0xfffd
	s_delay_alu instid0(VALU_DEP_2)
	v_add_co_ci_u32_e64 v6, null, s15, v6, vcc_lo
	v_cmp_gt_i32_e32 vcc_lo, s5, v9
	global_load_b128 v[5:8], v[5:6], off
	s_or_b32 s0, vcc_lo, s0
	s_wait_loadcnt_dscnt 0x0
	v_mul_f64_e64 v[10:11], v[7:8], -v[3:4]
	v_mul_f64_e32 v[7:8], v[7:8], v[1:2]
	s_delay_alu instid0(VALU_DEP_2) | instskip(NEXT) | instid1(VALU_DEP_2)
	v_fma_f64 v[13:14], v[1:2], v[5:6], v[10:11]
	v_fma_f64 v[11:12], v[3:4], v[5:6], v[7:8]
	s_wait_alu 0xfffe
	s_and_saveexec_b32 s11, s0
	s_wait_alu 0xfffe
	s_xor_b32 s0, exec_lo, s11
	s_cbranch_execz .LBB101_157
; %bb.152:
	v_ashrrev_i32_e32 v10, 31, v9
	s_mov_b32 s11, 0
	s_delay_alu instid0(VALU_DEP_1) | instskip(NEXT) | instid1(VALU_DEP_1)
	v_lshlrev_b64_e32 v[5:6], 4, v[9:10]
	v_add_co_u32 v15, vcc_lo, s16, v5
	s_wait_alu 0xfffd
	s_delay_alu instid0(VALU_DEP_2)
	v_add_co_ci_u32_e64 v16, null, s17, v6, vcc_lo
	global_load_b64 v[7:8], v[15:16], off
.LBB101_153:                            ; =>This Inner Loop Header: Depth=1
	s_wait_loadcnt 0x0
	v_add_f64_e32 v[5:6], v[7:8], v[13:14]
	global_atomic_cmpswap_b64 v[5:6], v[15:16], v[5:8], off th:TH_ATOMIC_RETURN scope:SCOPE_DEV
	s_wait_loadcnt 0x0
	v_cmp_eq_u64_e32 vcc_lo, v[5:6], v[7:8]
	v_dual_mov_b32 v8, v6 :: v_dual_mov_b32 v7, v5
	s_wait_alu 0xfffe
	s_or_b32 s11, vcc_lo, s11
	s_wait_alu 0xfffe
	s_and_not1_b32 exec_lo, exec_lo, s11
	s_cbranch_execnz .LBB101_153
; %bb.154:
	s_or_b32 exec_lo, exec_lo, s11
	global_load_b64 v[7:8], v[15:16], off offset:8
	s_mov_b32 s11, 0
.LBB101_155:                            ; =>This Inner Loop Header: Depth=1
	s_wait_loadcnt 0x0
	v_add_f64_e32 v[5:6], v[7:8], v[11:12]
	global_atomic_cmpswap_b64 v[5:6], v[15:16], v[5:8], off offset:8 th:TH_ATOMIC_RETURN scope:SCOPE_DEV
	s_wait_loadcnt 0x0
	v_cmp_eq_u64_e32 vcc_lo, v[5:6], v[7:8]
	v_dual_mov_b32 v8, v6 :: v_dual_mov_b32 v7, v5
	s_wait_alu 0xfffe
	s_or_b32 s11, vcc_lo, s11
	s_wait_alu 0xfffe
	s_and_not1_b32 exec_lo, exec_lo, s11
	s_cbranch_execnz .LBB101_155
; %bb.156:
	s_or_b32 exec_lo, exec_lo, s11
                                        ; implicit-def: $vgpr11_vgpr12
                                        ; implicit-def: $vgpr13_vgpr14
.LBB101_157:
	s_wait_alu 0xfffe
	s_and_not1_saveexec_b32 s0, s0
	s_cbranch_execz .LBB101_163
; %bb.158:
	v_subrev_nc_u32_e32 v5, s5, v9
	s_mov_b32 s0, 0
	s_delay_alu instid0(VALU_DEP_1)
	v_lshl_add_u32 v7, v5, 4, 0x4000
	ds_load_b64 v[5:6], v7
.LBB101_159:                            ; =>This Inner Loop Header: Depth=1
	s_wait_dscnt 0x0
	v_add_f64_e32 v[15:16], v[5:6], v[13:14]
	ds_cmpstore_rtn_b64 v[15:16], v7, v[15:16], v[5:6]
	s_wait_dscnt 0x0
	v_cmp_eq_u64_e32 vcc_lo, v[15:16], v[5:6]
	v_dual_mov_b32 v5, v15 :: v_dual_mov_b32 v6, v16
	s_wait_alu 0xfffe
	s_or_b32 s0, vcc_lo, s0
	s_wait_alu 0xfffe
	s_and_not1_b32 exec_lo, exec_lo, s0
	s_cbranch_execnz .LBB101_159
; %bb.160:
	s_or_b32 exec_lo, exec_lo, s0
	ds_load_b64 v[5:6], v7 offset:8
	s_mov_b32 s0, 0
.LBB101_161:                            ; =>This Inner Loop Header: Depth=1
	s_wait_dscnt 0x0
	v_add_f64_e32 v[13:14], v[5:6], v[11:12]
	ds_cmpstore_rtn_b64 v[13:14], v7, v[13:14], v[5:6] offset:8
	s_wait_dscnt 0x0
	v_cmp_eq_u64_e32 vcc_lo, v[13:14], v[5:6]
	v_dual_mov_b32 v5, v13 :: v_dual_mov_b32 v6, v14
	s_wait_alu 0xfffe
	s_or_b32 s0, vcc_lo, s0
	s_wait_alu 0xfffe
	s_and_not1_b32 exec_lo, exec_lo, s0
	s_cbranch_execnz .LBB101_161
; %bb.162:
	s_or_b32 exec_lo, exec_lo, s0
.LBB101_163:
	s_delay_alu instid0(SALU_CYCLE_1)
	s_or_b32 exec_lo, exec_lo, s10
.LBB101_164:
	s_wait_alu 0xfffe
	s_and_not1_saveexec_b32 s0, s12
	s_cbranch_execz .LBB101_166
; %bb.165:
	s_wait_dscnt 0x0
	ds_load_b128 v[1:4], v27 offset:12288
.LBB101_166:
	s_wait_alu 0xfffe
	s_or_b32 exec_lo, exec_lo, s0
	v_ashrrev_i32_e32 v10, 31, v9
	s_delay_alu instid0(VALU_DEP_1) | instskip(NEXT) | instid1(VALU_DEP_1)
	v_lshlrev_b64_e32 v[5:6], 4, v[9:10]
	v_add_co_u32 v5, vcc_lo, s14, v5
	s_wait_alu 0xfffd
	s_delay_alu instid0(VALU_DEP_2) | instskip(SKIP_4) | instid1(VALU_DEP_2)
	v_add_co_ci_u32_e64 v6, null, s15, v6, vcc_lo
	global_load_b128 v[5:8], v[5:6], off
	s_wait_loadcnt_dscnt 0x0
	v_mul_f64_e64 v[9:10], v[7:8], -v[3:4]
	v_mul_f64_e32 v[7:8], v[7:8], v[1:2]
	v_fma_f64 v[1:2], v[1:2], v[5:6], v[9:10]
	s_delay_alu instid0(VALU_DEP_2)
	v_fma_f64 v[3:4], v[3:4], v[5:6], v[7:8]
	ds_store_b128 v27, v[1:4] offset:12288
.LBB101_167:
	s_wait_alu 0xfffe
	s_or_b32 exec_lo, exec_lo, s6
	s_min_i32 s6, s19, s7
	s_mov_b32 s7, exec_lo
	s_wait_alu 0xfffe
	s_sub_co_i32 s0, s6, s21
	s_wait_loadcnt_dscnt 0x0
	s_barrier_signal -1
	s_barrier_wait -1
	global_inv scope:SCOPE_SE
	s_wait_alu 0xfffe
	v_cmpx_gt_i32_e64 s0, v0
	s_cbranch_execz .LBB101_174
; %bb.168:
	v_mov_b32_e32 v11, v0
	s_mov_b32 s10, 0
.LBB101_169:                            ; =>This Loop Header: Depth=1
                                        ;     Child Loop BB101_170 Depth 2
                                        ;     Child Loop BB101_172 Depth 2
	s_delay_alu instid0(VALU_DEP_1) | instskip(SKIP_1) | instid1(VALU_DEP_1)
	v_add_nc_u32_e32 v1, s5, v11
	s_mov_b32 s11, 0
	v_ashrrev_i32_e32 v2, 31, v1
	s_delay_alu instid0(VALU_DEP_1) | instskip(NEXT) | instid1(VALU_DEP_1)
	v_lshlrev_b64_e32 v[1:2], 4, v[1:2]
	v_add_co_u32 v9, vcc_lo, s16, v1
	s_wait_alu 0xfffd
	s_delay_alu instid0(VALU_DEP_2)
	v_add_co_ci_u32_e64 v10, null, s17, v2, vcc_lo
	v_lshl_add_u32 v1, v11, 4, 0x4000
	global_load_b64 v[7:8], v[9:10], off
	ds_load_2addr_b64 v[1:4], v1 offset1:1
.LBB101_170:                            ;   Parent Loop BB101_169 Depth=1
                                        ; =>  This Inner Loop Header: Depth=2
	s_wait_loadcnt_dscnt 0x0
	v_add_f64_e32 v[5:6], v[7:8], v[1:2]
	global_atomic_cmpswap_b64 v[5:6], v[9:10], v[5:8], off th:TH_ATOMIC_RETURN scope:SCOPE_DEV
	s_wait_loadcnt 0x0
	v_cmp_eq_u64_e32 vcc_lo, v[5:6], v[7:8]
	v_dual_mov_b32 v8, v6 :: v_dual_mov_b32 v7, v5
	s_wait_alu 0xfffe
	s_or_b32 s11, vcc_lo, s11
	s_wait_alu 0xfffe
	s_and_not1_b32 exec_lo, exec_lo, s11
	s_cbranch_execnz .LBB101_170
; %bb.171:                              ;   in Loop: Header=BB101_169 Depth=1
	s_or_b32 exec_lo, exec_lo, s11
	global_load_b64 v[7:8], v[9:10], off offset:8
	s_mov_b32 s11, 0
.LBB101_172:                            ;   Parent Loop BB101_169 Depth=1
                                        ; =>  This Inner Loop Header: Depth=2
	s_wait_loadcnt 0x0
	v_add_f64_e32 v[5:6], v[7:8], v[3:4]
	global_atomic_cmpswap_b64 v[1:2], v[9:10], v[5:8], off offset:8 th:TH_ATOMIC_RETURN scope:SCOPE_DEV
	s_wait_loadcnt 0x0
	v_cmp_eq_u64_e32 vcc_lo, v[1:2], v[7:8]
	v_dual_mov_b32 v8, v2 :: v_dual_mov_b32 v7, v1
	s_wait_alu 0xfffe
	s_or_b32 s11, vcc_lo, s11
	s_wait_alu 0xfffe
	s_and_not1_b32 exec_lo, exec_lo, s11
	s_cbranch_execnz .LBB101_172
; %bb.173:                              ;   in Loop: Header=BB101_169 Depth=1
	s_or_b32 exec_lo, exec_lo, s11
	v_add_nc_u32_e32 v11, 0x100, v11
	s_delay_alu instid0(VALU_DEP_1)
	v_cmp_le_i32_e32 vcc_lo, s0, v11
	s_or_b32 s10, vcc_lo, s10
	s_wait_alu 0xfffe
	s_and_not1_b32 exec_lo, exec_lo, s10
	s_cbranch_execnz .LBB101_169
.LBB101_174:
	s_or_b32 exec_lo, exec_lo, s7
	s_mul_i32 s5, s1, s21
	s_add_co_i32 s7, s1, 1
	s_wait_alu 0xfffe
	s_sub_co_i32 s5, s4, s5
	v_add_nc_u32_e32 v9, s18, v0
	s_wait_alu 0xfffe
	s_sub_co_i32 s10, s5, s21
	s_cmp_ge_u32 s5, s21
	s_wait_loadcnt 0x0
	s_cselect_b32 s1, s7, s1
	s_wait_alu 0xfffe
	s_cselect_b32 s5, s10, s5
	s_add_co_i32 s7, s1, 1
	s_wait_alu 0xfffe
	s_cmp_ge_u32 s5, s21
	s_barrier_signal -1
	s_cselect_b32 s1, s7, s1
	s_barrier_wait -1
	s_wait_alu 0xfffe
	s_add_co_i32 s1, s1, -1
	global_inv scope:SCOPE_SE
	s_wait_alu 0xfffe
	s_ashr_i32 s5, s1, 1
	s_wait_alu 0xfffe
	s_or_b32 s1, s5, s1
	s_wait_alu 0xfffe
	s_ashr_i32 s5, s1, 2
	s_wait_alu 0xfffe
	s_or_b32 s1, s5, s1
	s_wait_alu 0xfffe
	s_ashr_i32 s5, s1, 4
	s_wait_alu 0xfffe
	s_or_b32 s1, s5, s1
	s_wait_alu 0xfffe
	s_ashr_i32 s5, s1, 8
	s_wait_alu 0xfffe
	s_or_b32 s1, s5, s1
	s_wait_alu 0xfffe
	s_ashr_i32 s5, s1, 16
	s_wait_alu 0xfffe
	s_or_b32 s1, s5, s1
	s_mov_b32 s5, -1
	s_wait_alu 0xfffe
	s_add_co_i32 s1, s1, 1
	s_wait_alu 0xfffe
	s_ashr_i32 s1, s1, 1
	s_wait_alu 0xfffe
	s_cmp_gt_i32 s1, 1
	s_cbranch_scc1 .LBB101_187
; %bb.175:
	s_mov_b32 s5, exec_lo
	v_cmpx_gt_i32_e64 s19, v9
	s_cbranch_execz .LBB101_186
; %bb.176:
	s_sub_co_i32 s6, s6, s19
	v_mov_b32_e32 v10, v9
	s_lshl_b32 s10, s24, 4
	s_wait_alu 0xfffe
	s_lshl_b32 s6, s6, 4
	s_mov_b32 s7, 0
	s_wait_alu 0xfffe
	s_addk_co_i32 s6, 0x4000
	s_sub_co_i32 s10, 0, s10
.LBB101_177:                            ; =>This Loop Header: Depth=1
                                        ;     Child Loop BB101_179 Depth 2
                                        ;     Child Loop BB101_182 Depth 2
                                        ;     Child Loop BB101_184 Depth 2
	v_ashrrev_i32_e32 v11, 31, v10
	v_dual_mov_b32 v12, 0 :: v_dual_mov_b32 v5, 0
	v_dual_mov_b32 v13, 0 :: v_dual_mov_b32 v6, 0
	s_delay_alu instid0(VALU_DEP_3) | instskip(SKIP_1) | instid1(VALU_DEP_1)
	v_lshlrev_b64_e32 v[1:2], 2, v[10:11]
	s_mov_b32 s11, exec_lo
	v_add_co_u32 v1, vcc_lo, s8, v1
	s_wait_alu 0xfffd
	s_delay_alu instid0(VALU_DEP_2)
	v_add_co_ci_u32_e64 v2, null, s9, v2, vcc_lo
	global_load_b64 v[1:2], v[1:2], off
	s_wait_loadcnt 0x0
	v_cmpx_lt_i32_e64 v1, v2
	s_cbranch_execz .LBB101_181
; %bb.178:                              ;   in Loop: Header=BB101_177 Depth=1
	v_dual_mov_b32 v12, 0 :: v_dual_mov_b32 v5, 0
	v_subrev_nc_u32_e32 v2, s24, v2
	v_subrev_nc_u32_e32 v3, s24, v1
	v_dual_mov_b32 v13, 0 :: v_dual_mov_b32 v6, 0
	s_wait_alu 0xfffe
	v_lshl_add_u32 v1, v1, 4, s10
	s_mov_b32 s12, 0
.LBB101_179:                            ;   Parent Loop BB101_177 Depth=1
                                        ; =>  This Inner Loop Header: Depth=2
	ds_load_b128 v[14:17], v1
	v_add_nc_u32_e32 v3, 1, v3
	v_add_nc_u32_e32 v1, 16, v1
	s_delay_alu instid0(VALU_DEP_2)
	v_cmp_ge_i32_e32 vcc_lo, v3, v2
	s_wait_alu 0xfffe
	s_or_b32 s12, vcc_lo, s12
	s_wait_dscnt 0x0
	v_add_f64_e32 v[5:6], v[5:6], v[14:15]
	v_add_f64_e32 v[12:13], v[12:13], v[16:17]
	s_wait_alu 0xfffe
	s_and_not1_b32 exec_lo, exec_lo, s12
	s_cbranch_execnz .LBB101_179
; %bb.180:                              ;   in Loop: Header=BB101_177 Depth=1
	s_or_b32 exec_lo, exec_lo, s12
.LBB101_181:                            ;   in Loop: Header=BB101_177 Depth=1
	s_wait_alu 0xfffe
	s_or_b32 exec_lo, exec_lo, s11
	v_lshlrev_b64_e32 v[1:2], 4, v[10:11]
	s_mov_b32 s11, 0
	s_delay_alu instid0(VALU_DEP_1) | instskip(SKIP_1) | instid1(VALU_DEP_2)
	v_add_co_u32 v14, vcc_lo, s16, v1
	s_wait_alu 0xfffd
	v_add_co_ci_u32_e64 v15, null, s17, v2, vcc_lo
	v_lshl_add_u32 v1, v10, 4, s6
	global_load_b64 v[7:8], v[14:15], off
	ds_load_2addr_b64 v[1:4], v1 offset1:1
	s_wait_dscnt 0x0
	v_add_f64_e32 v[1:2], v[5:6], v[1:2]
.LBB101_182:                            ;   Parent Loop BB101_177 Depth=1
                                        ; =>  This Inner Loop Header: Depth=2
	s_wait_loadcnt 0x0
	s_delay_alu instid0(VALU_DEP_1)
	v_add_f64_e32 v[5:6], v[7:8], v[1:2]
	global_atomic_cmpswap_b64 v[5:6], v[14:15], v[5:8], off th:TH_ATOMIC_RETURN scope:SCOPE_DEV
	s_wait_loadcnt 0x0
	v_cmp_eq_u64_e32 vcc_lo, v[5:6], v[7:8]
	v_dual_mov_b32 v8, v6 :: v_dual_mov_b32 v7, v5
	s_wait_alu 0xfffe
	s_or_b32 s11, vcc_lo, s11
	s_wait_alu 0xfffe
	s_and_not1_b32 exec_lo, exec_lo, s11
	s_cbranch_execnz .LBB101_182
; %bb.183:                              ;   in Loop: Header=BB101_177 Depth=1
	s_or_b32 exec_lo, exec_lo, s11
	global_load_b64 v[5:6], v[14:15], off offset:8
	v_add_f64_e32 v[1:2], v[12:13], v[3:4]
	s_mov_b32 s11, 0
.LBB101_184:                            ;   Parent Loop BB101_177 Depth=1
                                        ; =>  This Inner Loop Header: Depth=2
	s_wait_loadcnt 0x0
	s_delay_alu instid0(VALU_DEP_1)
	v_add_f64_e32 v[3:4], v[5:6], v[1:2]
	global_atomic_cmpswap_b64 v[3:4], v[14:15], v[3:6], off offset:8 th:TH_ATOMIC_RETURN scope:SCOPE_DEV
	s_wait_loadcnt 0x0
	v_cmp_eq_u64_e32 vcc_lo, v[3:4], v[5:6]
	v_dual_mov_b32 v6, v4 :: v_dual_mov_b32 v5, v3
	s_wait_alu 0xfffe
	s_or_b32 s11, vcc_lo, s11
	s_wait_alu 0xfffe
	s_and_not1_b32 exec_lo, exec_lo, s11
	s_cbranch_execnz .LBB101_184
; %bb.185:                              ;   in Loop: Header=BB101_177 Depth=1
	s_or_b32 exec_lo, exec_lo, s11
	v_add_nc_u32_e32 v10, s4, v10
	s_delay_alu instid0(VALU_DEP_1)
	v_cmp_le_i32_e32 vcc_lo, s19, v10
	s_or_b32 s7, vcc_lo, s7
	s_wait_alu 0xfffe
	s_and_not1_b32 exec_lo, exec_lo, s7
	s_cbranch_execnz .LBB101_177
.LBB101_186:
	s_wait_alu 0xfffe
	s_or_b32 exec_lo, exec_lo, s5
	s_mov_b32 s5, 0
.LBB101_187:
	s_wait_alu 0xfffe
	s_and_not1_b32 vcc_lo, exec_lo, s5
	s_wait_alu 0xfffe
	s_cbranch_vccnz .LBB101_203
; %bb.188:
	s_cvt_f32_u32 s4, s1
	s_sub_co_i32 s5, 0, s1
	s_wait_alu 0xfffe
	s_delay_alu instid0(SALU_CYCLE_1) | instskip(NEXT) | instid1(TRANS32_DEP_1)
	v_rcp_iflag_f32_e32 v1, s4
	v_readfirstlane_b32 s4, v1
	s_mul_f32 s4, s4, 0x4f7ffffe
	s_wait_alu 0xfffe
	s_delay_alu instid0(SALU_CYCLE_2) | instskip(SKIP_1) | instid1(SALU_CYCLE_2)
	s_cvt_u32_f32 s4, s4
	s_wait_alu 0xfffe
	s_mul_i32 s5, s5, s4
	s_wait_alu 0xfffe
	s_mul_hi_u32 s5, s4, s5
	s_wait_alu 0xfffe
	s_add_co_i32 s4, s4, s5
	s_wait_alu 0xfffe
	v_mul_hi_u32 v1, v0, s4
	s_delay_alu instid0(VALU_DEP_1) | instskip(NEXT) | instid1(VALU_DEP_1)
	v_mul_lo_u32 v2, v1, s1
	v_sub_nc_u32_e32 v2, v0, v2
	s_delay_alu instid0(VALU_DEP_1) | instskip(SKIP_2) | instid1(VALU_DEP_2)
	v_subrev_nc_u32_e32 v4, s1, v2
	v_cmp_le_u32_e32 vcc_lo, s1, v2
	s_wait_alu 0xfffd
	v_dual_cndmask_b32 v2, v2, v4 :: v_dual_add_nc_u32 v3, 1, v1
	s_delay_alu instid0(VALU_DEP_1) | instskip(NEXT) | instid1(VALU_DEP_2)
	v_cndmask_b32_e32 v1, v1, v3, vcc_lo
	v_cmp_le_u32_e32 vcc_lo, s1, v2
	s_delay_alu instid0(VALU_DEP_2) | instskip(SKIP_1) | instid1(VALU_DEP_1)
	v_add_nc_u32_e32 v3, 1, v1
	s_wait_alu 0xfffd
	v_cndmask_b32_e32 v7, v1, v3, vcc_lo
	v_mov_b32_e32 v3, 0
	s_delay_alu instid0(VALU_DEP_2)
	v_dual_mov_b32 v4, 0 :: v_dual_lshlrev_b32 v1, 2, v7
	global_load_b64 v[5:6], v1, s[2:3]
	s_abs_i32 s3, s1
	s_wait_alu 0xfffe
	s_cvt_f32_u32 s2, s3
	s_wait_alu 0xfffe
	s_delay_alu instid0(SALU_CYCLE_2) | instskip(SKIP_1) | instid1(TRANS32_DEP_1)
	v_rcp_iflag_f32_e32 v1, s2
	s_mov_b32 s2, exec_lo
	v_readfirstlane_b32 s4, v1
	v_mov_b32_e32 v1, 0
	v_mov_b32_e32 v2, 0
	v_cmpx_gt_i32_e64 s21, v7
	s_cbranch_execz .LBB101_196
; %bb.189:
	s_wait_loadcnt 0x0
	v_subrev_nc_u32_e32 v5, s24, v5
	v_subrev_nc_u32_e32 v7, s24, v6
	s_mul_f32 s4, s4, 0x4f7ffffe
	s_sub_co_i32 s5, 0, s3
	s_wait_alu 0xfffe
	s_delay_alu instid0(SALU_CYCLE_1) | instskip(SKIP_2) | instid1(SALU_CYCLE_1)
	s_cvt_u32_f32 s4, s4
	v_sub_nc_u32_e32 v3, v7, v5
	s_wait_alu 0xfffe
	s_mul_i32 s5, s5, s4
	s_delay_alu instid0(VALU_DEP_1)
	v_sub_nc_u32_e32 v1, 0, v3
	s_wait_alu 0xfffe
	s_mul_hi_u32 s5, s4, s5
	s_wait_alu 0xfffe
	s_add_co_i32 s4, s4, s5
	v_max_i32_e32 v4, v3, v1
	v_ashrrev_i32_e32 v3, 31, v3
	s_wait_alu 0xfffe
	s_delay_alu instid0(VALU_DEP_2) | instskip(SKIP_4) | instid1(VALU_DEP_1)
	v_mad_co_u64_u32 v[1:2], null, v4, s4, 0
	s_ashr_i32 s4, s1, 31
	s_wait_alu 0xfffe
	v_xor_b32_e32 v3, s4, v3
	v_mul_lo_u32 v1, v2, s3
	v_sub_nc_u32_e32 v1, v4, v1
	v_add_nc_u32_e32 v4, 1, v2
	s_delay_alu instid0(VALU_DEP_2) | instskip(SKIP_2) | instid1(VALU_DEP_2)
	v_subrev_nc_u32_e32 v6, s3, v1
	v_cmp_le_u32_e32 vcc_lo, s3, v1
	s_wait_alu 0xfffd
	v_dual_cndmask_b32 v2, v2, v4 :: v_dual_cndmask_b32 v1, v1, v6
	s_delay_alu instid0(VALU_DEP_1) | instskip(NEXT) | instid1(VALU_DEP_2)
	v_add_nc_u32_e32 v4, 1, v2
	v_cmp_le_u32_e32 vcc_lo, s3, v1
	s_add_co_i32 s3, s1, -1
	s_wait_alu 0xfffe
	v_and_b32_e32 v10, s3, v0
	s_mov_b32 s3, exec_lo
	s_wait_alu 0xfffd
	v_cndmask_b32_e32 v1, v2, v4, vcc_lo
	s_delay_alu instid0(VALU_DEP_1) | instskip(NEXT) | instid1(VALU_DEP_1)
	v_xor_b32_e32 v1, v1, v3
	v_sub_nc_u32_e32 v6, v1, v3
	v_mov_b32_e32 v3, 0
	v_dual_mov_b32 v1, 0 :: v_dual_mov_b32 v4, 0
	v_mov_b32_e32 v2, 0
	v_lshlrev_b32_e32 v8, 4, v10
	v_cmpx_lt_i32_e32 0, v6
	s_cbranch_execz .LBB101_193
; %bb.190:
	v_dual_mov_b32 v3, 0 :: v_dual_mov_b32 v12, v6
	v_mov_b32_e32 v4, 0
	v_lshl_add_u32 v11, v5, 4, v8
	s_delay_alu instid0(VALU_DEP_3)
	v_mov_b32_e32 v1, v3
	s_lshl_b32 s5, s1, 4
	s_mov_b32 s4, 0
	v_mov_b32_e32 v2, v4
.LBB101_191:                            ; =>This Inner Loop Header: Depth=1
	ds_load_b128 v[13:16], v11
	v_add_nc_u32_e32 v12, -1, v12
	s_wait_alu 0xfffe
	v_add_nc_u32_e32 v11, s5, v11
	s_delay_alu instid0(VALU_DEP_2)
	v_cmp_eq_u32_e32 vcc_lo, 0, v12
	s_or_b32 s4, vcc_lo, s4
	s_wait_dscnt 0x0
	v_add_f64_e32 v[1:2], v[1:2], v[13:14]
	v_add_f64_e32 v[3:4], v[3:4], v[15:16]
	s_wait_alu 0xfffe
	s_and_not1_b32 exec_lo, exec_lo, s4
	s_cbranch_execnz .LBB101_191
; %bb.192:
	s_or_b32 exec_lo, exec_lo, s4
.LBB101_193:
	s_wait_alu 0xfffe
	s_or_b32 exec_lo, exec_lo, s3
	v_mad_co_u64_u32 v[5:6], null, v6, s1, v[5:6]
	s_mov_b32 s3, exec_lo
	v_sub_nc_u32_e32 v6, v7, v5
	s_delay_alu instid0(VALU_DEP_1)
	v_cmpx_lt_i32_e64 v10, v6
	s_cbranch_execz .LBB101_195
; %bb.194:
	v_lshl_add_u32 v5, v5, 4, v8
	ds_load_b128 v[5:8], v5
	s_wait_dscnt 0x0
	v_add_f64_e32 v[1:2], v[1:2], v[5:6]
	v_add_f64_e32 v[3:4], v[3:4], v[7:8]
.LBB101_195:
	s_wait_alu 0xfffe
	s_or_b32 exec_lo, exec_lo, s3
.LBB101_196:
	s_wait_alu 0xfffe
	s_or_b32 exec_lo, exec_lo, s2
	v_cmp_gt_i32_e32 vcc_lo, s21, v0
	s_wait_loadcnt 0x0
	s_barrier_signal -1
	s_barrier_wait -1
	global_inv scope:SCOPE_SE
	ds_store_b128 v27, v[1:4]
	s_wait_loadcnt_dscnt 0x0
	s_barrier_signal -1
	s_barrier_wait -1
	global_inv scope:SCOPE_SE
	s_and_b32 exec_lo, exec_lo, vcc_lo
	s_cbranch_execz .LBB101_203
; %bb.197:
	v_mul_lo_u32 v1, s1, v0
	v_dual_mov_b32 v11, 0 :: v_dual_mov_b32 v4, 0
	v_dual_mov_b32 v12, 0 :: v_dual_mov_b32 v5, 0
	s_delay_alu instid0(VALU_DEP_3)
	v_lshlrev_b32_e32 v1, 4, v1
.LBB101_198:                            ; =>This Inner Loop Header: Depth=1
	ds_load_b128 v[13:16], v1
	v_add_nc_u32_e32 v1, 16, v1
	s_add_co_i32 s1, s1, -1
	s_wait_alu 0xfffe
	s_cmp_eq_u32 s1, 0
	s_wait_dscnt 0x0
	v_add_f64_e32 v[4:5], v[4:5], v[13:14]
	v_add_f64_e32 v[11:12], v[11:12], v[15:16]
	s_cbranch_scc0 .LBB101_198
; %bb.199:
	v_ashrrev_i32_e32 v10, 31, v9
	v_lshlrev_b32_e32 v0, 4, v0
	s_lshl_b32 s0, s0, 4
	s_delay_alu instid0(VALU_DEP_2) | instskip(SKIP_1) | instid1(VALU_DEP_2)
	v_lshlrev_b64_e32 v[1:2], 4, v[9:10]
	s_wait_alu 0xfffe
	v_add3_u32 v0, 0x4000, s0, v0
	s_mov_b32 s0, 0
	s_delay_alu instid0(VALU_DEP_2)
	v_add_co_u32 v8, vcc_lo, s16, v1
	s_wait_alu 0xfffd
	v_add_co_ci_u32_e64 v9, null, s17, v2, vcc_lo
	ds_load_2addr_b64 v[0:3], v0 offset1:1
	global_load_b64 v[6:7], v[8:9], off
	s_wait_dscnt 0x0
	v_add_f64_e32 v[0:1], v[4:5], v[0:1]
.LBB101_200:                            ; =>This Inner Loop Header: Depth=1
	s_wait_loadcnt 0x0
	s_delay_alu instid0(VALU_DEP_1)
	v_add_f64_e32 v[4:5], v[6:7], v[0:1]
	global_atomic_cmpswap_b64 v[4:5], v[8:9], v[4:7], off th:TH_ATOMIC_RETURN scope:SCOPE_DEV
	s_wait_loadcnt 0x0
	v_cmp_eq_u64_e32 vcc_lo, v[4:5], v[6:7]
	v_dual_mov_b32 v7, v5 :: v_dual_mov_b32 v6, v4
	s_wait_alu 0xfffe
	s_or_b32 s0, vcc_lo, s0
	s_wait_alu 0xfffe
	s_and_not1_b32 exec_lo, exec_lo, s0
	s_cbranch_execnz .LBB101_200
; %bb.201:
	s_or_b32 exec_lo, exec_lo, s0
	global_load_b64 v[4:5], v[8:9], off offset:8
	v_add_f64_e32 v[0:1], v[11:12], v[2:3]
	s_mov_b32 s0, 0
.LBB101_202:                            ; =>This Inner Loop Header: Depth=1
	s_wait_loadcnt 0x0
	s_delay_alu instid0(VALU_DEP_1)
	v_add_f64_e32 v[2:3], v[4:5], v[0:1]
	global_atomic_cmpswap_b64 v[2:3], v[8:9], v[2:5], off offset:8 th:TH_ATOMIC_RETURN scope:SCOPE_DEV
	s_wait_loadcnt 0x0
	v_cmp_eq_u64_e32 vcc_lo, v[2:3], v[4:5]
	v_dual_mov_b32 v5, v3 :: v_dual_mov_b32 v4, v2
	s_wait_alu 0xfffe
	s_or_b32 s0, vcc_lo, s0
	s_wait_alu 0xfffe
	s_and_not1_b32 exec_lo, exec_lo, s0
	s_cbranch_execnz .LBB101_202
.LBB101_203:
	s_endpgm
	.section	.rodata,"a",@progbits
	.p2align	6, 0x0
	.amdhsa_kernel _ZN9rocsparseL27csrmvn_symm_adaptive_kernelIiid21rocsparse_complex_numIdES2_S2_EEvbT_S3_PKS3_NS_24const_host_device_scalarIT4_EES5_PKT0_PKT1_PKT2_S8_PT3_21rocsparse_index_base_b
		.amdhsa_group_segment_fixed_size 16384
		.amdhsa_private_segment_fixed_size 0
		.amdhsa_kernarg_size 360
		.amdhsa_user_sgpr_count 2
		.amdhsa_user_sgpr_dispatch_ptr 0
		.amdhsa_user_sgpr_queue_ptr 0
		.amdhsa_user_sgpr_kernarg_segment_ptr 1
		.amdhsa_user_sgpr_dispatch_id 0
		.amdhsa_user_sgpr_private_segment_size 0
		.amdhsa_wavefront_size32 1
		.amdhsa_uses_dynamic_stack 0
		.amdhsa_enable_private_segment 0
		.amdhsa_system_sgpr_workgroup_id_x 1
		.amdhsa_system_sgpr_workgroup_id_y 0
		.amdhsa_system_sgpr_workgroup_id_z 0
		.amdhsa_system_sgpr_workgroup_info 0
		.amdhsa_system_vgpr_workitem_id 0
		.amdhsa_next_free_vgpr 29
		.amdhsa_next_free_sgpr 30
		.amdhsa_reserve_vcc 1
		.amdhsa_float_round_mode_32 0
		.amdhsa_float_round_mode_16_64 0
		.amdhsa_float_denorm_mode_32 3
		.amdhsa_float_denorm_mode_16_64 3
		.amdhsa_fp16_overflow 0
		.amdhsa_workgroup_processor_mode 1
		.amdhsa_memory_ordered 1
		.amdhsa_forward_progress 1
		.amdhsa_inst_pref_size 84
		.amdhsa_round_robin_scheduling 0
		.amdhsa_exception_fp_ieee_invalid_op 0
		.amdhsa_exception_fp_denorm_src 0
		.amdhsa_exception_fp_ieee_div_zero 0
		.amdhsa_exception_fp_ieee_overflow 0
		.amdhsa_exception_fp_ieee_underflow 0
		.amdhsa_exception_fp_ieee_inexact 0
		.amdhsa_exception_int_div_zero 0
	.end_amdhsa_kernel
	.section	.text._ZN9rocsparseL27csrmvn_symm_adaptive_kernelIiid21rocsparse_complex_numIdES2_S2_EEvbT_S3_PKS3_NS_24const_host_device_scalarIT4_EES5_PKT0_PKT1_PKT2_S8_PT3_21rocsparse_index_base_b,"axG",@progbits,_ZN9rocsparseL27csrmvn_symm_adaptive_kernelIiid21rocsparse_complex_numIdES2_S2_EEvbT_S3_PKS3_NS_24const_host_device_scalarIT4_EES5_PKT0_PKT1_PKT2_S8_PT3_21rocsparse_index_base_b,comdat
.Lfunc_end101:
	.size	_ZN9rocsparseL27csrmvn_symm_adaptive_kernelIiid21rocsparse_complex_numIdES2_S2_EEvbT_S3_PKS3_NS_24const_host_device_scalarIT4_EES5_PKT0_PKT1_PKT2_S8_PT3_21rocsparse_index_base_b, .Lfunc_end101-_ZN9rocsparseL27csrmvn_symm_adaptive_kernelIiid21rocsparse_complex_numIdES2_S2_EEvbT_S3_PKS3_NS_24const_host_device_scalarIT4_EES5_PKT0_PKT1_PKT2_S8_PT3_21rocsparse_index_base_b
                                        ; -- End function
	.set _ZN9rocsparseL27csrmvn_symm_adaptive_kernelIiid21rocsparse_complex_numIdES2_S2_EEvbT_S3_PKS3_NS_24const_host_device_scalarIT4_EES5_PKT0_PKT1_PKT2_S8_PT3_21rocsparse_index_base_b.num_vgpr, 29
	.set _ZN9rocsparseL27csrmvn_symm_adaptive_kernelIiid21rocsparse_complex_numIdES2_S2_EEvbT_S3_PKS3_NS_24const_host_device_scalarIT4_EES5_PKT0_PKT1_PKT2_S8_PT3_21rocsparse_index_base_b.num_agpr, 0
	.set _ZN9rocsparseL27csrmvn_symm_adaptive_kernelIiid21rocsparse_complex_numIdES2_S2_EEvbT_S3_PKS3_NS_24const_host_device_scalarIT4_EES5_PKT0_PKT1_PKT2_S8_PT3_21rocsparse_index_base_b.numbered_sgpr, 30
	.set _ZN9rocsparseL27csrmvn_symm_adaptive_kernelIiid21rocsparse_complex_numIdES2_S2_EEvbT_S3_PKS3_NS_24const_host_device_scalarIT4_EES5_PKT0_PKT1_PKT2_S8_PT3_21rocsparse_index_base_b.num_named_barrier, 0
	.set _ZN9rocsparseL27csrmvn_symm_adaptive_kernelIiid21rocsparse_complex_numIdES2_S2_EEvbT_S3_PKS3_NS_24const_host_device_scalarIT4_EES5_PKT0_PKT1_PKT2_S8_PT3_21rocsparse_index_base_b.private_seg_size, 0
	.set _ZN9rocsparseL27csrmvn_symm_adaptive_kernelIiid21rocsparse_complex_numIdES2_S2_EEvbT_S3_PKS3_NS_24const_host_device_scalarIT4_EES5_PKT0_PKT1_PKT2_S8_PT3_21rocsparse_index_base_b.uses_vcc, 1
	.set _ZN9rocsparseL27csrmvn_symm_adaptive_kernelIiid21rocsparse_complex_numIdES2_S2_EEvbT_S3_PKS3_NS_24const_host_device_scalarIT4_EES5_PKT0_PKT1_PKT2_S8_PT3_21rocsparse_index_base_b.uses_flat_scratch, 0
	.set _ZN9rocsparseL27csrmvn_symm_adaptive_kernelIiid21rocsparse_complex_numIdES2_S2_EEvbT_S3_PKS3_NS_24const_host_device_scalarIT4_EES5_PKT0_PKT1_PKT2_S8_PT3_21rocsparse_index_base_b.has_dyn_sized_stack, 0
	.set _ZN9rocsparseL27csrmvn_symm_adaptive_kernelIiid21rocsparse_complex_numIdES2_S2_EEvbT_S3_PKS3_NS_24const_host_device_scalarIT4_EES5_PKT0_PKT1_PKT2_S8_PT3_21rocsparse_index_base_b.has_recursion, 0
	.set _ZN9rocsparseL27csrmvn_symm_adaptive_kernelIiid21rocsparse_complex_numIdES2_S2_EEvbT_S3_PKS3_NS_24const_host_device_scalarIT4_EES5_PKT0_PKT1_PKT2_S8_PT3_21rocsparse_index_base_b.has_indirect_call, 0
	.section	.AMDGPU.csdata,"",@progbits
; Kernel info:
; codeLenInByte = 10716
; TotalNumSgprs: 32
; NumVgprs: 29
; ScratchSize: 0
; MemoryBound: 0
; FloatMode: 240
; IeeeMode: 1
; LDSByteSize: 16384 bytes/workgroup (compile time only)
; SGPRBlocks: 0
; VGPRBlocks: 3
; NumSGPRsForWavesPerEU: 32
; NumVGPRsForWavesPerEU: 29
; Occupancy: 16
; WaveLimiterHint : 1
; COMPUTE_PGM_RSRC2:SCRATCH_EN: 0
; COMPUTE_PGM_RSRC2:USER_SGPR: 2
; COMPUTE_PGM_RSRC2:TRAP_HANDLER: 0
; COMPUTE_PGM_RSRC2:TGID_X_EN: 1
; COMPUTE_PGM_RSRC2:TGID_Y_EN: 0
; COMPUTE_PGM_RSRC2:TGID_Z_EN: 0
; COMPUTE_PGM_RSRC2:TIDIG_COMP_CNT: 0
	.section	.text._ZL33csrmvn_symm_large_adaptive_kernelIiid21rocsparse_complex_numIdES1_S1_EvbT_PKS2_N9rocsparse24const_host_device_scalarIT4_EES4_PKT0_PKT1_PKT2_S8_PT3_21rocsparse_index_base_b,"axG",@progbits,_ZL33csrmvn_symm_large_adaptive_kernelIiid21rocsparse_complex_numIdES1_S1_EvbT_PKS2_N9rocsparse24const_host_device_scalarIT4_EES4_PKT0_PKT1_PKT2_S8_PT3_21rocsparse_index_base_b,comdat
	.globl	_ZL33csrmvn_symm_large_adaptive_kernelIiid21rocsparse_complex_numIdES1_S1_EvbT_PKS2_N9rocsparse24const_host_device_scalarIT4_EES4_PKT0_PKT1_PKT2_S8_PT3_21rocsparse_index_base_b ; -- Begin function _ZL33csrmvn_symm_large_adaptive_kernelIiid21rocsparse_complex_numIdES1_S1_EvbT_PKS2_N9rocsparse24const_host_device_scalarIT4_EES4_PKT0_PKT1_PKT2_S8_PT3_21rocsparse_index_base_b
	.p2align	8
	.type	_ZL33csrmvn_symm_large_adaptive_kernelIiid21rocsparse_complex_numIdES1_S1_EvbT_PKS2_N9rocsparse24const_host_device_scalarIT4_EES4_PKT0_PKT1_PKT2_S8_PT3_21rocsparse_index_base_b,@function
_ZL33csrmvn_symm_large_adaptive_kernelIiid21rocsparse_complex_numIdES1_S1_EvbT_PKS2_N9rocsparse24const_host_device_scalarIT4_EES4_PKT0_PKT1_PKT2_S8_PT3_21rocsparse_index_base_b: ; @_ZL33csrmvn_symm_large_adaptive_kernelIiid21rocsparse_complex_numIdES1_S1_EvbT_PKS2_N9rocsparse24const_host_device_scalarIT4_EES4_PKT0_PKT1_PKT2_S8_PT3_21rocsparse_index_base_b
; %bb.0:
	s_clause 0x1
	s_load_b64 s[6:7], s[0:1], 0x58
	s_load_b64 s[4:5], s[0:1], 0x10
	s_add_nc_u64 s[8:9], s[0:1], 16
	s_wait_kmcnt 0x0
	s_bitcmp1_b32 s7, 0
	s_cselect_b32 s3, -1, 0
	s_delay_alu instid0(SALU_CYCLE_1) | instskip(SKIP_2) | instid1(SALU_CYCLE_1)
	s_and_b32 s2, s3, exec_lo
	s_cselect_b32 s2, s8, s4
	s_cselect_b32 s4, s9, s5
	v_dual_mov_b32 v1, s2 :: v_dual_mov_b32 v2, s4
	flat_load_b128 v[1:4], v[1:2]
	s_wait_loadcnt_dscnt 0x0
	v_cmp_eq_f64_e32 vcc_lo, 0, v[1:2]
	v_cmp_eq_f64_e64 s2, 0, v[3:4]
	s_and_b32 s5, vcc_lo, s2
	s_mov_b32 s2, -1
	s_wait_alu 0xfffe
	s_and_saveexec_b32 s4, s5
	s_cbranch_execz .LBB102_2
; %bb.1:
	s_load_b64 s[8:9], s[0:1], 0x40
	s_add_nc_u64 s[10:11], s[0:1], 64
	s_and_b32 s2, s3, exec_lo
	s_wait_kmcnt 0x0
	s_cselect_b32 s2, s10, s8
	s_cselect_b32 s3, s11, s9
	s_wait_alu 0xfffe
	v_dual_mov_b32 v5, s2 :: v_dual_mov_b32 v6, s3
	flat_load_b128 v[5:8], v[5:6]
	s_wait_loadcnt_dscnt 0x0
	v_cmp_neq_f64_e32 vcc_lo, 1.0, v[5:6]
	v_cmp_neq_f64_e64 s2, 0, v[7:8]
	s_or_b32 s2, vcc_lo, s2
	s_wait_alu 0xfffe
	s_or_not1_b32 s2, s2, exec_lo
.LBB102_2:
	s_wait_alu 0xfffe
	s_or_b32 exec_lo, exec_lo, s4
	s_and_saveexec_b32 s3, s2
	s_cbranch_execz .LBB102_43
; %bb.3:
	s_load_b64 s[4:5], s[0:1], 0x8
	s_mov_b32 s8, 0
	s_mov_b32 s2, ttmp9
	s_mov_b32 s9, s8
	s_mov_b32 s10, s8
	;; [unrolled: 1-line block ×3, first 2 shown]
	s_delay_alu instid0(SALU_CYCLE_1)
	v_dual_mov_b32 v5, s8 :: v_dual_mov_b32 v8, s11
	s_ashr_i32 s3, ttmp9, 31
	v_dual_mov_b32 v6, s9 :: v_dual_lshlrev_b32 v15, 4, v0
	v_mov_b32_e32 v7, s10
	s_wait_alu 0xfffe
	s_lshl_b64 s[2:3], s[2:3], 2
	ds_store_b128 v15, v[5:8]
	ds_store_b128 v15, v[5:8] offset:4096
	ds_store_b128 v15, v[5:8] offset:8192
	ds_store_b128 v15, v[5:8] offset:12288
	s_wait_dscnt 0x0
	s_barrier_signal -1
	s_barrier_wait -1
	s_wait_kmcnt 0x0
	s_wait_alu 0xfffe
	s_add_nc_u64 s[2:3], s[4:5], s[2:3]
	global_inv scope:SCOPE_SE
	s_load_b64 s[16:17], s[2:3], 0x0
	s_clause 0x1
	s_load_b64 s[18:19], s[0:1], 0x50
	s_load_b256 s[8:15], s[0:1], 0x20
	v_subrev_nc_u32_e32 v16, s6, v0
	s_wait_kmcnt 0x0
	s_cmp_ge_i32 s16, s17
	s_cbranch_scc1 .LBB102_31
; %bb.4:
	v_cmp_gt_u32_e32 vcc_lo, 64, v0
	v_cmp_gt_u32_e64 s0, 16, v0
	v_cmp_gt_u32_e64 s1, 4, v0
	v_cmp_eq_u32_e64 s2, 0, v0
	v_mov_b32_e32 v0, 0
	s_mov_b32 s20, s16
	s_branch .LBB102_6
.LBB102_5:                              ;   in Loop: Header=BB102_6 Depth=1
	s_wait_alu 0xfffe
	s_or_b32 exec_lo, exec_lo, s7
	s_add_co_i32 s20, s20, 1
	s_wait_alu 0xfffe
	s_cmp_ge_i32 s20, s17
	s_cbranch_scc1 .LBB102_31
.LBB102_6:                              ; =>This Loop Header: Depth=1
                                        ;     Child Loop BB102_8 Depth 2
                                        ;     Child Loop BB102_20 Depth 2
	;; [unrolled: 1-line block ×5, first 2 shown]
	s_ashr_i32 s21, s20, 31
	v_mov_b32_e32 v7, 0
	s_wait_alu 0xfffe
	s_lshl_b64 s[4:5], s[20:21], 2
	v_mov_b32_e32 v5, 0
	s_wait_alu 0xfffe
	s_add_nc_u64 s[4:5], s[8:9], s[4:5]
	v_mov_b32_e32 v6, 0
	s_load_b64 s[4:5], s[4:5], 0x0
	s_wait_kmcnt 0x0
	v_dual_mov_b32 v8, 0 :: v_dual_add_nc_u32 v9, s4, v16
	s_sub_co_i32 s7, s5, s6
	s_mov_b32 s5, exec_lo
	s_wait_alu 0xfffe
	s_delay_alu instid0(VALU_DEP_1)
	v_cmpx_gt_i32_e64 s7, v9
	s_cbranch_execz .LBB102_10
; %bb.7:                                ;   in Loop: Header=BB102_6 Depth=1
	v_ashrrev_i32_e32 v10, 31, v9
	v_mov_b32_e32 v7, 0
	v_mov_b32_e32 v8, 0
	s_mov_b32 s22, 0
	s_delay_alu instid0(VALU_DEP_3) | instskip(SKIP_1) | instid1(VALU_DEP_2)
	v_lshlrev_b64_e32 v[5:6], 2, v[9:10]
	v_lshlrev_b64_e32 v[12:13], 3, v[9:10]
	v_add_co_u32 v10, s3, s10, v5
	s_wait_alu 0xf1ff
	s_delay_alu instid0(VALU_DEP_3) | instskip(NEXT) | instid1(VALU_DEP_3)
	v_add_co_ci_u32_e64 v11, null, s11, v6, s3
	v_add_co_u32 v12, s3, s12, v12
	s_wait_alu 0xf1ff
	v_add_co_ci_u32_e64 v13, null, s13, v13, s3
	v_dual_mov_b32 v5, v7 :: v_dual_mov_b32 v6, v8
.LBB102_8:                              ;   Parent Loop BB102_6 Depth=1
                                        ; =>  This Inner Loop Header: Depth=2
	global_load_b32 v14, v[10:11], off
	v_add_nc_u32_e32 v9, 0x100, v9
	s_wait_loadcnt 0x0
	v_subrev_nc_u32_e32 v17, s6, v14
	s_delay_alu instid0(VALU_DEP_1) | instskip(NEXT) | instid1(VALU_DEP_1)
	v_ashrrev_i32_e32 v18, 31, v17
	v_lshlrev_b64_e32 v[17:18], 4, v[17:18]
	s_delay_alu instid0(VALU_DEP_1) | instskip(SKIP_1) | instid1(VALU_DEP_2)
	v_add_co_u32 v17, s3, s14, v17
	s_wait_alu 0xf1ff
	v_add_co_ci_u32_e64 v18, null, s15, v18, s3
	v_add_co_u32 v10, s3, 0x400, v10
	global_load_b64 v[21:22], v[12:13], off
	global_load_b128 v[17:20], v[17:18], off
	s_wait_alu 0xf1ff
	v_add_co_ci_u32_e64 v11, null, 0, v11, s3
	v_cmp_le_i32_e64 s3, s7, v9
	v_add_co_u32 v12, s4, 0x800, v12
	s_wait_alu 0xf1ff
	v_add_co_ci_u32_e64 v13, null, 0, v13, s4
	s_wait_alu 0xfffe
	s_or_b32 s22, s3, s22
	s_wait_loadcnt 0x0
	v_fma_f64 v[5:6], v[21:22], v[17:18], v[5:6]
	v_fma_f64 v[7:8], v[17:18], 0, v[7:8]
	s_delay_alu instid0(VALU_DEP_2) | instskip(NEXT) | instid1(VALU_DEP_2)
	v_fma_f64 v[5:6], 0x80000000, v[19:20], v[5:6]
	v_fma_f64 v[7:8], v[21:22], v[19:20], v[7:8]
	s_wait_alu 0xfffe
	s_and_not1_b32 exec_lo, exec_lo, s22
	s_cbranch_execnz .LBB102_8
; %bb.9:                                ;   in Loop: Header=BB102_6 Depth=1
	s_or_b32 exec_lo, exec_lo, s22
.LBB102_10:                             ;   in Loop: Header=BB102_6 Depth=1
	s_delay_alu instid0(SALU_CYCLE_1)
	s_or_b32 exec_lo, exec_lo, s5
	ds_store_b128 v15, v[5:8]
	s_wait_loadcnt_dscnt 0x0
	s_barrier_signal -1
	s_barrier_wait -1
	global_inv scope:SCOPE_SE
	ds_load_b128 v[5:8], v15 offset:4096
	ds_load_b128 v[9:12], v15 offset:8192
	;; [unrolled: 1-line block ×3, first 2 shown]
	ds_load_b128 v[21:24], v15
	s_wait_dscnt 0x2
	v_add_f64_e32 v[5:6], v[9:10], v[5:6]
	v_add_f64_e32 v[7:8], v[11:12], v[7:8]
	s_wait_dscnt 0x1
	s_delay_alu instid0(VALU_DEP_2) | instskip(NEXT) | instid1(VALU_DEP_2)
	v_add_f64_e32 v[5:6], v[5:6], v[17:18]
	v_add_f64_e32 v[7:8], v[7:8], v[19:20]
	s_wait_dscnt 0x0
	s_delay_alu instid0(VALU_DEP_2) | instskip(NEXT) | instid1(VALU_DEP_2)
	v_add_f64_e32 v[5:6], v[5:6], v[21:22]
	v_add_f64_e32 v[7:8], v[7:8], v[23:24]
	ds_store_b128 v15, v[5:8]
	s_wait_loadcnt_dscnt 0x0
	s_barrier_signal -1
	s_barrier_wait -1
	global_inv scope:SCOPE_SE
	s_and_saveexec_b32 s3, vcc_lo
	s_cbranch_execz .LBB102_12
; %bb.11:                               ;   in Loop: Header=BB102_6 Depth=1
	ds_load_b128 v[5:8], v15 offset:1024
	ds_load_b128 v[9:12], v15 offset:2048
	ds_load_b128 v[17:20], v15 offset:3072
	ds_load_b128 v[21:24], v15
	s_wait_dscnt 0x2
	v_add_f64_e32 v[5:6], v[9:10], v[5:6]
	v_add_f64_e32 v[7:8], v[11:12], v[7:8]
	s_wait_dscnt 0x1
	s_delay_alu instid0(VALU_DEP_2) | instskip(NEXT) | instid1(VALU_DEP_2)
	v_add_f64_e32 v[5:6], v[5:6], v[17:18]
	v_add_f64_e32 v[7:8], v[7:8], v[19:20]
	s_wait_dscnt 0x0
	s_delay_alu instid0(VALU_DEP_2) | instskip(NEXT) | instid1(VALU_DEP_2)
	v_add_f64_e32 v[5:6], v[5:6], v[21:22]
	v_add_f64_e32 v[7:8], v[7:8], v[23:24]
	ds_store_b128 v15, v[5:8]
.LBB102_12:                             ;   in Loop: Header=BB102_6 Depth=1
	s_wait_alu 0xfffe
	s_or_b32 exec_lo, exec_lo, s3
	s_wait_loadcnt_dscnt 0x0
	s_barrier_signal -1
	s_barrier_wait -1
	global_inv scope:SCOPE_SE
	s_and_saveexec_b32 s3, s0
	s_cbranch_execz .LBB102_14
; %bb.13:                               ;   in Loop: Header=BB102_6 Depth=1
	ds_load_b128 v[5:8], v15 offset:256
	ds_load_b128 v[9:12], v15 offset:512
	ds_load_b128 v[17:20], v15 offset:768
	ds_load_b128 v[21:24], v15
	s_wait_dscnt 0x2
	v_add_f64_e32 v[5:6], v[9:10], v[5:6]
	v_add_f64_e32 v[7:8], v[11:12], v[7:8]
	s_wait_dscnt 0x1
	s_delay_alu instid0(VALU_DEP_2) | instskip(NEXT) | instid1(VALU_DEP_2)
	v_add_f64_e32 v[5:6], v[5:6], v[17:18]
	v_add_f64_e32 v[7:8], v[7:8], v[19:20]
	s_wait_dscnt 0x0
	s_delay_alu instid0(VALU_DEP_2) | instskip(NEXT) | instid1(VALU_DEP_2)
	v_add_f64_e32 v[5:6], v[5:6], v[21:22]
	v_add_f64_e32 v[7:8], v[7:8], v[23:24]
	ds_store_b128 v15, v[5:8]
.LBB102_14:                             ;   in Loop: Header=BB102_6 Depth=1
	s_wait_alu 0xfffe
	s_or_b32 exec_lo, exec_lo, s3
	s_wait_loadcnt_dscnt 0x0
	s_barrier_signal -1
	s_barrier_wait -1
	global_inv scope:SCOPE_SE
	s_and_saveexec_b32 s3, s1
	;; [unrolled: 26-line block ×4, first 2 shown]
	s_cbranch_execz .LBB102_5
; %bb.19:                               ;   in Loop: Header=BB102_6 Depth=1
	ds_load_b128 v[5:8], v0
	v_mov_b32_e32 v13, 0
	v_bfrev_b32_e32 v14, 1
	s_mov_b32 s3, exec_lo
	s_wait_dscnt 0x0
	v_mul_f64_e64 v[9:10], v[7:8], -v[3:4]
	s_delay_alu instid0(VALU_DEP_1)
	v_fma_f64 v[9:10], v[1:2], v[5:6], v[9:10]
.LBB102_20:                             ;   Parent Loop BB102_6 Depth=1
                                        ; =>  This Inner Loop Header: Depth=2
	s_wait_alu 0xfffe
	s_ctz_i32_b32 s22, s3
	s_wait_alu 0xfffe
	s_delay_alu instid0(VALU_DEP_1) | instskip(NEXT) | instid1(VALU_DEP_2)
	v_readlane_b32 s5, v10, s22
	v_readlane_b32 s4, v9, s22
	s_wait_alu 0xf1ff
	s_delay_alu instid0(VALU_DEP_1)
	v_add_f64_e32 v[13:14], s[4:5], v[13:14]
	s_lshl_b32 s4, 1, s22
	s_wait_alu 0xfffe
	s_and_not1_b32 s3, s3, s4
	s_wait_alu 0xfffe
	s_cmp_lg_u32 s3, 0
	s_cbranch_scc1 .LBB102_20
; %bb.21:                               ;   in Loop: Header=BB102_6 Depth=1
	v_mbcnt_lo_u32_b32 v9, exec_lo, 0
	s_lshl_b64 s[4:5], s[20:21], 4
	s_mov_b32 s21, exec_lo
	s_wait_alu 0xfffe
	s_add_nc_u64 s[4:5], s[18:19], s[4:5]
	v_cmpx_eq_u32_e32 0, v9
	s_xor_b32 s21, exec_lo, s21
	s_cbranch_execz .LBB102_25
; %bb.22:                               ;   in Loop: Header=BB102_6 Depth=1
	global_load_b64 v[11:12], v0, s[4:5]
	s_mov_b32 s22, 0
.LBB102_23:                             ;   Parent Loop BB102_6 Depth=1
                                        ; =>  This Inner Loop Header: Depth=2
	s_wait_loadcnt 0x0
	v_add_f64_e32 v[9:10], v[11:12], v[13:14]
	global_atomic_cmpswap_b64 v[9:10], v0, v[9:12], s[4:5] th:TH_ATOMIC_RETURN scope:SCOPE_DEV
	s_wait_loadcnt 0x0
	v_cmp_eq_u64_e64 s3, v[9:10], v[11:12]
	v_dual_mov_b32 v12, v10 :: v_dual_mov_b32 v11, v9
	s_wait_alu 0xfffe
	s_or_b32 s22, s3, s22
	s_wait_alu 0xfffe
	s_and_not1_b32 exec_lo, exec_lo, s22
	s_cbranch_execnz .LBB102_23
; %bb.24:                               ;   in Loop: Header=BB102_6 Depth=1
	s_or_b32 exec_lo, exec_lo, s22
.LBB102_25:                             ;   in Loop: Header=BB102_6 Depth=1
	s_wait_alu 0xfffe
	s_or_b32 exec_lo, exec_lo, s21
	v_mul_f64_e32 v[7:8], v[1:2], v[7:8]
	v_mov_b32_e32 v9, 0
	v_bfrev_b32_e32 v10, 1
	s_mov_b32 s3, exec_lo
	s_delay_alu instid0(VALU_DEP_3)
	v_fma_f64 v[5:6], v[3:4], v[5:6], v[7:8]
.LBB102_26:                             ;   Parent Loop BB102_6 Depth=1
                                        ; =>  This Inner Loop Header: Depth=2
	s_wait_alu 0xfffe
	s_ctz_i32_b32 s21, s3
	s_wait_alu 0xfffe
	s_delay_alu instid0(VALU_DEP_1) | instskip(NEXT) | instid1(VALU_DEP_2)
	v_readlane_b32 s23, v6, s21
	v_readlane_b32 s22, v5, s21
	s_lshl_b32 s21, 1, s21
	s_wait_alu 0xfffe
	s_and_not1_b32 s3, s3, s21
	v_add_f64_e32 v[9:10], s[22:23], v[9:10]
	s_wait_alu 0xfffe
	s_cmp_lg_u32 s3, 0
	s_cbranch_scc1 .LBB102_26
; %bb.27:                               ;   in Loop: Header=BB102_6 Depth=1
	v_mbcnt_lo_u32_b32 v5, exec_lo, 0
	s_mov_b32 s21, exec_lo
	s_delay_alu instid0(VALU_DEP_1)
	v_cmpx_eq_u32_e32 0, v5
	s_wait_alu 0xfffe
	s_xor_b32 s21, exec_lo, s21
	s_cbranch_execz .LBB102_5
; %bb.28:                               ;   in Loop: Header=BB102_6 Depth=1
	global_load_b64 v[7:8], v0, s[4:5] offset:8
	s_mov_b32 s21, 0
.LBB102_29:                             ;   Parent Loop BB102_6 Depth=1
                                        ; =>  This Inner Loop Header: Depth=2
	s_wait_loadcnt 0x0
	v_add_f64_e32 v[5:6], v[7:8], v[9:10]
	global_atomic_cmpswap_b64 v[5:6], v0, v[5:8], s[4:5] offset:8 th:TH_ATOMIC_RETURN scope:SCOPE_DEV
	s_wait_loadcnt 0x0
	v_cmp_eq_u64_e64 s3, v[5:6], v[7:8]
	v_dual_mov_b32 v8, v6 :: v_dual_mov_b32 v7, v5
	s_wait_alu 0xfffe
	s_or_b32 s21, s3, s21
	s_wait_alu 0xfffe
	s_and_not1_b32 exec_lo, exec_lo, s21
	s_cbranch_execnz .LBB102_29
; %bb.30:                               ;   in Loop: Header=BB102_6 Depth=1
	s_or_b32 exec_lo, exec_lo, s21
	s_branch .LBB102_5
.LBB102_31:
	s_ashr_i32 s1, s16, 31
	s_mov_b32 s0, s16
	s_ashr_i32 s3, s17, 31
	s_lshl_b64 s[0:1], s[0:1], 2
	s_mov_b32 s2, s17
	s_add_nc_u64 s[0:1], s[8:9], s[0:1]
	s_wait_alu 0xfffe
	s_lshl_b64 s[2:3], s[2:3], 2
	s_load_b32 s4, s[0:1], 0x0
	s_add_nc_u64 s[0:1], s[8:9], s[2:3]
	s_load_b32 s0, s[0:1], 0x0
	s_wait_kmcnt 0x0
	v_add_nc_u32_e32 v13, s4, v16
	s_sub_co_i32 s1, s0, s6
	s_delay_alu instid0(VALU_DEP_1) | instid1(SALU_CYCLE_1)
	v_cmp_gt_i32_e32 vcc_lo, s1, v13
	s_and_b32 exec_lo, exec_lo, vcc_lo
	s_cbranch_execz .LBB102_43
; %bb.32:
	v_mul_f64_e32 v[15:16], 0x80000000, v[3:4]
	v_mul_f64_e32 v[17:18], 0, v[1:2]
	s_add_co_i32 s2, s17, -1
	s_mov_b32 s4, 0
	s_wait_alu 0xfffe
	s_cmp_lt_i32 s16, s2
	s_cselect_b32 s0, -1, 0
	s_add_co_i32 s3, s17, -2
	s_wait_alu 0xfffe
	s_cmp_lg_u32 s16, s3
	s_cselect_b32 s3, -1, 0
	s_wait_alu 0xfffe
	s_and_b32 s3, s0, s3
	s_branch .LBB102_34
.LBB102_33:                             ;   in Loop: Header=BB102_34 Depth=1
	s_wait_alu 0xfffe
	s_or_b32 exec_lo, exec_lo, s0
	v_add_nc_u32_e32 v13, 0x100, v13
	s_delay_alu instid0(VALU_DEP_1)
	v_cmp_le_i32_e32 vcc_lo, s1, v13
	s_or_b32 s4, vcc_lo, s4
	s_wait_alu 0xfffe
	s_and_not1_b32 exec_lo, exec_lo, s4
	s_cbranch_execz .LBB102_43
.LBB102_34:                             ; =>This Loop Header: Depth=1
                                        ;     Child Loop BB102_36 Depth 2
                                        ;     Child Loop BB102_40 Depth 2
	;; [unrolled: 1-line block ×3, first 2 shown]
	v_dual_mov_b32 v0, s16 :: v_dual_mov_b32 v5, s2
	s_wait_alu 0xfffe
	s_and_not1_b32 vcc_lo, exec_lo, s3
	s_wait_alu 0xfffe
	s_cbranch_vccnz .LBB102_38
; %bb.35:                               ;   in Loop: Header=BB102_34 Depth=1
	v_dual_mov_b32 v0, s16 :: v_dual_mov_b32 v5, s2
	s_mov_b32 s5, 0
.LBB102_36:                             ;   Parent Loop BB102_34 Depth=1
                                        ; =>  This Inner Loop Header: Depth=2
	s_delay_alu instid0(VALU_DEP_1) | instskip(NEXT) | instid1(VALU_DEP_1)
	v_add_nc_u32_e32 v6, v5, v0
	v_lshrrev_b32_e32 v7, 31, v6
	s_delay_alu instid0(VALU_DEP_1) | instskip(NEXT) | instid1(VALU_DEP_1)
	v_add_nc_u32_e32 v6, v6, v7
	v_ashrrev_i32_e32 v6, 1, v6
	s_delay_alu instid0(VALU_DEP_1) | instskip(NEXT) | instid1(VALU_DEP_1)
	v_ashrrev_i32_e32 v7, 31, v6
	v_lshlrev_b64_e32 v[7:8], 2, v[6:7]
	s_delay_alu instid0(VALU_DEP_1) | instskip(SKIP_1) | instid1(VALU_DEP_2)
	v_add_co_u32 v7, vcc_lo, s8, v7
	s_wait_alu 0xfffd
	v_add_co_ci_u32_e64 v8, null, s9, v8, vcc_lo
	global_load_b32 v7, v[7:8], off
	s_wait_loadcnt 0x0
	v_subrev_nc_u32_e32 v7, s6, v7
	s_delay_alu instid0(VALU_DEP_1) | instskip(SKIP_2) | instid1(VALU_DEP_1)
	v_cmp_lt_i32_e32 vcc_lo, v13, v7
	s_wait_alu 0xfffd
	v_dual_cndmask_b32 v5, v5, v6 :: v_dual_cndmask_b32 v0, v6, v0
	v_add_nc_u32_e32 v6, -1, v5
	s_delay_alu instid0(VALU_DEP_2) | instskip(NEXT) | instid1(VALU_DEP_2)
	v_cmp_ge_i32_e32 vcc_lo, v0, v5
	v_cmp_eq_u32_e64 s0, v0, v6
	s_or_b32 s0, vcc_lo, s0
	s_wait_alu 0xfffe
	s_and_b32 s0, exec_lo, s0
	s_wait_alu 0xfffe
	s_or_b32 s5, s0, s5
	s_wait_alu 0xfffe
	s_and_not1_b32 exec_lo, exec_lo, s5
	s_cbranch_execnz .LBB102_36
; %bb.37:                               ;   in Loop: Header=BB102_34 Depth=1
	s_or_b32 exec_lo, exec_lo, s5
.LBB102_38:                             ;   in Loop: Header=BB102_34 Depth=1
	v_ashrrev_i32_e32 v6, 31, v5
	v_ashrrev_i32_e32 v14, 31, v13
	s_mov_b32 s0, exec_lo
	s_delay_alu instid0(VALU_DEP_2) | instskip(NEXT) | instid1(VALU_DEP_2)
	v_lshlrev_b64_e32 v[6:7], 2, v[5:6]
	v_lshlrev_b64_e32 v[8:9], 2, v[13:14]
	s_delay_alu instid0(VALU_DEP_2) | instskip(SKIP_1) | instid1(VALU_DEP_3)
	v_add_co_u32 v6, vcc_lo, s8, v6
	s_wait_alu 0xfffd
	v_add_co_ci_u32_e64 v7, null, s9, v7, vcc_lo
	global_load_b32 v10, v[6:7], off
	v_add_co_u32 v6, vcc_lo, s10, v8
	s_wait_alu 0xfffd
	v_add_co_ci_u32_e64 v7, null, s11, v9, vcc_lo
	global_load_b32 v6, v[6:7], off
	s_wait_loadcnt 0x1
	v_subrev_nc_u32_e32 v7, s6, v10
	s_delay_alu instid0(VALU_DEP_1) | instskip(SKIP_4) | instid1(VALU_DEP_1)
	v_cmp_lt_i32_e32 vcc_lo, v13, v7
	s_wait_loadcnt 0x0
	v_subrev_nc_u32_e32 v9, s6, v6
	s_wait_alu 0xfffd
	v_cndmask_b32_e32 v5, v5, v0, vcc_lo
	v_cmpx_ne_u32_e64 v9, v5
	s_cbranch_execz .LBB102_33
; %bb.39:                               ;   in Loop: Header=BB102_34 Depth=1
	v_lshlrev_b64_e32 v[6:7], 3, v[13:14]
	v_ashrrev_i32_e32 v10, 31, v9
	s_mov_b32 s5, 0
	s_delay_alu instid0(VALU_DEP_1) | instskip(NEXT) | instid1(VALU_DEP_3)
	v_lshlrev_b64_e32 v[9:10], 4, v[9:10]
	v_add_co_u32 v6, vcc_lo, s12, v6
	s_wait_alu 0xfffd
	v_add_co_ci_u32_e64 v7, null, s13, v7, vcc_lo
	global_load_b64 v[23:24], v[6:7], off
	v_ashrrev_i32_e32 v6, 31, v5
	s_delay_alu instid0(VALU_DEP_1) | instskip(NEXT) | instid1(VALU_DEP_1)
	v_lshlrev_b64_e32 v[5:6], 4, v[5:6]
	v_add_co_u32 v5, vcc_lo, s14, v5
	s_wait_alu 0xfffd
	s_delay_alu instid0(VALU_DEP_2)
	v_add_co_ci_u32_e64 v6, null, s15, v6, vcc_lo
	v_add_co_u32 v19, vcc_lo, s18, v9
	s_wait_alu 0xfffd
	v_add_co_ci_u32_e64 v20, null, s19, v10, vcc_lo
	global_load_b128 v[5:8], v[5:6], off
	global_load_b64 v[11:12], v[19:20], off
	s_wait_loadcnt 0x2
	v_fma_f64 v[21:22], v[3:4], v[23:24], v[17:18]
	v_fma_f64 v[23:24], v[1:2], v[23:24], v[15:16]
	s_wait_loadcnt 0x1
	s_delay_alu instid0(VALU_DEP_2) | instskip(NEXT) | instid1(VALU_DEP_1)
	v_mul_f64_e64 v[9:10], v[7:8], -v[21:22]
	v_fma_f64 v[25:26], v[23:24], v[5:6], v[9:10]
.LBB102_40:                             ;   Parent Loop BB102_34 Depth=1
                                        ; =>  This Inner Loop Header: Depth=2
	s_wait_loadcnt 0x0
	s_delay_alu instid0(VALU_DEP_1)
	v_add_f64_e32 v[9:10], v[11:12], v[25:26]
	global_atomic_cmpswap_b64 v[9:10], v[19:20], v[9:12], off th:TH_ATOMIC_RETURN scope:SCOPE_DEV
	s_wait_loadcnt 0x0
	v_cmp_eq_u64_e32 vcc_lo, v[9:10], v[11:12]
	v_dual_mov_b32 v12, v10 :: v_dual_mov_b32 v11, v9
	s_wait_alu 0xfffe
	s_or_b32 s5, vcc_lo, s5
	s_wait_alu 0xfffe
	s_and_not1_b32 exec_lo, exec_lo, s5
	s_cbranch_execnz .LBB102_40
; %bb.41:                               ;   in Loop: Header=BB102_34 Depth=1
	s_or_b32 exec_lo, exec_lo, s5
	global_load_b64 v[9:10], v[19:20], off offset:8
	v_mul_f64_e32 v[7:8], v[23:24], v[7:8]
	s_mov_b32 s5, 0
	s_delay_alu instid0(VALU_DEP_1)
	v_fma_f64 v[5:6], v[21:22], v[5:6], v[7:8]
.LBB102_42:                             ;   Parent Loop BB102_34 Depth=1
                                        ; =>  This Inner Loop Header: Depth=2
	s_wait_loadcnt 0x0
	s_delay_alu instid0(VALU_DEP_1)
	v_add_f64_e32 v[7:8], v[9:10], v[5:6]
	global_atomic_cmpswap_b64 v[7:8], v[19:20], v[7:10], off offset:8 th:TH_ATOMIC_RETURN scope:SCOPE_DEV
	s_wait_loadcnt 0x0
	v_cmp_eq_u64_e32 vcc_lo, v[7:8], v[9:10]
	v_dual_mov_b32 v10, v8 :: v_dual_mov_b32 v9, v7
	s_wait_alu 0xfffe
	s_or_b32 s5, vcc_lo, s5
	s_wait_alu 0xfffe
	s_and_not1_b32 exec_lo, exec_lo, s5
	s_cbranch_execnz .LBB102_42
	s_branch .LBB102_33
.LBB102_43:
	s_endpgm
	.section	.rodata,"a",@progbits
	.p2align	6, 0x0
	.amdhsa_kernel _ZL33csrmvn_symm_large_adaptive_kernelIiid21rocsparse_complex_numIdES1_S1_EvbT_PKS2_N9rocsparse24const_host_device_scalarIT4_EES4_PKT0_PKT1_PKT2_S8_PT3_21rocsparse_index_base_b
		.amdhsa_group_segment_fixed_size 16384
		.amdhsa_private_segment_fixed_size 0
		.amdhsa_kernarg_size 96
		.amdhsa_user_sgpr_count 2
		.amdhsa_user_sgpr_dispatch_ptr 0
		.amdhsa_user_sgpr_queue_ptr 0
		.amdhsa_user_sgpr_kernarg_segment_ptr 1
		.amdhsa_user_sgpr_dispatch_id 0
		.amdhsa_user_sgpr_private_segment_size 0
		.amdhsa_wavefront_size32 1
		.amdhsa_uses_dynamic_stack 0
		.amdhsa_enable_private_segment 0
		.amdhsa_system_sgpr_workgroup_id_x 1
		.amdhsa_system_sgpr_workgroup_id_y 0
		.amdhsa_system_sgpr_workgroup_id_z 0
		.amdhsa_system_sgpr_workgroup_info 0
		.amdhsa_system_vgpr_workitem_id 0
		.amdhsa_next_free_vgpr 27
		.amdhsa_next_free_sgpr 24
		.amdhsa_reserve_vcc 1
		.amdhsa_float_round_mode_32 0
		.amdhsa_float_round_mode_16_64 0
		.amdhsa_float_denorm_mode_32 3
		.amdhsa_float_denorm_mode_16_64 3
		.amdhsa_fp16_overflow 0
		.amdhsa_workgroup_processor_mode 1
		.amdhsa_memory_ordered 1
		.amdhsa_forward_progress 1
		.amdhsa_inst_pref_size 22
		.amdhsa_round_robin_scheduling 0
		.amdhsa_exception_fp_ieee_invalid_op 0
		.amdhsa_exception_fp_denorm_src 0
		.amdhsa_exception_fp_ieee_div_zero 0
		.amdhsa_exception_fp_ieee_overflow 0
		.amdhsa_exception_fp_ieee_underflow 0
		.amdhsa_exception_fp_ieee_inexact 0
		.amdhsa_exception_int_div_zero 0
	.end_amdhsa_kernel
	.section	.text._ZL33csrmvn_symm_large_adaptive_kernelIiid21rocsparse_complex_numIdES1_S1_EvbT_PKS2_N9rocsparse24const_host_device_scalarIT4_EES4_PKT0_PKT1_PKT2_S8_PT3_21rocsparse_index_base_b,"axG",@progbits,_ZL33csrmvn_symm_large_adaptive_kernelIiid21rocsparse_complex_numIdES1_S1_EvbT_PKS2_N9rocsparse24const_host_device_scalarIT4_EES4_PKT0_PKT1_PKT2_S8_PT3_21rocsparse_index_base_b,comdat
.Lfunc_end102:
	.size	_ZL33csrmvn_symm_large_adaptive_kernelIiid21rocsparse_complex_numIdES1_S1_EvbT_PKS2_N9rocsparse24const_host_device_scalarIT4_EES4_PKT0_PKT1_PKT2_S8_PT3_21rocsparse_index_base_b, .Lfunc_end102-_ZL33csrmvn_symm_large_adaptive_kernelIiid21rocsparse_complex_numIdES1_S1_EvbT_PKS2_N9rocsparse24const_host_device_scalarIT4_EES4_PKT0_PKT1_PKT2_S8_PT3_21rocsparse_index_base_b
                                        ; -- End function
	.set _ZL33csrmvn_symm_large_adaptive_kernelIiid21rocsparse_complex_numIdES1_S1_EvbT_PKS2_N9rocsparse24const_host_device_scalarIT4_EES4_PKT0_PKT1_PKT2_S8_PT3_21rocsparse_index_base_b.num_vgpr, 27
	.set _ZL33csrmvn_symm_large_adaptive_kernelIiid21rocsparse_complex_numIdES1_S1_EvbT_PKS2_N9rocsparse24const_host_device_scalarIT4_EES4_PKT0_PKT1_PKT2_S8_PT3_21rocsparse_index_base_b.num_agpr, 0
	.set _ZL33csrmvn_symm_large_adaptive_kernelIiid21rocsparse_complex_numIdES1_S1_EvbT_PKS2_N9rocsparse24const_host_device_scalarIT4_EES4_PKT0_PKT1_PKT2_S8_PT3_21rocsparse_index_base_b.numbered_sgpr, 24
	.set _ZL33csrmvn_symm_large_adaptive_kernelIiid21rocsparse_complex_numIdES1_S1_EvbT_PKS2_N9rocsparse24const_host_device_scalarIT4_EES4_PKT0_PKT1_PKT2_S8_PT3_21rocsparse_index_base_b.num_named_barrier, 0
	.set _ZL33csrmvn_symm_large_adaptive_kernelIiid21rocsparse_complex_numIdES1_S1_EvbT_PKS2_N9rocsparse24const_host_device_scalarIT4_EES4_PKT0_PKT1_PKT2_S8_PT3_21rocsparse_index_base_b.private_seg_size, 0
	.set _ZL33csrmvn_symm_large_adaptive_kernelIiid21rocsparse_complex_numIdES1_S1_EvbT_PKS2_N9rocsparse24const_host_device_scalarIT4_EES4_PKT0_PKT1_PKT2_S8_PT3_21rocsparse_index_base_b.uses_vcc, 1
	.set _ZL33csrmvn_symm_large_adaptive_kernelIiid21rocsparse_complex_numIdES1_S1_EvbT_PKS2_N9rocsparse24const_host_device_scalarIT4_EES4_PKT0_PKT1_PKT2_S8_PT3_21rocsparse_index_base_b.uses_flat_scratch, 0
	.set _ZL33csrmvn_symm_large_adaptive_kernelIiid21rocsparse_complex_numIdES1_S1_EvbT_PKS2_N9rocsparse24const_host_device_scalarIT4_EES4_PKT0_PKT1_PKT2_S8_PT3_21rocsparse_index_base_b.has_dyn_sized_stack, 0
	.set _ZL33csrmvn_symm_large_adaptive_kernelIiid21rocsparse_complex_numIdES1_S1_EvbT_PKS2_N9rocsparse24const_host_device_scalarIT4_EES4_PKT0_PKT1_PKT2_S8_PT3_21rocsparse_index_base_b.has_recursion, 0
	.set _ZL33csrmvn_symm_large_adaptive_kernelIiid21rocsparse_complex_numIdES1_S1_EvbT_PKS2_N9rocsparse24const_host_device_scalarIT4_EES4_PKT0_PKT1_PKT2_S8_PT3_21rocsparse_index_base_b.has_indirect_call, 0
	.section	.AMDGPU.csdata,"",@progbits
; Kernel info:
; codeLenInByte = 2756
; TotalNumSgprs: 26
; NumVgprs: 27
; ScratchSize: 0
; MemoryBound: 0
; FloatMode: 240
; IeeeMode: 1
; LDSByteSize: 16384 bytes/workgroup (compile time only)
; SGPRBlocks: 0
; VGPRBlocks: 3
; NumSGPRsForWavesPerEU: 26
; NumVGPRsForWavesPerEU: 27
; Occupancy: 16
; WaveLimiterHint : 1
; COMPUTE_PGM_RSRC2:SCRATCH_EN: 0
; COMPUTE_PGM_RSRC2:USER_SGPR: 2
; COMPUTE_PGM_RSRC2:TRAP_HANDLER: 0
; COMPUTE_PGM_RSRC2:TGID_X_EN: 1
; COMPUTE_PGM_RSRC2:TGID_Y_EN: 0
; COMPUTE_PGM_RSRC2:TGID_Z_EN: 0
; COMPUTE_PGM_RSRC2:TIDIG_COMP_CNT: 0
	.section	.text._ZN9rocsparseL22csrmvn_adaptive_kernelIlid21rocsparse_complex_numIdES2_S2_EEvbT_PKS3_PjPKT0_NS_24const_host_device_scalarIT4_EES5_S9_PKT1_PKT2_SC_PT3_21rocsparse_index_base_b,"axG",@progbits,_ZN9rocsparseL22csrmvn_adaptive_kernelIlid21rocsparse_complex_numIdES2_S2_EEvbT_PKS3_PjPKT0_NS_24const_host_device_scalarIT4_EES5_S9_PKT1_PKT2_SC_PT3_21rocsparse_index_base_b,comdat
	.globl	_ZN9rocsparseL22csrmvn_adaptive_kernelIlid21rocsparse_complex_numIdES2_S2_EEvbT_PKS3_PjPKT0_NS_24const_host_device_scalarIT4_EES5_S9_PKT1_PKT2_SC_PT3_21rocsparse_index_base_b ; -- Begin function _ZN9rocsparseL22csrmvn_adaptive_kernelIlid21rocsparse_complex_numIdES2_S2_EEvbT_PKS3_PjPKT0_NS_24const_host_device_scalarIT4_EES5_S9_PKT1_PKT2_SC_PT3_21rocsparse_index_base_b
	.p2align	8
	.type	_ZN9rocsparseL22csrmvn_adaptive_kernelIlid21rocsparse_complex_numIdES2_S2_EEvbT_PKS3_PjPKT0_NS_24const_host_device_scalarIT4_EES5_S9_PKT1_PKT2_SC_PT3_21rocsparse_index_base_b,@function
_ZN9rocsparseL22csrmvn_adaptive_kernelIlid21rocsparse_complex_numIdES2_S2_EEvbT_PKS3_PjPKT0_NS_24const_host_device_scalarIT4_EES5_S9_PKT1_PKT2_SC_PT3_21rocsparse_index_base_b: ; @_ZN9rocsparseL22csrmvn_adaptive_kernelIlid21rocsparse_complex_numIdES2_S2_EEvbT_PKS3_PjPKT0_NS_24const_host_device_scalarIT4_EES5_S9_PKT1_PKT2_SC_PT3_21rocsparse_index_base_b
; %bb.0:
	s_clause 0x1
	s_load_b64 s[34:35], s[0:1], 0x70
	s_load_b64 s[2:3], s[0:1], 0x28
	s_add_nc_u64 s[4:5], s[0:1], 40
	s_load_b64 s[6:7], s[0:1], 0x58
	s_wait_kmcnt 0x0
	s_bitcmp1_b32 s35, 0
	s_cselect_b32 s2, s4, s2
	s_cselect_b32 s3, s5, s3
	s_delay_alu instid0(SALU_CYCLE_1)
	v_dual_mov_b32 v1, s2 :: v_dual_mov_b32 v2, s3
	s_add_nc_u64 s[2:3], s[0:1], 0x58
	s_wait_alu 0xfffe
	s_cselect_b32 s2, s2, s6
	s_cselect_b32 s3, s3, s7
	flat_load_b128 v[5:8], v[1:2]
	s_wait_alu 0xfffe
	v_dual_mov_b32 v1, s2 :: v_dual_mov_b32 v2, s3
	flat_load_b128 v[1:4], v[1:2]
	s_wait_loadcnt_dscnt 0x101
	v_cmp_eq_f64_e32 vcc_lo, 0, v[5:6]
	v_cmp_eq_f64_e64 s2, 0, v[7:8]
	s_and_b32 s4, vcc_lo, s2
	s_mov_b32 s2, -1
	s_and_saveexec_b32 s3, s4
	s_cbranch_execz .LBB103_2
; %bb.1:
	s_wait_loadcnt_dscnt 0x0
	v_cmp_neq_f64_e32 vcc_lo, 1.0, v[1:2]
	v_cmp_neq_f64_e64 s2, 0, v[3:4]
	s_wait_alu 0xfffe
	s_or_b32 s2, vcc_lo, s2
	s_wait_alu 0xfffe
	s_or_not1_b32 s2, s2, exec_lo
.LBB103_2:
	s_wait_alu 0xfffe
	s_or_b32 exec_lo, exec_lo, s3
	s_and_saveexec_b32 s3, s2
	s_cbranch_execz .LBB103_117
; %bb.3:
	s_clause 0x1
	s_load_b64 s[2:3], s[0:1], 0x10
	s_load_b64 s[6:7], s[0:1], 0x20
	s_mov_b32 s36, ttmp9
	s_ashr_i32 s37, ttmp9, 31
	s_delay_alu instid0(SALU_CYCLE_1)
	s_lshl_b64 s[4:5], s[36:37], 3
	s_lshl_b64 s[38:39], s[36:37], 2
	s_wait_kmcnt 0x0
	s_add_nc_u64 s[2:3], s[2:3], s[4:5]
	s_add_nc_u64 s[4:5], s[6:7], s[38:39]
	s_load_b128 s[20:23], s[2:3], 0x0
	s_clause 0x1
	s_load_b256 s[12:19], s[0:1], 0x38
	s_load_b64 s[24:25], s[0:1], 0x68
	s_wait_kmcnt 0x0
	s_lshl_b64 s[2:3], s[20:21], 3
	s_wait_alu 0xfffe
	s_add_nc_u64 s[28:29], s[12:13], s[2:3]
	s_load_b32 s26, s[4:5], 0x0
	s_load_b64 s[30:31], s[28:29], 0x0
	s_sub_co_i32 s3, s22, s20
	s_mov_b32 s2, -1
	s_wait_alu 0xfffe
	s_cmp_lt_i32 s3, 2
	s_cbranch_scc0 .LBB103_73
; %bb.4:
	s_cmp_lg_u32 s3, 1
	s_cselect_b32 s2, -1, 0
	s_wait_kmcnt 0x0
	s_cmp_lg_u32 s26, 0
	s_cselect_b32 s3, -1, 0
	s_wait_alu 0xfffe
	s_or_b32 s2, s2, s3
	s_wait_alu 0xfffe
	s_and_b32 vcc_lo, exec_lo, s2
	s_mov_b32 s2, -1
	s_cbranch_vccnz .LBB103_33
; %bb.5:
	v_cmp_le_i64_e64 s2, s[22:23], s[20:21]
	s_wait_alu 0xfffe
	s_and_b32 vcc_lo, exec_lo, s2
	s_cbranch_vccnz .LBB103_32
; %bb.6:
	s_wait_loadcnt_dscnt 0x0
	v_cmp_neq_f64_e32 vcc_lo, 0, v[1:2]
	v_cmp_neq_f64_e64 s10, 0, v[3:4]
	v_mul_f64_e32 v[13:14], 0x80000000, v[7:8]
	v_mul_f64_e32 v[15:16], 0, v[5:6]
	v_sub_co_u32 v24, s2, v0, s34
	v_dual_mov_b32 v23, 0 :: v_dual_lshlrev_b32 v26, 4, v0
	s_wait_alu 0xf1ff
	v_sub_co_ci_u32_e64 v25, null, 0, 0, s2
	v_cmp_gt_u32_e64 s2, 0x80, v0
	v_cmp_gt_u32_e64 s3, 64, v0
	;; [unrolled: 1-line block ×7, first 2 shown]
	v_cmp_eq_u32_e64 s9, 0, v0
	s_mov_b32 s35, 0
	s_mov_b64 s[40:41], s[20:21]
	s_or_b32 s11, vcc_lo, s10
	s_branch .LBB103_9
.LBB103_7:                              ;   in Loop: Header=BB103_9 Depth=1
	s_or_b32 exec_lo, exec_lo, s27
	s_lshl_b64 s[42:43], s[40:41], 4
	s_wait_alu 0xfffe
	s_add_nc_u64 s[42:43], s[24:25], s[42:43]
	s_wait_dscnt 0x0
	global_store_b128 v23, v[9:12], s[42:43]
.LBB103_8:                              ;   in Loop: Header=BB103_9 Depth=1
	s_wait_alu 0xfffe
	s_or_b32 exec_lo, exec_lo, s10
	s_add_nc_u64 s[40:41], s[40:41], 1
	s_wait_alu 0xfffe
	v_cmp_ge_i64_e64 s10, s[40:41], s[22:23]
	s_and_b32 vcc_lo, exec_lo, s10
	s_wait_alu 0xfffe
	s_cbranch_vccnz .LBB103_32
.LBB103_9:                              ; =>This Loop Header: Depth=1
                                        ;     Child Loop BB103_11 Depth 2
	s_lshl_b64 s[42:43], s[40:41], 3
	v_mov_b32_e32 v11, 0
	s_wait_alu 0xfffe
	s_add_nc_u64 s[42:43], s[12:13], s[42:43]
	v_dual_mov_b32 v12, 0 :: v_dual_mov_b32 v9, 0
	s_load_b128 s[44:47], s[42:43], 0x0
	v_mov_b32_e32 v10, 0
	s_mov_b32 s27, exec_lo
	s_wait_kmcnt 0x0
	v_add_co_u32 v17, vcc_lo, s44, v24
	s_wait_alu 0xfffd
	v_add_co_ci_u32_e64 v18, null, s45, v25, vcc_lo
	s_sub_nc_u64 s[42:43], s[46:47], s[34:35]
	s_wait_alu 0xfffe
	v_cmpx_gt_i64_e64 s[42:43], v[17:18]
	s_cbranch_execz .LBB103_13
; %bb.10:                               ;   in Loop: Header=BB103_9 Depth=1
	v_lshlrev_b64_e32 v[9:10], 3, v[17:18]
	v_lshlrev_b64_e32 v[21:22], 2, v[17:18]
	v_mov_b32_e32 v11, 0
	v_mov_b32_e32 v12, 0
	s_mov_b32 s33, 0
	s_delay_alu instid0(VALU_DEP_4)
	v_add_co_u32 v19, vcc_lo, s16, v9
	s_wait_alu 0xfffd
	v_add_co_ci_u32_e64 v20, null, s17, v10, vcc_lo
	v_add_co_u32 v21, vcc_lo, s14, v21
	s_wait_alu 0xfffd
	v_add_co_ci_u32_e64 v22, null, s15, v22, vcc_lo
	v_dual_mov_b32 v9, v11 :: v_dual_mov_b32 v10, v12
.LBB103_11:                             ;   Parent Loop BB103_9 Depth=1
                                        ; =>  This Inner Loop Header: Depth=2
	global_load_b32 v27, v[21:22], off
	global_load_b64 v[31:32], v[19:20], off
	v_add_co_u32 v21, s10, 0x400, v21
	s_wait_alu 0xf1ff
	v_add_co_ci_u32_e64 v22, null, 0, v22, s10
	s_wait_loadcnt 0x1
	v_subrev_nc_u32_e32 v27, s34, v27
	s_wait_loadcnt 0x0
	v_fma_f64 v[33:34], v[5:6], v[31:32], v[13:14]
	v_fma_f64 v[31:32], v[7:8], v[31:32], v[15:16]
	s_delay_alu instid0(VALU_DEP_3) | instskip(NEXT) | instid1(VALU_DEP_1)
	v_ashrrev_i32_e32 v28, 31, v27
	v_lshlrev_b64_e32 v[27:28], 4, v[27:28]
	s_delay_alu instid0(VALU_DEP_1) | instskip(SKIP_1) | instid1(VALU_DEP_2)
	v_add_co_u32 v27, vcc_lo, s18, v27
	s_wait_alu 0xfffd
	v_add_co_ci_u32_e64 v28, null, s19, v28, vcc_lo
	v_add_co_u32 v17, vcc_lo, 0x100, v17
	s_wait_alu 0xfffd
	v_add_co_ci_u32_e64 v18, null, 0, v18, vcc_lo
	global_load_b128 v[27:30], v[27:28], off
	v_add_co_u32 v19, vcc_lo, 0x800, v19
	s_wait_alu 0xfffd
	v_add_co_ci_u32_e64 v20, null, 0, v20, vcc_lo
	v_cmp_le_i64_e32 vcc_lo, s[42:43], v[17:18]
	s_or_b32 s33, vcc_lo, s33
	s_wait_loadcnt 0x0
	v_fma_f64 v[9:10], v[33:34], v[27:28], v[9:10]
	v_fma_f64 v[11:12], v[31:32], v[27:28], v[11:12]
	s_delay_alu instid0(VALU_DEP_2) | instskip(NEXT) | instid1(VALU_DEP_2)
	v_fma_f64 v[9:10], -v[31:32], v[29:30], v[9:10]
	v_fma_f64 v[11:12], v[33:34], v[29:30], v[11:12]
	s_and_not1_b32 exec_lo, exec_lo, s33
	s_cbranch_execnz .LBB103_11
; %bb.12:                               ;   in Loop: Header=BB103_9 Depth=1
	s_or_b32 exec_lo, exec_lo, s33
.LBB103_13:                             ;   in Loop: Header=BB103_9 Depth=1
	s_delay_alu instid0(SALU_CYCLE_1)
	s_or_b32 exec_lo, exec_lo, s27
	ds_store_b128 v26, v[9:12]
	s_wait_dscnt 0x0
	s_barrier_signal -1
	s_barrier_wait -1
	global_inv scope:SCOPE_SE
	s_and_saveexec_b32 s10, s2
	s_cbranch_execz .LBB103_15
; %bb.14:                               ;   in Loop: Header=BB103_9 Depth=1
	ds_load_b128 v[9:12], v26 offset:2048
	ds_load_b128 v[17:20], v26
	s_wait_dscnt 0x0
	v_add_f64_e32 v[9:10], v[9:10], v[17:18]
	v_add_f64_e32 v[11:12], v[11:12], v[19:20]
	ds_store_b128 v26, v[9:12]
.LBB103_15:                             ;   in Loop: Header=BB103_9 Depth=1
	s_wait_alu 0xfffe
	s_or_b32 exec_lo, exec_lo, s10
	s_wait_loadcnt_dscnt 0x0
	s_barrier_signal -1
	s_barrier_wait -1
	global_inv scope:SCOPE_SE
	s_and_saveexec_b32 s10, s3
	s_cbranch_execz .LBB103_17
; %bb.16:                               ;   in Loop: Header=BB103_9 Depth=1
	ds_load_b128 v[9:12], v26 offset:1024
	ds_load_b128 v[17:20], v26
	s_wait_dscnt 0x0
	v_add_f64_e32 v[9:10], v[9:10], v[17:18]
	v_add_f64_e32 v[11:12], v[11:12], v[19:20]
	ds_store_b128 v26, v[9:12]
.LBB103_17:                             ;   in Loop: Header=BB103_9 Depth=1
	s_wait_alu 0xfffe
	s_or_b32 exec_lo, exec_lo, s10
	s_wait_loadcnt_dscnt 0x0
	;; [unrolled: 16-line block ×6, first 2 shown]
	s_barrier_signal -1
	s_barrier_wait -1
	global_inv scope:SCOPE_SE
	s_and_saveexec_b32 s10, s8
	s_cbranch_execz .LBB103_27
; %bb.26:                               ;   in Loop: Header=BB103_9 Depth=1
	ds_load_b128 v[9:12], v26
	ds_load_b128 v[17:20], v26 offset:32
	s_wait_dscnt 0x0
	v_add_f64_e32 v[9:10], v[17:18], v[9:10]
	v_add_f64_e32 v[11:12], v[19:20], v[11:12]
	ds_store_b128 v26, v[9:12]
.LBB103_27:                             ;   in Loop: Header=BB103_9 Depth=1
	s_wait_alu 0xfffe
	s_or_b32 exec_lo, exec_lo, s10
	s_wait_loadcnt_dscnt 0x0
	s_barrier_signal -1
	s_barrier_wait -1
	global_inv scope:SCOPE_SE
	s_and_saveexec_b32 s10, s9
	s_cbranch_execz .LBB103_29
; %bb.28:                               ;   in Loop: Header=BB103_9 Depth=1
	ds_load_b128 v[9:12], v23
	ds_load_b128 v[17:20], v23 offset:16
	s_wait_dscnt 0x0
	v_add_f64_e32 v[9:10], v[17:18], v[9:10]
	v_add_f64_e32 v[11:12], v[19:20], v[11:12]
	ds_store_b128 v23, v[9:12]
.LBB103_29:                             ;   in Loop: Header=BB103_9 Depth=1
	s_wait_alu 0xfffe
	s_or_b32 exec_lo, exec_lo, s10
	s_wait_loadcnt_dscnt 0x0
	s_barrier_signal -1
	s_barrier_wait -1
	global_inv scope:SCOPE_SE
	s_and_saveexec_b32 s10, s9
	s_cbranch_execz .LBB103_8
; %bb.30:                               ;   in Loop: Header=BB103_9 Depth=1
	ds_load_b128 v[9:12], v23
	s_and_saveexec_b32 s27, s11
	s_cbranch_execz .LBB103_7
; %bb.31:                               ;   in Loop: Header=BB103_9 Depth=1
	s_lshl_b64 s[42:43], s[40:41], 4
	s_wait_alu 0xfffe
	s_add_nc_u64 s[42:43], s[24:25], s[42:43]
	global_load_b128 v[17:20], v23, s[42:43]
	s_wait_loadcnt_dscnt 0x0
	v_fma_f64 v[9:10], v[1:2], v[17:18], v[9:10]
	v_fma_f64 v[11:12], v[3:4], v[17:18], v[11:12]
	s_delay_alu instid0(VALU_DEP_2) | instskip(NEXT) | instid1(VALU_DEP_2)
	v_fma_f64 v[9:10], -v[3:4], v[19:20], v[9:10]
	v_fma_f64 v[11:12], v[1:2], v[19:20], v[11:12]
	s_branch .LBB103_7
.LBB103_32:
	s_mov_b32 s2, 0
.LBB103_33:
	s_wait_alu 0xfffe
	s_and_not1_b32 vcc_lo, exec_lo, s2
	s_wait_alu 0xfffe
	s_cbranch_vccnz .LBB103_72
; %bb.34:
	s_load_b64 s[6:7], s[0:1], 0x18
	v_mov_b32_e32 v13, 0
	v_mov_b32_e32 v9, 0
	v_dual_mov_b32 v10, 0 :: v_dual_mov_b32 v11, 0
	v_or_b32_e32 v14, s26, v0
	v_mov_b32_e32 v12, 0
	s_sub_co_i32 s8, s36, s26
	s_mov_b32 s35, 0
	s_mov_b32 s2, exec_lo
	s_wait_kmcnt 0x0
	s_add_nc_u64 s[4:5], s[6:7], s[38:39]
	global_load_b32 v23, v13, s[4:5]
	v_cmpx_eq_u32_e32 0, v14
	s_cbranch_execz .LBB103_38
; %bb.35:
	s_lshl_b64 s[10:11], s[20:21], 4
	s_wait_loadcnt_dscnt 0x100
	v_add_f64_e32 v[9:10], -1.0, v[1:2]
	s_wait_alu 0xfffe
	s_add_nc_u64 s[10:11], s[24:25], s[10:11]
	s_mov_b32 s3, exec_lo
	global_load_b128 v[11:14], v13, s[10:11]
	s_wait_alu 0xfffe
	v_mbcnt_lo_u32_b32 v17, s3, 0
	s_mov_b32 s10, exec_lo
	s_wait_loadcnt 0x0
	s_wait_storecnt 0x0
	global_inv scope:SCOPE_DEV
	v_mul_f64_e64 v[15:16], v[13:14], -v[3:4]
	v_mul_f64_e32 v[13:14], v[9:10], v[13:14]
	v_cmpx_eq_u32_e32 0, v17
	s_cbranch_execz .LBB103_37
; %bb.36:
	s_bcnt1_i32_b32 s3, s3
	s_ashr_i32 s9, s8, 31
	s_wait_alu 0xfffe
	s_and_b32 s3, s3, 1
	s_wait_alu 0xfffe
	v_dual_mov_b32 v17, 0 :: v_dual_mov_b32 v18, s3
	s_lshl_b64 s[36:37], s[8:9], 2
	s_delay_alu instid0(SALU_CYCLE_1)
	s_add_nc_u64 s[36:37], s[6:7], s[36:37]
	global_atomic_xor_b32 v17, v18, s[36:37] scope:SCOPE_DEV
.LBB103_37:
	s_wait_alu 0xfffe
	s_or_b32 exec_lo, exec_lo, s10
	s_delay_alu instid0(VALU_DEP_3) | instskip(NEXT) | instid1(VALU_DEP_3)
	v_fma_f64 v[9:10], v[9:10], v[11:12], v[15:16]
	v_fma_f64 v[11:12], v[3:4], v[11:12], v[13:14]
.LBB103_38:
	s_wait_alu 0xfffe
	s_or_b32 exec_lo, exec_lo, s2
	s_load_b64 s[2:3], s[28:29], 0x8
	s_ashr_i32 s27, s26, 31
	s_sub_nc_u64 s[36:37], s[30:31], s[34:35]
	s_wait_alu 0xfffe
	s_mul_u64 s[10:11], s[26:27], 0xc00
	s_wait_alu 0xfffe
	s_add_nc_u64 s[10:11], s[36:37], s[10:11]
	s_wait_alu 0xfffe
	v_add_co_u32 v13, s9, s10, v0
	s_delay_alu instid0(VALU_DEP_1)
	v_add_co_ci_u32_e64 v14, null, s11, 0, s9
	s_mov_b32 s9, exec_lo
	s_wait_kmcnt 0x0
	s_sub_nc_u64 s[2:3], s[2:3], s[34:35]
	s_wait_alu 0xfffe
	v_cmpx_gt_i64_e64 s[2:3], v[13:14]
	s_cbranch_execz .LBB103_42
; %bb.39:
	v_mul_f64_e32 v[15:16], 0x80000000, v[7:8]
	v_mul_f64_e32 v[17:18], 0, v[5:6]
	v_lshlrev_b64_e32 v[19:20], 3, v[13:14]
	v_lshlrev_b64_e32 v[21:22], 2, v[13:14]
	s_add_nc_u64 s[10:11], s[10:11], 0xc00
	s_wait_alu 0xfffe
	v_cmp_lt_i64_e64 s27, s[10:11], s[2:3]
	s_delay_alu instid0(VALU_DEP_3)
	v_add_co_u32 v19, vcc_lo, s16, v19
	s_wait_alu 0xfffd
	v_add_co_ci_u32_e64 v20, null, s17, v20, vcc_lo
	v_add_co_u32 v21, vcc_lo, s14, v21
	s_wait_alu 0xfffd
	v_add_co_ci_u32_e64 v22, null, s15, v22, vcc_lo
	s_and_b32 s27, s27, exec_lo
	s_cselect_b32 s11, s11, s3
	s_cselect_b32 s10, s10, s2
	s_mov_b32 s3, 0
.LBB103_40:                             ; =>This Inner Loop Header: Depth=1
	global_load_b32 v24, v[21:22], off
	global_load_b64 v[28:29], v[19:20], off
	v_add_co_u32 v21, s2, 0x400, v21
	s_wait_alu 0xf1ff
	v_add_co_ci_u32_e64 v22, null, 0, v22, s2
	s_wait_loadcnt 0x1
	v_subrev_nc_u32_e32 v24, s34, v24
	s_wait_loadcnt 0x0
	v_fma_f64 v[30:31], v[5:6], v[28:29], v[15:16]
	v_fma_f64 v[28:29], v[7:8], v[28:29], v[17:18]
	s_delay_alu instid0(VALU_DEP_3) | instskip(NEXT) | instid1(VALU_DEP_1)
	v_ashrrev_i32_e32 v25, 31, v24
	v_lshlrev_b64_e32 v[24:25], 4, v[24:25]
	s_delay_alu instid0(VALU_DEP_1) | instskip(SKIP_1) | instid1(VALU_DEP_2)
	v_add_co_u32 v24, vcc_lo, s18, v24
	s_wait_alu 0xfffd
	v_add_co_ci_u32_e64 v25, null, s19, v25, vcc_lo
	v_add_co_u32 v13, vcc_lo, 0x100, v13
	s_wait_alu 0xfffd
	v_add_co_ci_u32_e64 v14, null, 0, v14, vcc_lo
	global_load_b128 v[24:27], v[24:25], off
	v_add_co_u32 v19, vcc_lo, 0x800, v19
	s_wait_alu 0xfffd
	v_add_co_ci_u32_e64 v20, null, 0, v20, vcc_lo
	s_wait_alu 0xfffe
	v_cmp_le_i64_e32 vcc_lo, s[10:11], v[13:14]
	s_or_b32 s3, vcc_lo, s3
	s_wait_loadcnt 0x0
	v_fma_f64 v[9:10], v[30:31], v[24:25], v[9:10]
	v_fma_f64 v[11:12], v[28:29], v[24:25], v[11:12]
	s_delay_alu instid0(VALU_DEP_2) | instskip(NEXT) | instid1(VALU_DEP_2)
	v_fma_f64 v[9:10], -v[28:29], v[26:27], v[9:10]
	v_fma_f64 v[11:12], v[30:31], v[26:27], v[11:12]
	s_wait_alu 0xfffe
	s_and_not1_b32 exec_lo, exec_lo, s3
	s_cbranch_execnz .LBB103_40
; %bb.41:
	s_or_b32 exec_lo, exec_lo, s3
.LBB103_42:
	s_delay_alu instid0(SALU_CYCLE_1)
	s_or_b32 exec_lo, exec_lo, s9
	v_lshlrev_b32_e32 v13, 4, v0
	s_mov_b32 s2, exec_lo
	ds_store_b128 v13, v[9:12]
	s_wait_storecnt 0x0
	s_wait_loadcnt_dscnt 0x0
	s_barrier_signal -1
	s_barrier_wait -1
	global_inv scope:SCOPE_SE
	v_cmpx_gt_u32_e32 0x80, v0
	s_cbranch_execz .LBB103_44
; %bb.43:
	ds_load_b128 v[9:12], v13 offset:2048
	ds_load_b128 v[14:17], v13
	s_wait_dscnt 0x0
	v_add_f64_e32 v[9:10], v[9:10], v[14:15]
	v_add_f64_e32 v[11:12], v[11:12], v[16:17]
	ds_store_b128 v13, v[9:12]
.LBB103_44:
	s_wait_alu 0xfffe
	s_or_b32 exec_lo, exec_lo, s2
	s_delay_alu instid0(SALU_CYCLE_1)
	s_mov_b32 s2, exec_lo
	s_wait_loadcnt_dscnt 0x0
	s_barrier_signal -1
	s_barrier_wait -1
	global_inv scope:SCOPE_SE
	v_cmpx_gt_u32_e32 64, v0
	s_cbranch_execz .LBB103_46
; %bb.45:
	ds_load_b128 v[9:12], v13 offset:1024
	ds_load_b128 v[14:17], v13
	s_wait_dscnt 0x0
	v_add_f64_e32 v[9:10], v[9:10], v[14:15]
	v_add_f64_e32 v[11:12], v[11:12], v[16:17]
	ds_store_b128 v13, v[9:12]
.LBB103_46:
	s_wait_alu 0xfffe
	s_or_b32 exec_lo, exec_lo, s2
	s_delay_alu instid0(SALU_CYCLE_1)
	s_mov_b32 s2, exec_lo
	;; [unrolled: 18-line block ×6, first 2 shown]
	s_wait_loadcnt_dscnt 0x0
	s_barrier_signal -1
	s_barrier_wait -1
	global_inv scope:SCOPE_SE
	v_cmpx_gt_u32_e32 2, v0
	s_cbranch_execz .LBB103_56
; %bb.55:
	ds_load_b128 v[9:12], v13
	ds_load_b128 v[14:17], v13 offset:32
	s_wait_dscnt 0x0
	v_add_f64_e32 v[9:10], v[14:15], v[9:10]
	v_add_f64_e32 v[11:12], v[16:17], v[11:12]
	ds_store_b128 v13, v[9:12]
.LBB103_56:
	s_wait_alu 0xfffe
	s_or_b32 exec_lo, exec_lo, s2
	v_cmp_eq_u32_e32 vcc_lo, 0, v0
	s_wait_loadcnt_dscnt 0x0
	s_barrier_signal -1
	s_barrier_wait -1
	global_inv scope:SCOPE_SE
	s_and_saveexec_b32 s2, vcc_lo
	s_cbranch_execz .LBB103_58
; %bb.57:
	v_mov_b32_e32 v17, 0
	ds_load_b128 v[9:12], v17
	ds_load_b128 v[13:16], v17 offset:16
	s_wait_dscnt 0x0
	v_add_f64_e32 v[9:10], v[13:14], v[9:10]
	v_add_f64_e32 v[11:12], v[15:16], v[11:12]
	ds_store_b128 v17, v[9:12]
.LBB103_58:
	s_wait_alu 0xfffe
	s_or_b32 exec_lo, exec_lo, s2
	s_wait_loadcnt_dscnt 0x0
	s_barrier_signal -1
	s_barrier_wait -1
	global_inv scope:SCOPE_SE
	s_and_saveexec_b32 s10, vcc_lo
	s_cbranch_execz .LBB103_71
; %bb.59:
	s_cmp_eq_u32 s26, 0
	s_cbranch_scc1 .LBB103_65
; %bb.60:
	s_ashr_i32 s9, s8, 31
	v_mov_b32_e32 v9, 0
	s_wait_alu 0xfffe
	s_lshl_b64 s[2:3], s[8:9], 2
	s_wait_alu 0xfffe
	s_add_nc_u64 s[2:3], s[6:7], s[2:3]
	s_branch .LBB103_62
.LBB103_61:                             ;   in Loop: Header=BB103_62 Depth=1
	s_wait_alu 0xfffe
	s_or_b32 exec_lo, exec_lo, s6
	s_wait_loadcnt 0x0
	v_readfirstlane_b32 s6, v10
	s_wait_alu 0xf1ff
	s_delay_alu instid0(VALU_DEP_1)
	v_cmp_eq_u32_e32 vcc_lo, s6, v23
	s_cbranch_vccz .LBB103_64
.LBB103_62:                             ; =>This Inner Loop Header: Depth=1
	v_mbcnt_lo_u32_b32 v10, exec_lo, 0
	s_delay_alu instid0(VALU_DEP_1)
	v_cmp_eq_u32_e32 vcc_lo, 0, v10
                                        ; implicit-def: $vgpr10
	s_and_saveexec_b32 s6, vcc_lo
	s_cbranch_execz .LBB103_61
; %bb.63:                               ;   in Loop: Header=BB103_62 Depth=1
	global_load_b32 v10, v9, s[2:3] scope:SCOPE_DEV
	s_branch .LBB103_61
.LBB103_64:
	v_mov_b32_e32 v9, 0
	global_load_u16 v10, v9, s[4:5]
	s_wait_loadcnt 0x0
	v_xor_b32_e32 v10, 1, v10
	global_store_b16 v9, v10, s[4:5]
.LBB103_65:
	v_mov_b32_e32 v17, 0
	s_mov_b32 s5, exec_lo
	s_lshl_b64 s[2:3], s[20:21], 4
	v_mbcnt_lo_u32_b32 v13, s5, 0
	s_wait_alu 0xfffe
	s_add_nc_u64 s[2:3], s[24:25], s[2:3]
	ds_load_b128 v[9:12], v17
	s_mov_b32 s4, exec_lo
	v_cmpx_eq_u32_e32 0, v13
	s_cbranch_execz .LBB103_68
; %bb.66:
	global_load_b64 v[15:16], v17, s[2:3]
	s_bcnt1_i32_b32 s5, s5
	s_wait_alu 0xfffe
	v_cvt_f64_u32_e32 v[13:14], s5
	s_mov_b32 s5, 0
	s_wait_dscnt 0x0
	s_delay_alu instid0(VALU_DEP_1)
	v_mul_f64_e32 v[9:10], v[9:10], v[13:14]
.LBB103_67:                             ; =>This Inner Loop Header: Depth=1
	s_wait_loadcnt 0x0
	s_delay_alu instid0(VALU_DEP_1)
	v_add_f64_e32 v[13:14], v[15:16], v[9:10]
	global_atomic_cmpswap_b64 v[13:14], v17, v[13:16], s[2:3] th:TH_ATOMIC_RETURN scope:SCOPE_DEV
	s_wait_loadcnt 0x0
	v_cmp_eq_u64_e32 vcc_lo, v[13:14], v[15:16]
	v_dual_mov_b32 v16, v14 :: v_dual_mov_b32 v15, v13
	s_wait_alu 0xfffe
	s_or_b32 s5, vcc_lo, s5
	s_wait_alu 0xfffe
	s_and_not1_b32 exec_lo, exec_lo, s5
	s_cbranch_execnz .LBB103_67
.LBB103_68:
	s_wait_alu 0xfffe
	s_or_b32 exec_lo, exec_lo, s4
	s_delay_alu instid0(SALU_CYCLE_1) | instskip(SKIP_4) | instid1(VALU_DEP_1)
	s_mov_b32 s5, exec_lo
	s_mov_b32 s4, 0
	s_wait_dscnt 0x0
	s_wait_alu 0xfffe
	v_mbcnt_lo_u32_b32 v9, s5, 0
	v_cmp_eq_u32_e32 vcc_lo, 0, v9
	s_and_b32 s6, exec_lo, vcc_lo
	s_wait_alu 0xfffe
	s_mov_b32 exec_lo, s6
	s_cbranch_execz .LBB103_71
; %bb.69:
	v_mov_b32_e32 v15, 0
	s_bcnt1_i32_b32 s5, s5
	s_wait_alu 0xfffe
	v_cvt_f64_u32_e32 v[9:10], s5
	global_load_b64 v[13:14], v15, s[2:3] offset:8
	v_mul_f64_e32 v[9:10], v[11:12], v[9:10]
.LBB103_70:                             ; =>This Inner Loop Header: Depth=1
	s_wait_loadcnt 0x0
	s_delay_alu instid0(VALU_DEP_1)
	v_add_f64_e32 v[11:12], v[13:14], v[9:10]
	global_atomic_cmpswap_b64 v[11:12], v15, v[11:14], s[2:3] offset:8 th:TH_ATOMIC_RETURN scope:SCOPE_DEV
	s_wait_loadcnt 0x0
	v_cmp_eq_u64_e32 vcc_lo, v[11:12], v[13:14]
	v_dual_mov_b32 v14, v12 :: v_dual_mov_b32 v13, v11
	s_or_b32 s4, vcc_lo, s4
	s_wait_alu 0xfffe
	s_and_not1_b32 exec_lo, exec_lo, s4
	s_cbranch_execnz .LBB103_70
.LBB103_71:
	s_wait_alu 0xfffe
	s_or_b32 exec_lo, exec_lo, s10
.LBB103_72:
	s_mov_b32 s2, 0
.LBB103_73:
	s_wait_alu 0xfffe
	s_and_not1_b32 vcc_lo, exec_lo, s2
	s_wait_alu 0xfffe
	s_cbranch_vccnz .LBB103_117
; %bb.74:
	s_load_b64 s[0:1], s[0:1], 0x8
	v_sub_co_u32 v9, s2, v0, s34
	s_wait_alu 0xf1ff
	v_sub_co_ci_u32_e64 v10, null, 0, 0, s2
	s_mov_b32 s35, 0
	s_wait_kmcnt 0x0
	v_add_co_u32 v9, vcc_lo, s30, v9
	s_wait_alu 0xfffd
	v_add_co_ci_u32_e64 v10, null, s31, v10, vcc_lo
	s_delay_alu instid0(VALU_DEP_2) | instskip(SKIP_1) | instid1(VALU_DEP_2)
	v_add_co_u32 v11, vcc_lo, 0x300, v9
	s_wait_alu 0xfffd
	v_add_co_ci_u32_e64 v12, null, 0, v10, vcc_lo
	s_delay_alu instid0(VALU_DEP_1)
	v_cmp_le_i64_e32 vcc_lo, s[0:1], v[11:12]
	s_and_saveexec_b32 s0, vcc_lo
	s_wait_alu 0xfffe
	s_xor_b32 s1, exec_lo, s0
	s_cbranch_execz .LBB103_79
; %bb.75:
	s_lshl_b64 s[2:3], s[22:23], 3
	s_mov_b32 s4, exec_lo
	s_wait_alu 0xfffe
	s_add_nc_u64 s[2:3], s[12:13], s[2:3]
	s_load_b64 s[2:3], s[2:3], 0x0
	s_wait_kmcnt 0x0
	s_sub_nc_u64 s[2:3], s[2:3], s[34:35]
	s_wait_alu 0xfffe
	v_cmpx_gt_i64_e64 s[2:3], v[9:10]
	s_cbranch_execz .LBB103_78
; %bb.76:
	v_mul_f64_e32 v[11:12], 0x80000000, v[7:8]
	v_mul_f64_e32 v[13:14], 0, v[5:6]
	v_lshlrev_b64_e32 v[15:16], 3, v[9:10]
	v_lshlrev_b64_e32 v[17:18], 2, v[9:10]
	v_lshlrev_b32_e32 v19, 4, v0
	s_mov_b32 s5, 0
	s_delay_alu instid0(VALU_DEP_3)
	v_add_co_u32 v15, vcc_lo, s16, v15
	s_wait_alu 0xfffd
	v_add_co_ci_u32_e64 v16, null, s17, v16, vcc_lo
	v_add_co_u32 v17, vcc_lo, s14, v17
	s_wait_alu 0xfffd
	v_add_co_ci_u32_e64 v18, null, s15, v18, vcc_lo
.LBB103_77:                             ; =>This Inner Loop Header: Depth=1
	global_load_b32 v20, v[17:18], off
	global_load_b64 v[24:25], v[15:16], off
	s_wait_loadcnt 0x1
	v_subrev_nc_u32_e32 v20, s34, v20
	s_wait_loadcnt 0x0
	v_fma_f64 v[26:27], v[7:8], v[24:25], v[13:14]
	v_fma_f64 v[24:25], v[5:6], v[24:25], v[11:12]
	s_delay_alu instid0(VALU_DEP_3) | instskip(NEXT) | instid1(VALU_DEP_1)
	v_ashrrev_i32_e32 v21, 31, v20
	v_lshlrev_b64_e32 v[20:21], 4, v[20:21]
	s_delay_alu instid0(VALU_DEP_1) | instskip(SKIP_1) | instid1(VALU_DEP_2)
	v_add_co_u32 v20, vcc_lo, s18, v20
	s_wait_alu 0xfffd
	v_add_co_ci_u32_e64 v21, null, s19, v21, vcc_lo
	v_add_co_u32 v9, vcc_lo, 0x100, v9
	s_wait_alu 0xfffd
	v_add_co_ci_u32_e64 v10, null, 0, v10, vcc_lo
	global_load_b128 v[20:23], v[20:21], off
	v_add_co_u32 v15, vcc_lo, 0x800, v15
	v_cmp_le_i64_e64 s0, s[2:3], v[9:10]
	s_wait_alu 0xfffd
	v_add_co_ci_u32_e64 v16, null, 0, v16, vcc_lo
	v_add_co_u32 v17, vcc_lo, 0x400, v17
	s_wait_alu 0xfffd
	v_add_co_ci_u32_e64 v18, null, 0, v18, vcc_lo
	s_wait_alu 0xfffe
	s_or_b32 s5, s0, s5
	s_wait_loadcnt 0x0
	v_mul_f64_e64 v[28:29], v[22:23], -v[26:27]
	v_mul_f64_e32 v[30:31], v[24:25], v[22:23]
	s_delay_alu instid0(VALU_DEP_2) | instskip(NEXT) | instid1(VALU_DEP_2)
	v_fma_f64 v[22:23], v[24:25], v[20:21], v[28:29]
	v_fma_f64 v[24:25], v[26:27], v[20:21], v[30:31]
	ds_store_b128 v19, v[22:25]
	v_add_nc_u32_e32 v19, 0x1000, v19
	s_wait_alu 0xfffe
	s_and_not1_b32 exec_lo, exec_lo, s5
	s_cbranch_execnz .LBB103_77
.LBB103_78:
	s_or_b32 exec_lo, exec_lo, s4
                                        ; implicit-def: $vgpr7_vgpr8
                                        ; implicit-def: $vgpr9_vgpr10
.LBB103_79:
	s_wait_alu 0xfffe
	s_or_saveexec_b32 s0, s1
	v_lshlrev_b32_e32 v15, 4, v0
	s_wait_alu 0xfffe
	s_xor_b32 exec_lo, exec_lo, s0
	s_cbranch_execz .LBB103_81
; %bb.80:
	v_lshlrev_b64_e32 v[11:12], 2, v[9:10]
	v_lshlrev_b64_e32 v[9:10], 3, v[9:10]
	v_mul_f64_e32 v[34:35], 0, v[5:6]
	v_mul_f64_e32 v[36:37], 0x80000000, v[7:8]
	s_delay_alu instid0(VALU_DEP_4)
	v_add_co_u32 v11, vcc_lo, s14, v11
	s_wait_alu 0xfffd
	v_add_co_ci_u32_e64 v12, null, s15, v12, vcc_lo
	v_add_co_u32 v9, vcc_lo, s16, v9
	s_wait_alu 0xfffd
	v_add_co_ci_u32_e64 v10, null, s17, v10, vcc_lo
	s_clause 0x3
	global_load_b32 v16, v[11:12], off
	global_load_b32 v17, v[11:12], off offset:1024
	global_load_b32 v18, v[11:12], off offset:2048
	;; [unrolled: 1-line block ×3, first 2 shown]
	s_clause 0x3
	global_load_b64 v[13:14], v[9:10], off
	global_load_b64 v[28:29], v[9:10], off offset:2048
	global_load_b64 v[30:31], v[9:10], off offset:4096
	;; [unrolled: 1-line block ×3, first 2 shown]
	s_wait_loadcnt 0x7
	v_subrev_nc_u32_e32 v9, s34, v16
	s_wait_loadcnt 0x6
	v_subrev_nc_u32_e32 v11, s34, v17
	;; [unrolled: 2-line block ×4, first 2 shown]
	s_wait_loadcnt 0x3
	v_fma_f64 v[38:39], v[7:8], v[13:14], v[34:35]
	v_ashrrev_i32_e32 v10, 31, v9
	v_ashrrev_i32_e32 v12, 31, v11
	;; [unrolled: 1-line block ×4, first 2 shown]
	v_fma_f64 v[13:14], v[5:6], v[13:14], v[36:37]
	v_lshlrev_b64_e32 v[9:10], 4, v[9:10]
	v_lshlrev_b64_e32 v[11:12], 4, v[11:12]
	;; [unrolled: 1-line block ×4, first 2 shown]
	s_wait_loadcnt 0x2
	v_fma_f64 v[40:41], v[7:8], v[28:29], v[34:35]
	v_fma_f64 v[28:29], v[5:6], v[28:29], v[36:37]
	v_add_co_u32 v9, vcc_lo, s18, v9
	s_wait_alu 0xfffd
	v_add_co_ci_u32_e64 v10, null, s19, v10, vcc_lo
	v_add_co_u32 v20, vcc_lo, s18, v11
	s_wait_alu 0xfffd
	v_add_co_ci_u32_e64 v21, null, s19, v12, vcc_lo
	;; [unrolled: 3-line block ×3, first 2 shown]
	v_add_co_u32 v24, vcc_lo, s18, v18
	global_load_b128 v[9:12], v[9:10], off
	s_wait_alu 0xfffd
	v_add_co_ci_u32_e64 v25, null, s19, v19, vcc_lo
	s_clause 0x2
	global_load_b128 v[16:19], v[20:21], off
	global_load_b128 v[20:23], v[22:23], off
	;; [unrolled: 1-line block ×3, first 2 shown]
	s_wait_loadcnt 0x5
	v_fma_f64 v[42:43], v[7:8], v[30:31], v[34:35]
	v_fma_f64 v[30:31], v[5:6], v[30:31], v[36:37]
	s_wait_loadcnt 0x4
	v_fma_f64 v[34:35], v[7:8], v[32:33], v[34:35]
	v_fma_f64 v[32:33], v[5:6], v[32:33], v[36:37]
	s_wait_loadcnt 0x3
	v_mul_f64_e64 v[5:6], v[11:12], -v[38:39]
	v_mul_f64_e32 v[7:8], v[13:14], v[11:12]
	s_wait_loadcnt 0x2
	v_mul_f64_e64 v[11:12], v[18:19], -v[40:41]
	v_mul_f64_e32 v[18:19], v[28:29], v[18:19]
	;; [unrolled: 3-line block ×4, first 2 shown]
	v_fma_f64 v[5:6], v[13:14], v[9:10], v[5:6]
	v_fma_f64 v[7:8], v[38:39], v[9:10], v[7:8]
	;; [unrolled: 1-line block ×8, first 2 shown]
	ds_store_b128 v15, v[5:8]
	ds_store_b128 v15, v[9:12] offset:4096
	ds_store_b128 v15, v[16:19] offset:8192
	;; [unrolled: 1-line block ×3, first 2 shown]
.LBB103_81:
	s_or_b32 exec_lo, exec_lo, s0
	s_cmp_lt_i32 s26, 2
	s_mov_b32 s0, -1
	s_wait_storecnt 0x0
	s_wait_loadcnt_dscnt 0x0
	s_barrier_signal -1
	s_barrier_wait -1
	global_inv scope:SCOPE_SE
	s_cbranch_scc0 .LBB103_92
; %bb.82:
	v_add_co_u32 v13, s0, s20, v0
	s_wait_alu 0xf1fe
	v_add_co_ci_u32_e64 v14, null, s21, 0, s0
	s_mov_b32 s1, exec_lo
	v_cmpx_gt_i64_e64 s[22:23], v[13:14]
	s_cbranch_execz .LBB103_91
; %bb.83:
	v_cmp_neq_f64_e32 vcc_lo, 0, v[1:2]
	v_cmp_neq_f64_e64 s0, 0, v[3:4]
	s_lshl_b32 s4, s30, 4
	s_mov_b32 s2, 0
	s_wait_alu 0xfffe
	s_sub_co_i32 s4, 0, s4
	s_or_b32 s3, vcc_lo, s0
	s_branch .LBB103_85
.LBB103_84:                             ;   in Loop: Header=BB103_85 Depth=1
	s_wait_alu 0xfffe
	s_or_b32 exec_lo, exec_lo, s0
	v_add_co_u32 v13, vcc_lo, 0x100, v13
	s_wait_alu 0xfffd
	v_add_co_ci_u32_e64 v14, null, 0, v14, vcc_lo
	v_add_co_u32 v9, s0, s24, v9
	s_wait_alu 0xf1ff
	v_add_co_ci_u32_e64 v10, null, s25, v10, s0
	s_delay_alu instid0(VALU_DEP_3)
	v_cmp_le_i64_e32 vcc_lo, s[22:23], v[13:14]
	global_store_b128 v[9:10], v[5:8], off
	s_or_b32 s2, vcc_lo, s2
	s_wait_alu 0xfffe
	s_and_not1_b32 exec_lo, exec_lo, s2
	s_cbranch_execz .LBB103_91
.LBB103_85:                             ; =>This Loop Header: Depth=1
                                        ;     Child Loop BB103_87 Depth 2
	v_lshlrev_b64_e32 v[5:6], 3, v[13:14]
	v_mov_b32_e32 v7, 0
	v_mov_b32_e32 v8, 0
	s_mov_b32 s0, exec_lo
	s_delay_alu instid0(VALU_DEP_3)
	v_add_co_u32 v5, vcc_lo, s12, v5
	s_wait_alu 0xfffd
	v_add_co_ci_u32_e64 v6, null, s13, v6, vcc_lo
	global_load_b128 v[9:12], v[5:6], off
	v_mov_b32_e32 v5, 0
	v_mov_b32_e32 v6, 0
	s_wait_loadcnt 0x0
	v_subrev_nc_u32_e32 v10, s30, v9
	v_subrev_nc_u32_e32 v11, s30, v11
	s_delay_alu instid0(VALU_DEP_1)
	v_cmpx_lt_i32_e64 v10, v11
	s_cbranch_execz .LBB103_89
; %bb.86:                               ;   in Loop: Header=BB103_85 Depth=1
	v_mov_b32_e32 v7, 0
	v_mov_b32_e32 v8, 0
	s_wait_alu 0xfffe
	v_lshl_add_u32 v9, v9, 4, s4
	s_delay_alu instid0(VALU_DEP_3)
	v_mov_b32_e32 v5, v7
	s_mov_b32 s5, 0
	v_mov_b32_e32 v6, v8
.LBB103_87:                             ;   Parent Loop BB103_85 Depth=1
                                        ; =>  This Inner Loop Header: Depth=2
	ds_load_b128 v[16:19], v9
	v_add_nc_u32_e32 v10, 1, v10
	v_add_nc_u32_e32 v9, 16, v9
	s_delay_alu instid0(VALU_DEP_2)
	v_cmp_ge_i32_e32 vcc_lo, v10, v11
	s_wait_alu 0xfffe
	s_or_b32 s5, vcc_lo, s5
	s_wait_dscnt 0x0
	v_add_f64_e32 v[5:6], v[5:6], v[16:17]
	v_add_f64_e32 v[7:8], v[7:8], v[18:19]
	s_wait_alu 0xfffe
	s_and_not1_b32 exec_lo, exec_lo, s5
	s_cbranch_execnz .LBB103_87
; %bb.88:                               ;   in Loop: Header=BB103_85 Depth=1
	s_or_b32 exec_lo, exec_lo, s5
.LBB103_89:                             ;   in Loop: Header=BB103_85 Depth=1
	s_wait_alu 0xfffe
	s_or_b32 exec_lo, exec_lo, s0
	v_lshlrev_b64_e32 v[9:10], 4, v[13:14]
	s_and_saveexec_b32 s0, s3
	s_cbranch_execz .LBB103_84
; %bb.90:                               ;   in Loop: Header=BB103_85 Depth=1
	s_delay_alu instid0(VALU_DEP_1) | instskip(SKIP_1) | instid1(VALU_DEP_2)
	v_add_co_u32 v11, vcc_lo, s24, v9
	s_wait_alu 0xfffd
	v_add_co_ci_u32_e64 v12, null, s25, v10, vcc_lo
	global_load_b128 v[16:19], v[11:12], off
	s_wait_loadcnt 0x0
	v_fma_f64 v[5:6], v[1:2], v[16:17], v[5:6]
	v_fma_f64 v[7:8], v[3:4], v[16:17], v[7:8]
	s_delay_alu instid0(VALU_DEP_2) | instskip(NEXT) | instid1(VALU_DEP_2)
	v_fma_f64 v[5:6], -v[3:4], v[18:19], v[5:6]
	v_fma_f64 v[7:8], v[1:2], v[18:19], v[7:8]
	s_branch .LBB103_84
.LBB103_91:
	s_wait_alu 0xfffe
	s_or_b32 exec_lo, exec_lo, s1
	s_mov_b32 s0, 0
.LBB103_92:
	s_wait_alu 0xfffe
	s_and_not1_b32 vcc_lo, exec_lo, s0
	s_wait_alu 0xfffe
	s_cbranch_vccnz .LBB103_117
; %bb.93:
	s_clz_i32_u32 s0, s26
	s_mov_b32 s1, exec_lo
	s_wait_alu 0xfffe
	s_xor_b32 s0, s0, 31
	s_wait_alu 0xfffe
	v_lshrrev_b32_e32 v11, s0, v0
	s_delay_alu instid0(VALU_DEP_1)
	v_add_co_u32 v9, s0, s20, v11
	s_wait_alu 0xf1ff
	v_add_co_ci_u32_e64 v10, null, s21, 0, s0
	s_add_co_i32 s0, s26, -1
	s_wait_alu 0xfffe
	v_dual_mov_b32 v5, 0 :: v_dual_and_b32 v0, s0, v0
	v_mov_b32_e32 v6, 0
	v_cmp_le_i64_e32 vcc_lo, s[22:23], v[9:10]
	s_delay_alu instid0(VALU_DEP_2)
	v_dual_mov_b32 v8, v6 :: v_dual_mov_b32 v7, v5
	v_cmpx_gt_i64_e64 s[22:23], v[9:10]
	s_cbranch_execz .LBB103_99
; %bb.94:
	v_lshlrev_b32_e32 v5, 3, v11
	v_mov_b32_e32 v7, 0
	v_mov_b32_e32 v8, 0
	s_mov_b32 s2, exec_lo
	s_clause 0x1
	global_load_b32 v6, v5, s[28:29]
	global_load_b32 v5, v5, s[28:29] offset:8
	s_wait_loadcnt 0x1
	v_subrev_nc_u32_e32 v6, s30, v6
	s_wait_loadcnt 0x0
	v_subrev_nc_u32_e32 v11, s30, v5
	s_delay_alu instid0(VALU_DEP_2) | instskip(SKIP_1) | instid1(VALU_DEP_2)
	v_dual_mov_b32 v5, 0 :: v_dual_add_nc_u32 v12, v0, v6
	v_mov_b32_e32 v6, 0
	v_cmpx_lt_i32_e64 v12, v11
	s_cbranch_execz .LBB103_98
; %bb.95:
	v_mov_b32_e32 v7, 0
	v_dual_mov_b32 v8, 0 :: v_dual_lshlrev_b32 v13, 4, v12
	s_delay_alu instid0(VALU_DEP_2) | instskip(SKIP_2) | instid1(VALU_DEP_2)
	v_mov_b32_e32 v5, v7
	s_lshl_b32 s4, s26, 4
	s_mov_b32 s3, 0
	v_mov_b32_e32 v6, v8
.LBB103_96:                             ; =>This Inner Loop Header: Depth=1
	ds_load_b128 v[16:19], v13
	v_add_nc_u32_e32 v12, s26, v12
	s_wait_alu 0xfffe
	v_add_nc_u32_e32 v13, s4, v13
	s_delay_alu instid0(VALU_DEP_2)
	v_cmp_ge_i32_e64 s0, v12, v11
	s_or_b32 s3, s0, s3
	s_wait_dscnt 0x0
	v_add_f64_e32 v[5:6], v[5:6], v[16:17]
	v_add_f64_e32 v[7:8], v[7:8], v[18:19]
	s_wait_alu 0xfffe
	s_and_not1_b32 exec_lo, exec_lo, s3
	s_cbranch_execnz .LBB103_96
; %bb.97:
	s_or_b32 exec_lo, exec_lo, s3
.LBB103_98:
	s_wait_alu 0xfffe
	s_or_b32 exec_lo, exec_lo, s2
.LBB103_99:
	s_delay_alu instid0(SALU_CYCLE_1)
	s_or_b32 exec_lo, exec_lo, s1
	s_cmp_lt_u32 s26, 0x81
	s_wait_loadcnt 0x0
	s_wait_storecnt 0x0
	s_barrier_signal -1
	s_barrier_wait -1
	global_inv scope:SCOPE_SE
	ds_store_b128 v15, v[5:8]
	s_wait_loadcnt_dscnt 0x0
	s_barrier_signal -1
	s_barrier_wait -1
	global_inv scope:SCOPE_SE
	s_cbranch_scc1 .LBB103_101
; %bb.100:
	ds_load_b128 v[11:14], v15 offset:2048
	s_wait_loadcnt_dscnt 0x0
	s_barrier_signal -1
	s_barrier_wait -1
	global_inv scope:SCOPE_SE
	v_add_f64_e32 v[5:6], v[5:6], v[11:12]
	v_add_f64_e32 v[7:8], v[7:8], v[13:14]
	ds_store_b128 v15, v[5:8]
.LBB103_101:
	s_cmp_lt_u32 s26, 0x41
	s_wait_loadcnt_dscnt 0x0
	s_barrier_signal -1
	s_barrier_wait -1
	global_inv scope:SCOPE_SE
	s_cbranch_scc1 .LBB103_103
; %bb.102:
	ds_load_b128 v[11:14], v15 offset:1024
	s_wait_loadcnt_dscnt 0x0
	s_barrier_signal -1
	s_barrier_wait -1
	global_inv scope:SCOPE_SE
	v_add_f64_e32 v[5:6], v[5:6], v[11:12]
	v_add_f64_e32 v[7:8], v[7:8], v[13:14]
	ds_store_b128 v15, v[5:8]
.LBB103_103:
	s_cmp_lt_u32 s26, 33
	;; [unrolled: 16-line block ×5, first 2 shown]
	s_wait_loadcnt_dscnt 0x0
	s_barrier_signal -1
	s_barrier_wait -1
	global_inv scope:SCOPE_SE
	s_cbranch_scc1 .LBB103_111
; %bb.110:
	ds_load_b128 v[11:14], v15 offset:64
	s_wait_loadcnt_dscnt 0x0
	s_barrier_signal -1
	s_barrier_wait -1
	global_inv scope:SCOPE_SE
	v_add_f64_e32 v[5:6], v[5:6], v[11:12]
	v_add_f64_e32 v[7:8], v[7:8], v[13:14]
	ds_store_b128 v15, v[5:8]
.LBB103_111:
	s_cmp_eq_u32 s26, 2
	s_wait_loadcnt_dscnt 0x0
	s_barrier_signal -1
	s_barrier_wait -1
	global_inv scope:SCOPE_SE
	s_cbranch_scc1 .LBB103_113
; %bb.112:
	ds_load_b128 v[11:14], v15 offset:32
	s_wait_loadcnt_dscnt 0x0
	s_barrier_signal -1
	s_barrier_wait -1
	global_inv scope:SCOPE_SE
	v_add_f64_e32 v[5:6], v[5:6], v[11:12]
	v_add_f64_e32 v[7:8], v[7:8], v[13:14]
	ds_store_b128 v15, v[5:8]
.LBB103_113:
	s_wait_loadcnt_dscnt 0x0
	s_barrier_signal -1
	s_barrier_wait -1
	global_inv scope:SCOPE_SE
	ds_load_b128 v[11:14], v15 offset:16
	v_cmp_eq_u32_e64 s0, 0, v0
	s_xor_b32 s1, vcc_lo, -1
	s_wait_loadcnt_dscnt 0x0
	s_barrier_signal -1
	s_barrier_wait -1
	s_wait_alu 0xfffe
	s_and_b32 s0, s0, s1
	global_inv scope:SCOPE_SE
	v_add_f64_e32 v[5:6], v[5:6], v[11:12]
	v_add_f64_e32 v[7:8], v[7:8], v[13:14]
	ds_store_b128 v15, v[5:8]
	s_wait_alu 0xfffe
	s_and_b32 exec_lo, exec_lo, s0
	s_cbranch_execz .LBB103_117
; %bb.114:
	v_cmp_neq_f64_e32 vcc_lo, 0, v[1:2]
	v_cmp_neq_f64_e64 s0, 0, v[3:4]
	v_lshlrev_b64_e32 v[9:10], 4, v[9:10]
	s_or_b32 s1, vcc_lo, s0
	s_wait_alu 0xfffe
	s_and_saveexec_b32 s0, s1
	s_cbranch_execz .LBB103_116
; %bb.115:
	s_delay_alu instid0(VALU_DEP_1)
	v_add_co_u32 v11, vcc_lo, s24, v9
	s_wait_alu 0xfffd
	v_add_co_ci_u32_e64 v12, null, s25, v10, vcc_lo
	global_load_b128 v[11:14], v[11:12], off
	s_wait_loadcnt 0x0
	v_fma_f64 v[5:6], v[1:2], v[11:12], v[5:6]
	v_fma_f64 v[7:8], v[3:4], v[11:12], v[7:8]
	s_delay_alu instid0(VALU_DEP_2) | instskip(NEXT) | instid1(VALU_DEP_2)
	v_fma_f64 v[5:6], -v[3:4], v[13:14], v[5:6]
	v_fma_f64 v[7:8], v[1:2], v[13:14], v[7:8]
.LBB103_116:
	s_wait_alu 0xfffe
	s_or_b32 exec_lo, exec_lo, s0
	v_add_co_u32 v0, vcc_lo, s24, v9
	s_wait_alu 0xfffd
	v_add_co_ci_u32_e64 v1, null, s25, v10, vcc_lo
	global_store_b128 v[0:1], v[5:8], off
.LBB103_117:
	s_endpgm
	.section	.rodata,"a",@progbits
	.p2align	6, 0x0
	.amdhsa_kernel _ZN9rocsparseL22csrmvn_adaptive_kernelIlid21rocsparse_complex_numIdES2_S2_EEvbT_PKS3_PjPKT0_NS_24const_host_device_scalarIT4_EES5_S9_PKT1_PKT2_SC_PT3_21rocsparse_index_base_b
		.amdhsa_group_segment_fixed_size 16384
		.amdhsa_private_segment_fixed_size 0
		.amdhsa_kernarg_size 120
		.amdhsa_user_sgpr_count 2
		.amdhsa_user_sgpr_dispatch_ptr 0
		.amdhsa_user_sgpr_queue_ptr 0
		.amdhsa_user_sgpr_kernarg_segment_ptr 1
		.amdhsa_user_sgpr_dispatch_id 0
		.amdhsa_user_sgpr_private_segment_size 0
		.amdhsa_wavefront_size32 1
		.amdhsa_uses_dynamic_stack 0
		.amdhsa_enable_private_segment 0
		.amdhsa_system_sgpr_workgroup_id_x 1
		.amdhsa_system_sgpr_workgroup_id_y 0
		.amdhsa_system_sgpr_workgroup_id_z 0
		.amdhsa_system_sgpr_workgroup_info 0
		.amdhsa_system_vgpr_workitem_id 0
		.amdhsa_next_free_vgpr 46
		.amdhsa_next_free_sgpr 48
		.amdhsa_reserve_vcc 1
		.amdhsa_float_round_mode_32 0
		.amdhsa_float_round_mode_16_64 0
		.amdhsa_float_denorm_mode_32 3
		.amdhsa_float_denorm_mode_16_64 3
		.amdhsa_fp16_overflow 0
		.amdhsa_workgroup_processor_mode 1
		.amdhsa_memory_ordered 1
		.amdhsa_forward_progress 1
		.amdhsa_inst_pref_size 51
		.amdhsa_round_robin_scheduling 0
		.amdhsa_exception_fp_ieee_invalid_op 0
		.amdhsa_exception_fp_denorm_src 0
		.amdhsa_exception_fp_ieee_div_zero 0
		.amdhsa_exception_fp_ieee_overflow 0
		.amdhsa_exception_fp_ieee_underflow 0
		.amdhsa_exception_fp_ieee_inexact 0
		.amdhsa_exception_int_div_zero 0
	.end_amdhsa_kernel
	.section	.text._ZN9rocsparseL22csrmvn_adaptive_kernelIlid21rocsparse_complex_numIdES2_S2_EEvbT_PKS3_PjPKT0_NS_24const_host_device_scalarIT4_EES5_S9_PKT1_PKT2_SC_PT3_21rocsparse_index_base_b,"axG",@progbits,_ZN9rocsparseL22csrmvn_adaptive_kernelIlid21rocsparse_complex_numIdES2_S2_EEvbT_PKS3_PjPKT0_NS_24const_host_device_scalarIT4_EES5_S9_PKT1_PKT2_SC_PT3_21rocsparse_index_base_b,comdat
.Lfunc_end103:
	.size	_ZN9rocsparseL22csrmvn_adaptive_kernelIlid21rocsparse_complex_numIdES2_S2_EEvbT_PKS3_PjPKT0_NS_24const_host_device_scalarIT4_EES5_S9_PKT1_PKT2_SC_PT3_21rocsparse_index_base_b, .Lfunc_end103-_ZN9rocsparseL22csrmvn_adaptive_kernelIlid21rocsparse_complex_numIdES2_S2_EEvbT_PKS3_PjPKT0_NS_24const_host_device_scalarIT4_EES5_S9_PKT1_PKT2_SC_PT3_21rocsparse_index_base_b
                                        ; -- End function
	.set _ZN9rocsparseL22csrmvn_adaptive_kernelIlid21rocsparse_complex_numIdES2_S2_EEvbT_PKS3_PjPKT0_NS_24const_host_device_scalarIT4_EES5_S9_PKT1_PKT2_SC_PT3_21rocsparse_index_base_b.num_vgpr, 46
	.set _ZN9rocsparseL22csrmvn_adaptive_kernelIlid21rocsparse_complex_numIdES2_S2_EEvbT_PKS3_PjPKT0_NS_24const_host_device_scalarIT4_EES5_S9_PKT1_PKT2_SC_PT3_21rocsparse_index_base_b.num_agpr, 0
	.set _ZN9rocsparseL22csrmvn_adaptive_kernelIlid21rocsparse_complex_numIdES2_S2_EEvbT_PKS3_PjPKT0_NS_24const_host_device_scalarIT4_EES5_S9_PKT1_PKT2_SC_PT3_21rocsparse_index_base_b.numbered_sgpr, 48
	.set _ZN9rocsparseL22csrmvn_adaptive_kernelIlid21rocsparse_complex_numIdES2_S2_EEvbT_PKS3_PjPKT0_NS_24const_host_device_scalarIT4_EES5_S9_PKT1_PKT2_SC_PT3_21rocsparse_index_base_b.num_named_barrier, 0
	.set _ZN9rocsparseL22csrmvn_adaptive_kernelIlid21rocsparse_complex_numIdES2_S2_EEvbT_PKS3_PjPKT0_NS_24const_host_device_scalarIT4_EES5_S9_PKT1_PKT2_SC_PT3_21rocsparse_index_base_b.private_seg_size, 0
	.set _ZN9rocsparseL22csrmvn_adaptive_kernelIlid21rocsparse_complex_numIdES2_S2_EEvbT_PKS3_PjPKT0_NS_24const_host_device_scalarIT4_EES5_S9_PKT1_PKT2_SC_PT3_21rocsparse_index_base_b.uses_vcc, 1
	.set _ZN9rocsparseL22csrmvn_adaptive_kernelIlid21rocsparse_complex_numIdES2_S2_EEvbT_PKS3_PjPKT0_NS_24const_host_device_scalarIT4_EES5_S9_PKT1_PKT2_SC_PT3_21rocsparse_index_base_b.uses_flat_scratch, 0
	.set _ZN9rocsparseL22csrmvn_adaptive_kernelIlid21rocsparse_complex_numIdES2_S2_EEvbT_PKS3_PjPKT0_NS_24const_host_device_scalarIT4_EES5_S9_PKT1_PKT2_SC_PT3_21rocsparse_index_base_b.has_dyn_sized_stack, 0
	.set _ZN9rocsparseL22csrmvn_adaptive_kernelIlid21rocsparse_complex_numIdES2_S2_EEvbT_PKS3_PjPKT0_NS_24const_host_device_scalarIT4_EES5_S9_PKT1_PKT2_SC_PT3_21rocsparse_index_base_b.has_recursion, 0
	.set _ZN9rocsparseL22csrmvn_adaptive_kernelIlid21rocsparse_complex_numIdES2_S2_EEvbT_PKS3_PjPKT0_NS_24const_host_device_scalarIT4_EES5_S9_PKT1_PKT2_SC_PT3_21rocsparse_index_base_b.has_indirect_call, 0
	.section	.AMDGPU.csdata,"",@progbits
; Kernel info:
; codeLenInByte = 6404
; TotalNumSgprs: 50
; NumVgprs: 46
; ScratchSize: 0
; MemoryBound: 0
; FloatMode: 240
; IeeeMode: 1
; LDSByteSize: 16384 bytes/workgroup (compile time only)
; SGPRBlocks: 0
; VGPRBlocks: 5
; NumSGPRsForWavesPerEU: 50
; NumVGPRsForWavesPerEU: 46
; Occupancy: 16
; WaveLimiterHint : 1
; COMPUTE_PGM_RSRC2:SCRATCH_EN: 0
; COMPUTE_PGM_RSRC2:USER_SGPR: 2
; COMPUTE_PGM_RSRC2:TRAP_HANDLER: 0
; COMPUTE_PGM_RSRC2:TGID_X_EN: 1
; COMPUTE_PGM_RSRC2:TGID_Y_EN: 0
; COMPUTE_PGM_RSRC2:TGID_Z_EN: 0
; COMPUTE_PGM_RSRC2:TIDIG_COMP_CNT: 0
	.section	.text._ZN9rocsparseL27csrmvn_symm_adaptive_kernelIlid21rocsparse_complex_numIdES2_S2_EEvbT_S3_PKS3_NS_24const_host_device_scalarIT4_EES5_PKT0_PKT1_PKT2_S8_PT3_21rocsparse_index_base_b,"axG",@progbits,_ZN9rocsparseL27csrmvn_symm_adaptive_kernelIlid21rocsparse_complex_numIdES2_S2_EEvbT_S3_PKS3_NS_24const_host_device_scalarIT4_EES5_PKT0_PKT1_PKT2_S8_PT3_21rocsparse_index_base_b,comdat
	.globl	_ZN9rocsparseL27csrmvn_symm_adaptive_kernelIlid21rocsparse_complex_numIdES2_S2_EEvbT_S3_PKS3_NS_24const_host_device_scalarIT4_EES5_PKT0_PKT1_PKT2_S8_PT3_21rocsparse_index_base_b ; -- Begin function _ZN9rocsparseL27csrmvn_symm_adaptive_kernelIlid21rocsparse_complex_numIdES2_S2_EEvbT_S3_PKS3_NS_24const_host_device_scalarIT4_EES5_PKT0_PKT1_PKT2_S8_PT3_21rocsparse_index_base_b
	.p2align	8
	.type	_ZN9rocsparseL27csrmvn_symm_adaptive_kernelIlid21rocsparse_complex_numIdES2_S2_EEvbT_S3_PKS3_NS_24const_host_device_scalarIT4_EES5_PKT0_PKT1_PKT2_S8_PT3_21rocsparse_index_base_b,@function
_ZN9rocsparseL27csrmvn_symm_adaptive_kernelIlid21rocsparse_complex_numIdES2_S2_EEvbT_S3_PKS3_NS_24const_host_device_scalarIT4_EES5_PKT0_PKT1_PKT2_S8_PT3_21rocsparse_index_base_b: ; @_ZN9rocsparseL27csrmvn_symm_adaptive_kernelIlid21rocsparse_complex_numIdES2_S2_EEvbT_S3_PKS3_NS_24const_host_device_scalarIT4_EES5_PKT0_PKT1_PKT2_S8_PT3_21rocsparse_index_base_b
; %bb.0:
	s_clause 0x1
	s_load_b64 s[24:25], s[0:1], 0x68
	s_load_b64 s[4:5], s[0:1], 0x20
	s_add_nc_u64 s[6:7], s[0:1], 32
	s_wait_kmcnt 0x0
	s_bitcmp1_b32 s25, 0
	s_cselect_b32 s3, -1, 0
	s_delay_alu instid0(SALU_CYCLE_1) | instskip(SKIP_2) | instid1(SALU_CYCLE_1)
	s_and_b32 s2, s3, exec_lo
	s_cselect_b32 s2, s6, s4
	s_cselect_b32 s4, s7, s5
	v_dual_mov_b32 v1, s2 :: v_dual_mov_b32 v2, s4
	flat_load_b128 v[2:5], v[1:2]
	s_wait_loadcnt_dscnt 0x0
	v_cmp_eq_f64_e32 vcc_lo, 0, v[2:3]
	v_cmp_eq_f64_e64 s2, 0, v[4:5]
	s_and_b32 s5, vcc_lo, s2
	s_mov_b32 s2, -1
	s_wait_alu 0xfffe
	s_and_saveexec_b32 s4, s5
	s_cbranch_execz .LBB104_2
; %bb.1:
	s_load_b64 s[6:7], s[0:1], 0x50
	s_add_nc_u64 s[8:9], s[0:1], 0x50
	s_and_b32 s2, s3, exec_lo
	s_wait_kmcnt 0x0
	s_cselect_b32 s2, s8, s6
	s_cselect_b32 s3, s9, s7
	s_wait_alu 0xfffe
	v_dual_mov_b32 v6, s2 :: v_dual_mov_b32 v7, s3
	flat_load_b128 v[6:9], v[6:7]
	s_wait_loadcnt_dscnt 0x0
	v_cmp_neq_f64_e32 vcc_lo, 1.0, v[6:7]
	v_cmp_neq_f64_e64 s2, 0, v[8:9]
	s_or_b32 s2, vcc_lo, s2
	s_wait_alu 0xfffe
	s_or_not1_b32 s2, s2, exec_lo
.LBB104_2:
	s_wait_alu 0xfffe
	s_or_b32 exec_lo, exec_lo, s4
	s_and_saveexec_b32 s3, s2
	s_cbranch_execz .LBB104_199
; %bb.3:
	s_load_b64 s[8:9], s[0:1], 0x18
	s_mov_b32 s25, 0
	s_mov_b32 s2, ttmp9
	s_mov_b32 s7, s25
	s_mov_b32 s4, s25
	;; [unrolled: 1-line block ×4, first 2 shown]
	v_dual_mov_b32 v9, s7 :: v_dual_lshlrev_b32 v28, 4, v0
	s_ashr_i32 s3, ttmp9, 31
	s_wait_alu 0xfffe
	v_dual_mov_b32 v8, s6 :: v_dual_mov_b32 v7, s5
	v_mov_b32_e32 v6, s4
	s_lshl_b64 s[2:3], s[2:3], 3
	ds_store_b128 v28, v[6:9]
	ds_store_b128 v28, v[6:9] offset:4096
	ds_store_b128 v28, v[6:9] offset:8192
	ds_store_b128 v28, v[6:9] offset:12288
	s_wait_dscnt 0x0
	s_barrier_signal -1
	s_wait_kmcnt 0x0
	s_wait_alu 0xfffe
	s_add_nc_u64 s[2:3], s[8:9], s[2:3]
	s_barrier_wait -1
	global_inv scope:SCOPE_SE
	s_load_b128 s[16:19], s[2:3], 0x0
	s_clause 0x1
	s_load_b64 s[20:21], s[0:1], 0x60
	s_load_b256 s[8:15], s[0:1], 0x30
	s_wait_kmcnt 0x0
	s_sub_nc_u64 s[22:23], s[18:19], s[16:17]
	s_delay_alu instid0(SALU_CYCLE_1)
	v_cmp_gt_i64_e64 s2, s[22:23], 2
	s_and_b32 vcc_lo, exec_lo, s2
	s_mov_b32 s2, -1
	s_cbranch_vccnz .LBB104_47
; %bb.4:
	v_cmp_le_i64_e64 s2, s[18:19], s[16:17]
	v_sub_co_u32 v1, s3, v0, s24
	v_mov_b32_e32 v17, 0
	s_wait_alu 0xf1ff
	v_sub_co_ci_u32_e64 v16, null, 0, 0, s3
	s_wait_alu 0xfffe
	s_and_b32 vcc_lo, exec_lo, s2
	s_cbranch_vccnz .LBB104_34
; %bb.5:
	v_cmp_gt_u32_e64 s2, 0x100, v0
	v_cmp_gt_u32_e64 s3, 64, v0
	;; [unrolled: 1-line block ×4, first 2 shown]
	v_cmp_eq_u32_e64 s6, 0, v0
	s_mov_b64 s[26:27], s[16:17]
	s_branch .LBB104_7
.LBB104_6:                              ;   in Loop: Header=BB104_7 Depth=1
	s_wait_alu 0xfffe
	s_or_b32 exec_lo, exec_lo, s7
	s_add_nc_u64 s[26:27], s[26:27], 1
	s_wait_alu 0xfffe
	v_cmp_ge_i64_e64 s7, s[26:27], s[18:19]
	s_and_b32 vcc_lo, exec_lo, s7
	s_wait_alu 0xfffe
	s_cbranch_vccnz .LBB104_34
.LBB104_7:                              ; =>This Loop Header: Depth=1
                                        ;     Child Loop BB104_9 Depth 2
                                        ;     Child Loop BB104_23 Depth 2
	;; [unrolled: 1-line block ×5, first 2 shown]
	s_lshl_b64 s[28:29], s[26:27], 3
	v_mov_b32_e32 v8, 0
	s_wait_alu 0xfffe
	s_add_nc_u64 s[28:29], s[8:9], s[28:29]
	v_dual_mov_b32 v9, 0 :: v_dual_mov_b32 v6, 0
	s_load_b128 s[28:31], s[28:29], 0x0
	v_mov_b32_e32 v7, 0
	s_wait_kmcnt 0x0
	v_add_co_u32 v10, vcc_lo, s28, v1
	s_wait_alu 0xfffd
	v_add_co_ci_u32_e64 v11, null, s29, v16, vcc_lo
	s_sub_nc_u64 s[28:29], s[30:31], s[24:25]
	s_mov_b32 s30, exec_lo
	s_wait_alu 0xfffe
	v_cmpx_gt_i64_e64 s[28:29], v[10:11]
	s_cbranch_execz .LBB104_11
; %bb.8:                                ;   in Loop: Header=BB104_7 Depth=1
	v_lshlrev_b64_e32 v[6:7], 2, v[10:11]
	v_lshlrev_b64_e32 v[14:15], 3, v[10:11]
	v_mov_b32_e32 v8, 0
	v_mov_b32_e32 v9, 0
	s_mov_b32 s31, 0
	s_delay_alu instid0(VALU_DEP_4)
	v_add_co_u32 v12, vcc_lo, s10, v6
	s_wait_alu 0xfffd
	v_add_co_ci_u32_e64 v13, null, s11, v7, vcc_lo
	v_add_co_u32 v14, vcc_lo, s12, v14
	s_wait_alu 0xfffd
	v_add_co_ci_u32_e64 v15, null, s13, v15, vcc_lo
	v_dual_mov_b32 v6, v8 :: v_dual_mov_b32 v7, v9
.LBB104_9:                              ;   Parent Loop BB104_7 Depth=1
                                        ; =>  This Inner Loop Header: Depth=2
	global_load_b32 v18, v[12:13], off
	s_wait_loadcnt 0x0
	v_subrev_nc_u32_e32 v18, s24, v18
	s_delay_alu instid0(VALU_DEP_1) | instskip(NEXT) | instid1(VALU_DEP_1)
	v_ashrrev_i32_e32 v19, 31, v18
	v_lshlrev_b64_e32 v[18:19], 4, v[18:19]
	s_delay_alu instid0(VALU_DEP_1) | instskip(SKIP_1) | instid1(VALU_DEP_2)
	v_add_co_u32 v18, vcc_lo, s14, v18
	s_wait_alu 0xfffd
	v_add_co_ci_u32_e64 v19, null, s15, v19, vcc_lo
	v_add_co_u32 v10, vcc_lo, 0x100, v10
	global_load_b64 v[22:23], v[14:15], off
	global_load_b128 v[18:21], v[18:19], off
	s_wait_alu 0xfffd
	v_add_co_ci_u32_e64 v11, null, 0, v11, vcc_lo
	v_add_co_u32 v12, vcc_lo, 0x400, v12
	s_wait_alu 0xfffd
	v_add_co_ci_u32_e64 v13, null, 0, v13, vcc_lo
	s_delay_alu instid0(VALU_DEP_3)
	v_cmp_le_i64_e32 vcc_lo, s[28:29], v[10:11]
	v_add_co_u32 v14, s7, 0x800, v14
	s_wait_alu 0xf1ff
	v_add_co_ci_u32_e64 v15, null, 0, v15, s7
	s_wait_alu 0xfffe
	s_or_b32 s31, vcc_lo, s31
	s_wait_loadcnt 0x0
	v_fma_f64 v[6:7], v[22:23], v[18:19], v[6:7]
	v_fma_f64 v[8:9], v[18:19], 0, v[8:9]
	s_delay_alu instid0(VALU_DEP_2) | instskip(NEXT) | instid1(VALU_DEP_2)
	v_fma_f64 v[6:7], 0x80000000, v[20:21], v[6:7]
	v_fma_f64 v[8:9], v[22:23], v[20:21], v[8:9]
	s_wait_alu 0xfffe
	s_and_not1_b32 exec_lo, exec_lo, s31
	s_cbranch_execnz .LBB104_9
; %bb.10:                               ;   in Loop: Header=BB104_7 Depth=1
	s_or_b32 exec_lo, exec_lo, s31
.LBB104_11:                             ;   in Loop: Header=BB104_7 Depth=1
	s_delay_alu instid0(SALU_CYCLE_1)
	s_or_b32 exec_lo, exec_lo, s30
	ds_store_b128 v28, v[6:9]
	s_wait_loadcnt_dscnt 0x0
	s_barrier_signal -1
	s_barrier_wait -1
	global_inv scope:SCOPE_SE
	s_and_saveexec_b32 s7, s2
	s_cbranch_execz .LBB104_13
; %bb.12:                               ;   in Loop: Header=BB104_7 Depth=1
	ds_load_b128 v[6:9], v28 offset:4096
	ds_load_b128 v[10:13], v28 offset:8192
	ds_load_b128 v[18:21], v28 offset:12288
	ds_load_b128 v[22:25], v28
	s_wait_dscnt 0x2
	v_add_f64_e32 v[6:7], v[10:11], v[6:7]
	v_add_f64_e32 v[8:9], v[12:13], v[8:9]
	s_wait_dscnt 0x1
	s_delay_alu instid0(VALU_DEP_2) | instskip(NEXT) | instid1(VALU_DEP_2)
	v_add_f64_e32 v[6:7], v[6:7], v[18:19]
	v_add_f64_e32 v[8:9], v[8:9], v[20:21]
	s_wait_dscnt 0x0
	s_delay_alu instid0(VALU_DEP_2) | instskip(NEXT) | instid1(VALU_DEP_2)
	v_add_f64_e32 v[6:7], v[6:7], v[22:23]
	v_add_f64_e32 v[8:9], v[8:9], v[24:25]
	ds_store_b128 v28, v[6:9]
.LBB104_13:                             ;   in Loop: Header=BB104_7 Depth=1
	s_wait_alu 0xfffe
	s_or_b32 exec_lo, exec_lo, s7
	s_wait_loadcnt_dscnt 0x0
	s_barrier_signal -1
	s_barrier_wait -1
	global_inv scope:SCOPE_SE
	s_and_saveexec_b32 s7, s3
	s_cbranch_execz .LBB104_15
; %bb.14:                               ;   in Loop: Header=BB104_7 Depth=1
	ds_load_b128 v[6:9], v28 offset:1024
	ds_load_b128 v[10:13], v28 offset:2048
	ds_load_b128 v[18:21], v28 offset:3072
	ds_load_b128 v[22:25], v28
	s_wait_dscnt 0x2
	v_add_f64_e32 v[6:7], v[10:11], v[6:7]
	v_add_f64_e32 v[8:9], v[12:13], v[8:9]
	s_wait_dscnt 0x1
	s_delay_alu instid0(VALU_DEP_2) | instskip(NEXT) | instid1(VALU_DEP_2)
	v_add_f64_e32 v[6:7], v[6:7], v[18:19]
	v_add_f64_e32 v[8:9], v[8:9], v[20:21]
	s_wait_dscnt 0x0
	s_delay_alu instid0(VALU_DEP_2) | instskip(NEXT) | instid1(VALU_DEP_2)
	v_add_f64_e32 v[6:7], v[6:7], v[22:23]
	v_add_f64_e32 v[8:9], v[8:9], v[24:25]
	ds_store_b128 v28, v[6:9]
.LBB104_15:                             ;   in Loop: Header=BB104_7 Depth=1
	s_wait_alu 0xfffe
	s_or_b32 exec_lo, exec_lo, s7
	;; [unrolled: 26-line block ×5, first 2 shown]
	s_wait_loadcnt_dscnt 0x0
	s_barrier_signal -1
	s_barrier_wait -1
	global_inv scope:SCOPE_SE
	s_and_saveexec_b32 s7, s6
	s_cbranch_execz .LBB104_6
; %bb.22:                               ;   in Loop: Header=BB104_7 Depth=1
	ds_load_b128 v[6:9], v17
	v_mov_b32_e32 v14, 0
	v_bfrev_b32_e32 v15, 1
	s_mov_b32 s28, exec_lo
	s_wait_dscnt 0x0
	v_mul_f64_e64 v[10:11], v[8:9], -v[4:5]
	s_delay_alu instid0(VALU_DEP_1)
	v_fma_f64 v[10:11], v[2:3], v[6:7], v[10:11]
.LBB104_23:                             ;   Parent Loop BB104_7 Depth=1
                                        ; =>  This Inner Loop Header: Depth=2
	s_wait_alu 0xfffe
	s_ctz_i32_b32 s29, s28
	s_wait_alu 0xfffe
	s_delay_alu instid0(VALU_DEP_1) | instskip(NEXT) | instid1(VALU_DEP_2)
	v_readlane_b32 s31, v11, s29
	v_readlane_b32 s30, v10, s29
	s_lshl_b32 s29, 1, s29
	s_wait_alu 0xfffe
	s_and_not1_b32 s28, s28, s29
	v_add_f64_e32 v[14:15], s[30:31], v[14:15]
	s_wait_alu 0xfffe
	s_cmp_lg_u32 s28, 0
	s_cbranch_scc1 .LBB104_23
; %bb.24:                               ;   in Loop: Header=BB104_7 Depth=1
	v_mbcnt_lo_u32_b32 v10, exec_lo, 0
	s_lshl_b64 s[28:29], s[26:27], 4
	s_mov_b32 s30, exec_lo
	s_wait_alu 0xfffe
	s_add_nc_u64 s[28:29], s[20:21], s[28:29]
	v_cmpx_eq_u32_e32 0, v10
	s_xor_b32 s30, exec_lo, s30
	s_cbranch_execz .LBB104_28
; %bb.25:                               ;   in Loop: Header=BB104_7 Depth=1
	global_load_b64 v[12:13], v17, s[28:29]
	s_mov_b32 s31, 0
.LBB104_26:                             ;   Parent Loop BB104_7 Depth=1
                                        ; =>  This Inner Loop Header: Depth=2
	s_wait_loadcnt 0x0
	v_add_f64_e32 v[10:11], v[12:13], v[14:15]
	global_atomic_cmpswap_b64 v[10:11], v17, v[10:13], s[28:29] th:TH_ATOMIC_RETURN scope:SCOPE_DEV
	s_wait_loadcnt 0x0
	v_cmp_eq_u64_e32 vcc_lo, v[10:11], v[12:13]
	v_dual_mov_b32 v13, v11 :: v_dual_mov_b32 v12, v10
	s_wait_alu 0xfffe
	s_or_b32 s31, vcc_lo, s31
	s_wait_alu 0xfffe
	s_and_not1_b32 exec_lo, exec_lo, s31
	s_cbranch_execnz .LBB104_26
; %bb.27:                               ;   in Loop: Header=BB104_7 Depth=1
	s_or_b32 exec_lo, exec_lo, s31
.LBB104_28:                             ;   in Loop: Header=BB104_7 Depth=1
	s_wait_alu 0xfffe
	s_or_b32 exec_lo, exec_lo, s30
	v_mul_f64_e32 v[8:9], v[2:3], v[8:9]
	v_mov_b32_e32 v10, 0
	v_bfrev_b32_e32 v11, 1
	s_mov_b32 s30, exec_lo
	s_delay_alu instid0(VALU_DEP_3)
	v_fma_f64 v[6:7], v[4:5], v[6:7], v[8:9]
.LBB104_29:                             ;   Parent Loop BB104_7 Depth=1
                                        ; =>  This Inner Loop Header: Depth=2
	s_wait_alu 0xfffe
	s_ctz_i32_b32 s31, s30
	s_wait_alu 0xfffe
	s_delay_alu instid0(VALU_DEP_1) | instskip(NEXT) | instid1(VALU_DEP_2)
	v_readlane_b32 s35, v7, s31
	v_readlane_b32 s34, v6, s31
	s_lshl_b32 s31, 1, s31
	s_wait_alu 0xfffe
	s_and_not1_b32 s30, s30, s31
	v_add_f64_e32 v[10:11], s[34:35], v[10:11]
	s_wait_alu 0xfffe
	s_cmp_lg_u32 s30, 0
	s_cbranch_scc1 .LBB104_29
; %bb.30:                               ;   in Loop: Header=BB104_7 Depth=1
	v_mbcnt_lo_u32_b32 v6, exec_lo, 0
	s_mov_b32 s30, exec_lo
	s_delay_alu instid0(VALU_DEP_1)
	v_cmpx_eq_u32_e32 0, v6
	s_wait_alu 0xfffe
	s_xor_b32 s30, exec_lo, s30
	s_cbranch_execz .LBB104_6
; %bb.31:                               ;   in Loop: Header=BB104_7 Depth=1
	global_load_b64 v[8:9], v17, s[28:29] offset:8
	s_mov_b32 s30, 0
.LBB104_32:                             ;   Parent Loop BB104_7 Depth=1
                                        ; =>  This Inner Loop Header: Depth=2
	s_wait_loadcnt 0x0
	v_add_f64_e32 v[6:7], v[8:9], v[10:11]
	global_atomic_cmpswap_b64 v[6:7], v17, v[6:9], s[28:29] offset:8 th:TH_ATOMIC_RETURN scope:SCOPE_DEV
	s_wait_loadcnt 0x0
	v_cmp_eq_u64_e32 vcc_lo, v[6:7], v[8:9]
	v_dual_mov_b32 v9, v7 :: v_dual_mov_b32 v8, v6
	s_wait_alu 0xfffe
	s_or_b32 s30, vcc_lo, s30
	s_wait_alu 0xfffe
	s_and_not1_b32 exec_lo, exec_lo, s30
	s_cbranch_execnz .LBB104_32
; %bb.33:                               ;   in Loop: Header=BB104_7 Depth=1
	s_or_b32 exec_lo, exec_lo, s30
	s_branch .LBB104_6
.LBB104_34:
	s_lshl_b64 s[2:3], s[16:17], 3
	s_lshl_b64 s[4:5], s[18:19], 3
	s_wait_alu 0xfffe
	s_add_nc_u64 s[2:3], s[8:9], s[2:3]
	s_add_nc_u64 s[4:5], s[8:9], s[4:5]
	s_clause 0x1
	s_load_b64 s[2:3], s[2:3], 0x0
	s_load_b64 s[4:5], s[4:5], 0x0
	s_wait_kmcnt 0x0
	v_add_co_u32 v14, vcc_lo, s2, v1
	s_wait_alu 0xfffd
	v_add_co_ci_u32_e64 v15, null, s3, v16, vcc_lo
	s_sub_nc_u64 s[4:5], s[4:5], s[24:25]
	s_mov_b32 s3, exec_lo
	s_wait_alu 0xfffe
	v_cmpx_gt_i64_e64 s[4:5], v[14:15]
	s_cbranch_execz .LBB104_46
; %bb.35:
	v_mul_f64_e32 v[16:17], 0x80000000, v[4:5]
	v_mul_f64_e32 v[18:19], 0, v[2:3]
	s_add_nc_u64 s[6:7], s[18:19], -1
	s_add_nc_u64 s[26:27], s[18:19], -2
	s_wait_alu 0xfffe
	v_cmp_lt_i64_e64 s2, s[16:17], s[6:7]
	s_cmp_lg_u64 s[16:17], s[26:27]
	s_mov_b32 s26, 0
	s_cselect_b32 s25, -1, 0
	s_wait_alu 0xfffe
	s_and_b32 s25, s2, s25
	s_branch .LBB104_37
.LBB104_36:                             ;   in Loop: Header=BB104_37 Depth=1
	s_wait_alu 0xfffe
	s_or_b32 exec_lo, exec_lo, s2
	v_add_co_u32 v14, vcc_lo, 0x100, v14
	s_wait_alu 0xfffd
	v_add_co_ci_u32_e64 v15, null, 0, v15, vcc_lo
	s_delay_alu instid0(VALU_DEP_1)
	v_cmp_le_i64_e32 vcc_lo, s[4:5], v[14:15]
	s_or_b32 s26, vcc_lo, s26
	s_wait_alu 0xfffe
	s_and_not1_b32 exec_lo, exec_lo, s26
	s_cbranch_execz .LBB104_46
.LBB104_37:                             ; =>This Loop Header: Depth=1
                                        ;     Child Loop BB104_39 Depth 2
                                        ;     Child Loop BB104_43 Depth 2
	;; [unrolled: 1-line block ×3, first 2 shown]
	v_dual_mov_b32 v6, s16 :: v_dual_mov_b32 v7, s17
	v_dual_mov_b32 v9, s7 :: v_dual_mov_b32 v8, s6
	s_wait_alu 0xfffe
	s_and_not1_b32 vcc_lo, exec_lo, s25
	s_wait_alu 0xfffe
	s_cbranch_vccnz .LBB104_41
; %bb.38:                               ;   in Loop: Header=BB104_37 Depth=1
	v_dual_mov_b32 v6, s16 :: v_dual_mov_b32 v7, s17
	v_dual_mov_b32 v9, s7 :: v_dual_mov_b32 v8, s6
	s_mov_b32 s27, 0
.LBB104_39:                             ;   Parent Loop BB104_37 Depth=1
                                        ; =>  This Inner Loop Header: Depth=2
	s_delay_alu instid0(VALU_DEP_1) | instskip(SKIP_1) | instid1(VALU_DEP_2)
	v_add_co_u32 v1, vcc_lo, v8, v6
	s_wait_alu 0xfffd
	v_add_co_ci_u32_e64 v11, null, v9, v7, vcc_lo
	s_delay_alu instid0(VALU_DEP_1) | instskip(NEXT) | instid1(VALU_DEP_1)
	v_lshrrev_b32_e32 v10, 31, v11
	v_add_co_u32 v10, vcc_lo, v1, v10
	s_wait_alu 0xfffd
	v_add_co_ci_u32_e64 v11, null, 0, v11, vcc_lo
	s_delay_alu instid0(VALU_DEP_1) | instskip(NEXT) | instid1(VALU_DEP_1)
	v_ashrrev_i64 v[10:11], 1, v[10:11]
	v_lshlrev_b64_e32 v[12:13], 3, v[10:11]
	s_delay_alu instid0(VALU_DEP_1) | instskip(SKIP_1) | instid1(VALU_DEP_2)
	v_add_co_u32 v12, vcc_lo, s8, v12
	s_wait_alu 0xfffd
	v_add_co_ci_u32_e64 v13, null, s9, v13, vcc_lo
	global_load_b64 v[12:13], v[12:13], off
	s_wait_loadcnt 0x0
	v_sub_co_u32 v12, vcc_lo, v12, s24
	s_wait_alu 0xfffd
	v_subrev_co_ci_u32_e64 v13, null, 0, v13, vcc_lo
	s_delay_alu instid0(VALU_DEP_1) | instskip(SKIP_3) | instid1(VALU_DEP_2)
	v_cmp_lt_i64_e32 vcc_lo, v[14:15], v[12:13]
	s_wait_alu 0xfffd
	v_dual_cndmask_b32 v9, v9, v11 :: v_dual_cndmask_b32 v8, v8, v10
	v_dual_cndmask_b32 v7, v11, v7 :: v_dual_cndmask_b32 v6, v10, v6
	v_add_co_u32 v10, vcc_lo, v8, -1
	s_wait_alu 0xfffd
	s_delay_alu instid0(VALU_DEP_3) | instskip(NEXT) | instid1(VALU_DEP_3)
	v_add_co_ci_u32_e64 v11, null, -1, v9, vcc_lo
	v_cmp_ge_i64_e32 vcc_lo, v[6:7], v[8:9]
	s_delay_alu instid0(VALU_DEP_2)
	v_cmp_eq_u64_e64 s2, v[6:7], v[10:11]
	s_or_b32 s2, vcc_lo, s2
	s_wait_alu 0xfffe
	s_and_b32 s2, exec_lo, s2
	s_wait_alu 0xfffe
	s_or_b32 s27, s2, s27
	s_wait_alu 0xfffe
	s_and_not1_b32 exec_lo, exec_lo, s27
	s_cbranch_execnz .LBB104_39
; %bb.40:                               ;   in Loop: Header=BB104_37 Depth=1
	s_or_b32 exec_lo, exec_lo, s27
.LBB104_41:                             ;   in Loop: Header=BB104_37 Depth=1
	v_lshlrev_b64_e32 v[10:11], 3, v[8:9]
	v_lshlrev_b64_e32 v[12:13], 2, v[14:15]
	s_mov_b32 s2, exec_lo
	s_delay_alu instid0(VALU_DEP_2) | instskip(SKIP_1) | instid1(VALU_DEP_3)
	v_add_co_u32 v10, vcc_lo, s8, v10
	s_wait_alu 0xfffd
	v_add_co_ci_u32_e64 v11, null, s9, v11, vcc_lo
	s_delay_alu instid0(VALU_DEP_3)
	v_add_co_u32 v12, vcc_lo, s10, v12
	s_wait_alu 0xfffd
	v_add_co_ci_u32_e64 v13, null, s11, v13, vcc_lo
	global_load_b64 v[10:11], v[10:11], off
	global_load_b32 v1, v[12:13], off
	s_wait_loadcnt 0x1
	v_sub_co_u32 v10, vcc_lo, v10, s24
	s_wait_alu 0xfffd
	v_subrev_co_ci_u32_e64 v11, null, 0, v11, vcc_lo
	s_delay_alu instid0(VALU_DEP_1) | instskip(SKIP_2) | instid1(VALU_DEP_1)
	v_cmp_lt_i64_e32 vcc_lo, v[14:15], v[10:11]
	s_wait_loadcnt 0x0
	v_subrev_nc_u32_e32 v10, s24, v1
	v_ashrrev_i32_e32 v11, 31, v10
	s_wait_alu 0xfffd
	v_dual_cndmask_b32 v7, v9, v7 :: v_dual_cndmask_b32 v6, v8, v6
	s_delay_alu instid0(VALU_DEP_1)
	v_cmpx_ne_u64_e64 v[6:7], v[10:11]
	s_cbranch_execz .LBB104_36
; %bb.42:                               ;   in Loop: Header=BB104_37 Depth=1
	v_lshlrev_b64_e32 v[8:9], 3, v[14:15]
	v_lshlrev_b64_e32 v[6:7], 4, v[6:7]
	;; [unrolled: 1-line block ×3, first 2 shown]
	s_mov_b32 s27, 0
	s_delay_alu instid0(VALU_DEP_3)
	v_add_co_u32 v8, vcc_lo, s12, v8
	s_wait_alu 0xfffd
	v_add_co_ci_u32_e64 v9, null, s13, v9, vcc_lo
	v_add_co_u32 v6, vcc_lo, s14, v6
	s_wait_alu 0xfffd
	v_add_co_ci_u32_e64 v7, null, s15, v7, vcc_lo
	global_load_b64 v[24:25], v[8:9], off
	v_add_co_u32 v20, vcc_lo, s20, v10
	global_load_b128 v[6:9], v[6:7], off
	s_wait_alu 0xfffd
	v_add_co_ci_u32_e64 v21, null, s21, v11, vcc_lo
	global_load_b64 v[12:13], v[20:21], off
	s_wait_loadcnt 0x2
	v_fma_f64 v[22:23], v[4:5], v[24:25], v[18:19]
	v_fma_f64 v[24:25], v[2:3], v[24:25], v[16:17]
	s_wait_loadcnt 0x1
	s_delay_alu instid0(VALU_DEP_2) | instskip(NEXT) | instid1(VALU_DEP_1)
	v_mul_f64_e64 v[10:11], v[8:9], -v[22:23]
	v_fma_f64 v[26:27], v[24:25], v[6:7], v[10:11]
.LBB104_43:                             ;   Parent Loop BB104_37 Depth=1
                                        ; =>  This Inner Loop Header: Depth=2
	s_wait_loadcnt 0x0
	s_delay_alu instid0(VALU_DEP_1)
	v_add_f64_e32 v[10:11], v[12:13], v[26:27]
	global_atomic_cmpswap_b64 v[10:11], v[20:21], v[10:13], off th:TH_ATOMIC_RETURN scope:SCOPE_DEV
	s_wait_loadcnt 0x0
	v_cmp_eq_u64_e32 vcc_lo, v[10:11], v[12:13]
	v_dual_mov_b32 v13, v11 :: v_dual_mov_b32 v12, v10
	s_wait_alu 0xfffe
	s_or_b32 s27, vcc_lo, s27
	s_wait_alu 0xfffe
	s_and_not1_b32 exec_lo, exec_lo, s27
	s_cbranch_execnz .LBB104_43
; %bb.44:                               ;   in Loop: Header=BB104_37 Depth=1
	s_or_b32 exec_lo, exec_lo, s27
	global_load_b64 v[10:11], v[20:21], off offset:8
	v_mul_f64_e32 v[8:9], v[24:25], v[8:9]
	s_mov_b32 s27, 0
	s_delay_alu instid0(VALU_DEP_1)
	v_fma_f64 v[6:7], v[22:23], v[6:7], v[8:9]
.LBB104_45:                             ;   Parent Loop BB104_37 Depth=1
                                        ; =>  This Inner Loop Header: Depth=2
	s_wait_loadcnt 0x0
	s_delay_alu instid0(VALU_DEP_1)
	v_add_f64_e32 v[8:9], v[10:11], v[6:7]
	global_atomic_cmpswap_b64 v[8:9], v[20:21], v[8:11], off offset:8 th:TH_ATOMIC_RETURN scope:SCOPE_DEV
	s_wait_loadcnt 0x0
	v_cmp_eq_u64_e32 vcc_lo, v[8:9], v[10:11]
	v_dual_mov_b32 v11, v9 :: v_dual_mov_b32 v10, v8
	s_wait_alu 0xfffe
	s_or_b32 s27, vcc_lo, s27
	s_wait_alu 0xfffe
	s_and_not1_b32 exec_lo, exec_lo, s27
	s_cbranch_execnz .LBB104_45
	s_branch .LBB104_36
.LBB104_46:
	s_or_b32 exec_lo, exec_lo, s3
	s_mov_b32 s2, 0
.LBB104_47:
	s_wait_alu 0xfffe
	s_and_b32 vcc_lo, exec_lo, s2
	s_wait_alu 0xfffe
	s_cbranch_vccz .LBB104_199
; %bb.48:
	s_load_b32 s2, s[0:1], 0x7c
	s_mov_b32 s25, 0
	s_mov_b64 s[28:29], 0
	s_wait_alu 0xfffe
	s_mov_b32 s7, s25
	s_wait_kmcnt 0x0
	s_and_b32 s6, s2, 0xffff
	s_wait_alu 0xfffe
	v_cmp_lt_u64_e64 s2, s[6:7], s[22:23]
	s_and_b32 vcc_lo, exec_lo, s2
	s_wait_alu 0xfffe
	s_cbranch_vccnz .LBB104_50
; %bb.49:
	v_cvt_f32_u32_e32 v1, s22
	s_sub_co_i32 s3, 0, s22
	s_delay_alu instid0(VALU_DEP_1) | instskip(NEXT) | instid1(TRANS32_DEP_1)
	v_rcp_iflag_f32_e32 v1, v1
	v_mul_f32_e32 v1, 0x4f7ffffe, v1
	s_delay_alu instid0(VALU_DEP_1) | instskip(NEXT) | instid1(VALU_DEP_1)
	v_cvt_u32_f32_e32 v1, v1
	v_readfirstlane_b32 s2, v1
	s_wait_alu 0xfffe
	s_mul_i32 s3, s3, s2
	s_wait_alu 0xfffe
	s_mul_hi_u32 s3, s2, s3
	s_wait_alu 0xfffe
	s_add_co_i32 s2, s2, s3
	s_wait_alu 0xfffe
	s_mul_hi_u32 s2, s6, s2
	s_wait_alu 0xfffe
	s_mul_i32 s3, s2, s22
	s_add_co_i32 s4, s2, 1
	s_wait_alu 0xfffe
	s_sub_co_i32 s3, s6, s3
	s_wait_alu 0xfffe
	s_sub_co_i32 s5, s3, s22
	s_cmp_ge_u32 s3, s22
	s_cselect_b32 s2, s4, s2
	s_wait_alu 0xfffe
	s_cselect_b32 s3, s5, s3
	s_add_co_i32 s4, s2, 1
	s_wait_alu 0xfffe
	s_cmp_ge_u32 s3, s22
	s_cselect_b32 s28, s4, s2
.LBB104_50:
	s_lshl_b64 s[2:3], s[16:17], 3
	v_sub_co_u32 v1, s7, v0, s24
	s_wait_alu 0xfffe
	s_add_nc_u64 s[26:27], s[8:9], s[2:3]
	s_load_b64 s[4:5], s[26:27], 0x0
	s_load_b128 s[0:3], s[0:1], 0x8
	v_sub_co_ci_u32_e64 v6, null, 0, 0, s7
	s_wait_kmcnt 0x0
	v_add_co_u32 v14, vcc_lo, s4, v1
	s_wait_alu 0xfffd
	s_delay_alu instid0(VALU_DEP_2) | instskip(SKIP_1) | instid1(VALU_DEP_3)
	v_add_co_ci_u32_e64 v15, null, s5, v6, vcc_lo
	v_mov_b32_e32 v1, 0
	v_add_co_u32 v16, vcc_lo, 0x300, v14
	s_wait_alu 0xfffd
	s_delay_alu instid0(VALU_DEP_3) | instskip(NEXT) | instid1(VALU_DEP_1)
	v_add_co_ci_u32_e64 v17, null, 0, v15, vcc_lo
	v_cmp_le_i64_e32 vcc_lo, s[0:1], v[16:17]
	s_and_saveexec_b32 s0, vcc_lo
	s_wait_alu 0xfffe
	s_xor_b32 s7, exec_lo, s0
	s_cbranch_execnz .LBB104_53
; %bb.51:
	s_wait_alu 0xfffe
	s_and_not1_saveexec_b32 s1, s7
	s_cbranch_execnz .LBB104_57
.LBB104_52:
	s_wait_alu 0xfffe
	s_or_b32 exec_lo, exec_lo, s1
	s_delay_alu instid0(SALU_CYCLE_1)
	s_mov_b32 s1, exec_lo
	v_cmpx_gt_i64_e64 s[2:3], v[0:1]
	s_cbranch_execnz .LBB104_58
	s_branch .LBB104_60
.LBB104_53:
	s_lshl_b64 s[0:1], s[18:19], 3
	s_mov_b32 s29, exec_lo
	s_wait_alu 0xfffe
	s_add_nc_u64 s[0:1], s[8:9], s[0:1]
	s_load_b64 s[0:1], s[0:1], 0x0
	s_wait_kmcnt 0x0
	s_sub_nc_u64 s[30:31], s[0:1], s[4:5]
	s_wait_alu 0xfffe
	v_cmpx_gt_i64_e64 s[30:31], v[0:1]
	s_cbranch_execz .LBB104_56
; %bb.54:
	v_mul_f64_e32 v[6:7], 0x80000000, v[4:5]
	v_mul_f64_e32 v[8:9], 0, v[2:3]
	v_lshlrev_b64_e32 v[10:11], 3, v[14:15]
	v_dual_mov_b32 v18, v28 :: v_dual_mov_b32 v13, v1
	v_mov_b32_e32 v12, v0
	s_mov_b32 s33, 0
	s_delay_alu instid0(VALU_DEP_3)
	v_add_co_u32 v10, s0, s12, v10
	s_wait_alu 0xf1ff
	v_add_co_ci_u32_e64 v11, null, s13, v11, s0
.LBB104_55:                             ; =>This Inner Loop Header: Depth=1
	global_load_b64 v[21:22], v[10:11], off
	v_add_co_u32 v12, s0, 0x100, v12
	s_wait_alu 0xf1ff
	v_add_co_ci_u32_e64 v13, null, 0, v13, s0
	v_add_co_u32 v10, s0, 0x800, v10
	s_wait_alu 0xf1ff
	v_add_co_ci_u32_e64 v11, null, 0, v11, s0
	s_delay_alu instid0(VALU_DEP_3)
	v_cmp_le_i64_e64 s1, s[30:31], v[12:13]
	s_or_b32 s33, s1, s33
	s_wait_loadcnt 0x0
	v_fma_f64 v[19:20], v[2:3], v[21:22], v[6:7]
	v_fma_f64 v[21:22], v[4:5], v[21:22], v[8:9]
	ds_store_b128 v18, v[19:22]
	v_add_nc_u32_e32 v18, 0x1000, v18
	s_and_not1_b32 exec_lo, exec_lo, s33
	s_cbranch_execnz .LBB104_55
.LBB104_56:
	s_or_b32 exec_lo, exec_lo, s29
                                        ; implicit-def: $vgpr4_vgpr5
	s_and_not1_saveexec_b32 s1, s7
	s_cbranch_execz .LBB104_52
.LBB104_57:
	v_lshlrev_b64_e32 v[6:7], 3, v[14:15]
	v_mul_f64_e32 v[24:25], 0x80000000, v[4:5]
	v_mul_f64_e32 v[26:27], 0, v[2:3]
	s_delay_alu instid0(VALU_DEP_3) | instskip(SKIP_1) | instid1(VALU_DEP_4)
	v_add_co_u32 v6, s0, s12, v6
	s_wait_alu 0xf1ff
	v_add_co_ci_u32_e64 v7, null, s13, v7, s0
	s_clause 0x3
	global_load_b64 v[8:9], v[6:7], off
	global_load_b64 v[12:13], v[6:7], off offset:2048
	global_load_b64 v[20:21], v[6:7], off offset:4096
	;; [unrolled: 1-line block ×3, first 2 shown]
	s_wait_loadcnt 0x3
	v_fma_f64 v[6:7], v[2:3], v[8:9], v[24:25]
	v_fma_f64 v[8:9], v[4:5], v[8:9], v[26:27]
	s_wait_loadcnt 0x2
	v_fma_f64 v[10:11], v[2:3], v[12:13], v[24:25]
	v_fma_f64 v[12:13], v[4:5], v[12:13], v[26:27]
	;; [unrolled: 3-line block ×4, first 2 shown]
	ds_store_b128 v28, v[6:9]
	ds_store_b128 v28, v[10:13] offset:4096
	ds_store_b128 v28, v[18:21] offset:8192
	;; [unrolled: 1-line block ×3, first 2 shown]
	s_wait_alu 0xfffe
	s_or_b32 exec_lo, exec_lo, s1
	s_delay_alu instid0(SALU_CYCLE_1)
	s_mov_b32 s1, exec_lo
	v_cmpx_gt_i64_e64 s[2:3], v[0:1]
	s_cbranch_execz .LBB104_60
.LBB104_58:
	s_mov_b32 s12, 0
	v_lshl_add_u32 v8, v0, 4, 0x4000
	s_wait_alu 0xfffe
	s_mov_b32 s13, s12
	s_mov_b32 s30, s12
	;; [unrolled: 1-line block ×3, first 2 shown]
	s_wait_alu 0xfffe
	v_dual_mov_b32 v2, s12 :: v_dual_mov_b32 v3, s13
	v_dual_mov_b32 v4, s30 :: v_dual_mov_b32 v5, s31
	;; [unrolled: 1-line block ×3, first 2 shown]
.LBB104_59:                             ; =>This Inner Loop Header: Depth=1
	s_delay_alu instid0(VALU_DEP_1) | instskip(SKIP_1) | instid1(VALU_DEP_2)
	v_add_co_u32 v6, s0, 0x100, v6
	s_wait_alu 0xf1ff
	v_add_co_ci_u32_e64 v7, null, 0, v7, s0
	ds_store_2addr_b64 v8, v[2:3], v[4:5] offset1:1
	v_add_nc_u32_e32 v8, 0x1000, v8
	v_cmp_le_i64_e64 s0, s[2:3], v[6:7]
	s_or_b32 s12, s0, s12
	s_wait_alu 0xfffe
	s_and_not1_b32 exec_lo, exec_lo, s12
	s_cbranch_execnz .LBB104_59
.LBB104_60:
	s_wait_alu 0xfffe
	s_or_b32 exec_lo, exec_lo, s1
	v_cmp_ge_i64_e64 s7, s[18:19], s[2:3]
	s_sub_nc_u64 s[0:1], s[18:19], s[2:3]
	s_wait_loadcnt_dscnt 0x0
	s_barrier_signal -1
	s_barrier_wait -1
	global_inv scope:SCOPE_SE
	s_and_b32 s7, s7, exec_lo
	s_wait_alu 0xfffe
	s_cselect_b32 s13, s1, 0
	s_cselect_b32 s12, s0, 0
	s_and_saveexec_b32 s0, vcc_lo
	s_wait_alu 0xfffe
	s_xor_b32 s7, exec_lo, s0
	s_cbranch_execz .LBB104_85
; %bb.61:
	s_lshl_b64 s[0:1], s[18:19], 3
	s_mov_b32 s29, exec_lo
	s_wait_alu 0xfffe
	s_add_nc_u64 s[0:1], s[8:9], s[0:1]
	s_load_b64 s[0:1], s[0:1], 0x0
	s_wait_kmcnt 0x0
	s_sub_nc_u64 s[30:31], s[0:1], s[4:5]
	s_wait_alu 0xfffe
	v_cmpx_gt_i64_e64 s[30:31], v[0:1]
	s_cbranch_execz .LBB104_84
; %bb.62:
	s_add_nc_u64 s[34:35], s[18:19], -2
	s_sub_nc_u64 s[36:37], s[0:1], s[24:25]
	s_wait_alu 0xfffe
	s_cmp_lg_u64 s[16:17], s[34:35]
	s_add_nc_u64 s[34:35], s[18:19], -1
	s_cselect_b32 s33, -1, 0
	s_mov_b64 s[38:39], 0
	s_mov_b32 s1, 0
	s_branch .LBB104_65
.LBB104_63:                             ;   in Loop: Header=BB104_65 Depth=1
	s_wait_alu 0xfffe
	s_or_b32 exec_lo, exec_lo, s0
.LBB104_64:                             ;   in Loop: Header=BB104_65 Depth=1
	s_delay_alu instid0(SALU_CYCLE_1) | instskip(SKIP_2) | instid1(VALU_DEP_1)
	s_or_b32 exec_lo, exec_lo, s40
	v_lshlrev_b64_e32 v[6:7], 4, v[16:17]
	s_add_nc_u64 s[38:39], s[38:39], 0x100
	v_add_co_u32 v6, vcc_lo, s14, v6
	s_wait_alu 0xfffd
	s_delay_alu instid0(VALU_DEP_2) | instskip(SKIP_4) | instid1(VALU_DEP_2)
	v_add_co_ci_u32_e64 v7, null, s15, v7, vcc_lo
	global_load_b128 v[6:9], v[6:7], off
	s_wait_loadcnt 0x0
	v_mul_f64_e32 v[10:11], v[8:9], v[18:19]
	v_mul_f64_e32 v[8:9], v[8:9], v[2:3]
	v_fma_f64 v[2:3], v[2:3], v[6:7], v[10:11]
	s_delay_alu instid0(VALU_DEP_2) | instskip(SKIP_4) | instid1(VALU_DEP_1)
	v_fma_f64 v[4:5], v[4:5], v[6:7], v[8:9]
	s_wait_alu 0xfffe
	v_add_co_u32 v6, s0, s38, v0
	s_wait_alu 0xf1ff
	v_add_co_ci_u32_e64 v7, null, s39, 0, s0
	v_cmp_le_i64_e32 vcc_lo, s[30:31], v[6:7]
	v_lshlrev_b32_e32 v6, 4, v24
	s_or_b32 s1, vcc_lo, s1
	ds_store_b128 v6, v[2:5]
	s_wait_alu 0xfffe
	s_and_not1_b32 exec_lo, exec_lo, s1
	s_cbranch_execz .LBB104_84
.LBB104_65:                             ; =>This Loop Header: Depth=1
                                        ;     Child Loop BB104_67 Depth 2
                                        ;     Child Loop BB104_74 Depth 2
	;; [unrolled: 1-line block ×5, first 2 shown]
	v_add_co_u32 v2, vcc_lo, s38, v14
	s_wait_alu 0xfffd
	v_add_co_ci_u32_e64 v3, null, s39, v15, vcc_lo
	v_dual_mov_b32 v4, s16 :: v_dual_mov_b32 v5, s17
	s_wait_alu 0xfffe
	v_dual_mov_b32 v6, s34 :: v_dual_mov_b32 v7, s35
	s_and_not1_b32 vcc_lo, exec_lo, s33
	s_wait_alu 0xfffe
	s_cbranch_vccnz .LBB104_69
; %bb.66:                               ;   in Loop: Header=BB104_65 Depth=1
	v_dual_mov_b32 v4, s16 :: v_dual_mov_b32 v5, s17
	v_dual_mov_b32 v6, s34 :: v_dual_mov_b32 v7, s35
	s_mov_b32 s40, 0
.LBB104_67:                             ;   Parent Loop BB104_65 Depth=1
                                        ; =>  This Inner Loop Header: Depth=2
	s_delay_alu instid0(VALU_DEP_1) | instskip(SKIP_1) | instid1(VALU_DEP_2)
	v_add_co_u32 v8, vcc_lo, v6, v4
	s_wait_alu 0xfffd
	v_add_co_ci_u32_e64 v9, null, v7, v5, vcc_lo
	s_delay_alu instid0(VALU_DEP_1) | instskip(NEXT) | instid1(VALU_DEP_1)
	v_lshrrev_b32_e32 v10, 31, v9
	v_add_co_u32 v8, vcc_lo, v8, v10
	s_wait_alu 0xfffd
	v_add_co_ci_u32_e64 v9, null, 0, v9, vcc_lo
	s_delay_alu instid0(VALU_DEP_1) | instskip(NEXT) | instid1(VALU_DEP_1)
	v_ashrrev_i64 v[8:9], 1, v[8:9]
	v_lshlrev_b64_e32 v[10:11], 3, v[8:9]
	s_delay_alu instid0(VALU_DEP_1) | instskip(SKIP_1) | instid1(VALU_DEP_2)
	v_add_co_u32 v10, vcc_lo, s8, v10
	s_wait_alu 0xfffd
	v_add_co_ci_u32_e64 v11, null, s9, v11, vcc_lo
	global_load_b64 v[10:11], v[10:11], off
	s_wait_loadcnt 0x0
	v_sub_co_u32 v10, vcc_lo, v10, s24
	s_wait_alu 0xfffd
	v_subrev_co_ci_u32_e64 v11, null, 0, v11, vcc_lo
	s_delay_alu instid0(VALU_DEP_1) | instskip(SKIP_3) | instid1(VALU_DEP_2)
	v_cmp_lt_i64_e32 vcc_lo, v[2:3], v[10:11]
	s_wait_alu 0xfffd
	v_dual_cndmask_b32 v7, v7, v9 :: v_dual_cndmask_b32 v6, v6, v8
	v_dual_cndmask_b32 v5, v9, v5 :: v_dual_cndmask_b32 v4, v8, v4
	v_add_co_u32 v8, vcc_lo, v6, -1
	s_wait_alu 0xfffd
	s_delay_alu instid0(VALU_DEP_3) | instskip(NEXT) | instid1(VALU_DEP_3)
	v_add_co_ci_u32_e64 v9, null, -1, v7, vcc_lo
	v_cmp_ge_i64_e32 vcc_lo, v[4:5], v[6:7]
	s_delay_alu instid0(VALU_DEP_2)
	v_cmp_eq_u64_e64 s0, v[4:5], v[8:9]
	s_or_b32 s0, vcc_lo, s0
	s_wait_alu 0xfffe
	s_and_b32 s0, exec_lo, s0
	s_wait_alu 0xfffe
	s_or_b32 s40, s0, s40
	s_delay_alu instid0(SALU_CYCLE_1)
	s_and_not1_b32 exec_lo, exec_lo, s40
	s_cbranch_execnz .LBB104_67
; %bb.68:                               ;   in Loop: Header=BB104_65 Depth=1
	s_or_b32 exec_lo, exec_lo, s40
.LBB104_69:                             ;   in Loop: Header=BB104_65 Depth=1
	s_delay_alu instid0(VALU_DEP_1) | instskip(SKIP_3) | instid1(VALU_DEP_4)
	v_lshlrev_b64_e32 v[8:9], 3, v[6:7]
	v_lshlrev_b64_e32 v[10:11], 2, v[2:3]
	v_add_co_u32 v24, null, s38, v0
	v_cmp_le_i64_e64 s0, s[36:37], v[2:3]
                                        ; implicit-def: $vgpr18_vgpr19
	v_add_co_u32 v8, vcc_lo, s8, v8
	s_wait_alu 0xfffd
	v_add_co_ci_u32_e64 v9, null, s9, v9, vcc_lo
	v_add_co_u32 v10, vcc_lo, s10, v10
	s_wait_alu 0xfffd
	v_add_co_ci_u32_e64 v11, null, s11, v11, vcc_lo
	global_load_b64 v[8:9], v[8:9], off
	global_load_b32 v10, v[10:11], off
	s_wait_loadcnt 0x1
	v_sub_co_u32 v8, vcc_lo, v8, s24
	s_wait_alu 0xfffd
	v_subrev_co_ci_u32_e64 v9, null, 0, v9, vcc_lo
	s_wait_loadcnt 0x0
	v_subrev_nc_u32_e32 v16, s24, v10
	v_lshlrev_b32_e32 v10, 4, v24
	s_delay_alu instid0(VALU_DEP_3) | instskip(NEXT) | instid1(VALU_DEP_3)
	v_cmp_lt_i64_e32 vcc_lo, v[2:3], v[8:9]
	v_ashrrev_i32_e32 v17, 31, v16
	s_wait_alu 0xfffd
	v_dual_cndmask_b32 v7, v7, v5 :: v_dual_cndmask_b32 v6, v6, v4
                                        ; implicit-def: $vgpr2_vgpr3
	s_delay_alu instid0(VALU_DEP_1) | instskip(SKIP_3) | instid1(SALU_CYCLE_1)
	v_cmp_eq_u64_e32 vcc_lo, v[6:7], v[16:17]
	s_or_b32 s0, vcc_lo, s0
	s_wait_alu 0xfffe
	s_and_saveexec_b32 s40, s0
	s_xor_b32 s0, exec_lo, s40
	s_cbranch_execz .LBB104_71
; %bb.70:                               ;   in Loop: Header=BB104_65 Depth=1
	ds_load_b128 v[2:5], v10
                                        ; implicit-def: $vgpr6_vgpr7
                                        ; implicit-def: $vgpr10
	s_wait_dscnt 0x0
	v_xor_b32_e32 v19, 0x80000000, v5
	v_mov_b32_e32 v18, v4
.LBB104_71:                             ;   in Loop: Header=BB104_65 Depth=1
	s_wait_alu 0xfffe
	s_and_not1_saveexec_b32 s40, s0
	s_cbranch_execz .LBB104_64
; %bb.72:                               ;   in Loop: Header=BB104_65 Depth=1
	v_cmp_gt_i64_e32 vcc_lo, s[12:13], v[16:17]
	v_cmp_le_i64_e64 s0, s[18:19], v[16:17]
	v_lshlrev_b64_e32 v[6:7], 4, v[6:7]
                                        ; implicit-def: $vgpr2_vgpr3
                                        ; implicit-def: $vgpr18_vgpr19
	s_or_b32 s0, vcc_lo, s0
	s_wait_alu 0xfffe
	s_and_saveexec_b32 s41, s0
	s_delay_alu instid0(SALU_CYCLE_1)
	s_xor_b32 s0, exec_lo, s41
	s_cbranch_execz .LBB104_78
; %bb.73:                               ;   in Loop: Header=BB104_65 Depth=1
	v_add_co_u32 v2, vcc_lo, s14, v6
	s_wait_alu 0xfffd
	v_add_co_ci_u32_e64 v3, null, s15, v7, vcc_lo
	s_mov_b32 s41, 0
	global_load_b128 v[6:9], v[2:3], off
	v_lshlrev_b64_e32 v[2:3], 4, v[16:17]
	s_delay_alu instid0(VALU_DEP_1) | instskip(SKIP_1) | instid1(VALU_DEP_2)
	v_add_co_u32 v20, vcc_lo, s20, v2
	s_wait_alu 0xfffd
	v_add_co_ci_u32_e64 v21, null, s21, v3, vcc_lo
	ds_load_b128 v[2:5], v10
	global_load_b64 v[12:13], v[20:21], off
	s_wait_dscnt 0x0
	v_xor_b32_e32 v19, 0x80000000, v5
	v_mov_b32_e32 v18, v4
	s_wait_loadcnt 0x1
	v_mul_f64_e64 v[10:11], v[8:9], -v[4:5]
	s_delay_alu instid0(VALU_DEP_1)
	v_fma_f64 v[22:23], v[2:3], v[6:7], v[10:11]
.LBB104_74:                             ;   Parent Loop BB104_65 Depth=1
                                        ; =>  This Inner Loop Header: Depth=2
	s_wait_loadcnt 0x0
	s_delay_alu instid0(VALU_DEP_1)
	v_add_f64_e32 v[10:11], v[12:13], v[22:23]
	global_atomic_cmpswap_b64 v[10:11], v[20:21], v[10:13], off th:TH_ATOMIC_RETURN scope:SCOPE_DEV
	s_wait_loadcnt 0x0
	v_cmp_eq_u64_e32 vcc_lo, v[10:11], v[12:13]
	v_dual_mov_b32 v13, v11 :: v_dual_mov_b32 v12, v10
	s_or_b32 s41, vcc_lo, s41
	s_delay_alu instid0(SALU_CYCLE_1)
	s_and_not1_b32 exec_lo, exec_lo, s41
	s_cbranch_execnz .LBB104_74
; %bb.75:                               ;   in Loop: Header=BB104_65 Depth=1
	s_or_b32 exec_lo, exec_lo, s41
	global_load_b64 v[10:11], v[20:21], off offset:8
	v_mul_f64_e32 v[8:9], v[8:9], v[2:3]
	s_mov_b32 s41, 0
	s_delay_alu instid0(VALU_DEP_1)
	v_fma_f64 v[6:7], v[4:5], v[6:7], v[8:9]
.LBB104_76:                             ;   Parent Loop BB104_65 Depth=1
                                        ; =>  This Inner Loop Header: Depth=2
	s_wait_loadcnt 0x0
	s_delay_alu instid0(VALU_DEP_1)
	v_add_f64_e32 v[8:9], v[10:11], v[6:7]
	global_atomic_cmpswap_b64 v[8:9], v[20:21], v[8:11], off offset:8 th:TH_ATOMIC_RETURN scope:SCOPE_DEV
	s_wait_loadcnt 0x0
	v_cmp_eq_u64_e32 vcc_lo, v[8:9], v[10:11]
	v_dual_mov_b32 v11, v9 :: v_dual_mov_b32 v10, v8
	s_or_b32 s41, vcc_lo, s41
	s_delay_alu instid0(SALU_CYCLE_1)
	s_and_not1_b32 exec_lo, exec_lo, s41
	s_cbranch_execnz .LBB104_76
; %bb.77:                               ;   in Loop: Header=BB104_65 Depth=1
	s_or_b32 exec_lo, exec_lo, s41
                                        ; implicit-def: $vgpr6_vgpr7
                                        ; implicit-def: $vgpr10
.LBB104_78:                             ;   in Loop: Header=BB104_65 Depth=1
	s_wait_alu 0xfffe
	s_and_not1_saveexec_b32 s0, s0
	s_cbranch_execz .LBB104_63
; %bb.79:                               ;   in Loop: Header=BB104_65 Depth=1
	v_add_co_u32 v2, vcc_lo, s14, v6
	s_wait_alu 0xfffd
	v_add_co_ci_u32_e64 v3, null, s15, v7, vcc_lo
	v_subrev_nc_u32_e32 v12, s12, v16
	s_mov_b32 s41, 0
	global_load_b128 v[6:9], v[2:3], off
	ds_load_b128 v[2:5], v10
	v_lshl_add_u32 v20, v12, 4, 0x4000
	ds_load_b64 v[12:13], v20
	s_wait_dscnt 0x1
	v_xor_b32_e32 v19, 0x80000000, v5
	v_mov_b32_e32 v18, v4
	s_wait_loadcnt 0x0
	v_mul_f64_e64 v[10:11], v[8:9], -v[4:5]
	s_delay_alu instid0(VALU_DEP_1)
	v_fma_f64 v[10:11], v[2:3], v[6:7], v[10:11]
.LBB104_80:                             ;   Parent Loop BB104_65 Depth=1
                                        ; =>  This Inner Loop Header: Depth=2
	s_wait_dscnt 0x0
	s_delay_alu instid0(VALU_DEP_1)
	v_add_f64_e32 v[21:22], v[12:13], v[10:11]
	ds_cmpstore_rtn_b64 v[21:22], v20, v[21:22], v[12:13]
	s_wait_dscnt 0x0
	v_cmp_eq_u64_e32 vcc_lo, v[21:22], v[12:13]
	v_dual_mov_b32 v12, v21 :: v_dual_mov_b32 v13, v22
	s_or_b32 s41, vcc_lo, s41
	s_delay_alu instid0(SALU_CYCLE_1)
	s_and_not1_b32 exec_lo, exec_lo, s41
	s_cbranch_execnz .LBB104_80
; %bb.81:                               ;   in Loop: Header=BB104_65 Depth=1
	s_or_b32 exec_lo, exec_lo, s41
	v_mul_f64_e32 v[8:9], v[8:9], v[2:3]
	s_mov_b32 s41, 0
	s_delay_alu instid0(VALU_DEP_1)
	v_fma_f64 v[6:7], v[4:5], v[6:7], v[8:9]
	ds_load_b64 v[8:9], v20 offset:8
.LBB104_82:                             ;   Parent Loop BB104_65 Depth=1
                                        ; =>  This Inner Loop Header: Depth=2
	s_wait_dscnt 0x0
	v_add_f64_e32 v[10:11], v[8:9], v[6:7]
	ds_cmpstore_rtn_b64 v[10:11], v20, v[10:11], v[8:9] offset:8
	s_wait_dscnt 0x0
	v_cmp_eq_u64_e32 vcc_lo, v[10:11], v[8:9]
	v_dual_mov_b32 v8, v10 :: v_dual_mov_b32 v9, v11
	s_or_b32 s41, vcc_lo, s41
	s_delay_alu instid0(SALU_CYCLE_1)
	s_and_not1_b32 exec_lo, exec_lo, s41
	s_cbranch_execnz .LBB104_82
; %bb.83:                               ;   in Loop: Header=BB104_65 Depth=1
	s_or_b32 exec_lo, exec_lo, s41
	s_branch .LBB104_63
.LBB104_84:
	s_or_b32 exec_lo, exec_lo, s29
                                        ; implicit-def: $vgpr16_vgpr17
                                        ; implicit-def: $vgpr14
.LBB104_85:
	s_wait_alu 0xfffe
	s_and_not1_saveexec_b32 s1, s7
	s_cbranch_execz .LBB104_159
; %bb.86:
	s_add_nc_u64 s[30:31], s[18:19], -1
	s_add_nc_u64 s[34:35], s[18:19], -2
	v_dual_mov_b32 v2, s16 :: v_dual_mov_b32 v3, s17
	s_wait_alu 0xfffe
	v_dual_mov_b32 v4, s30 :: v_dual_mov_b32 v5, s31
	s_cmp_lg_u64 s[16:17], s[34:35]
	s_cselect_b32 s7, -1, 0
	s_cmp_eq_u64 s[16:17], s[34:35]
	s_cbranch_scc1 .LBB104_90
; %bb.87:
	v_dual_mov_b32 v2, s16 :: v_dual_mov_b32 v3, s17
	v_dual_mov_b32 v4, s30 :: v_dual_mov_b32 v5, s31
	s_mov_b32 s29, 0
.LBB104_88:                             ; =>This Inner Loop Header: Depth=1
	s_delay_alu instid0(VALU_DEP_1) | instskip(SKIP_1) | instid1(VALU_DEP_2)
	v_add_co_u32 v6, vcc_lo, v4, v2
	s_wait_alu 0xfffd
	v_add_co_ci_u32_e64 v7, null, v5, v3, vcc_lo
	s_delay_alu instid0(VALU_DEP_1) | instskip(NEXT) | instid1(VALU_DEP_1)
	v_lshrrev_b32_e32 v8, 31, v7
	v_add_co_u32 v6, vcc_lo, v6, v8
	s_wait_alu 0xfffd
	v_add_co_ci_u32_e64 v7, null, 0, v7, vcc_lo
	s_delay_alu instid0(VALU_DEP_1) | instskip(NEXT) | instid1(VALU_DEP_1)
	v_ashrrev_i64 v[6:7], 1, v[6:7]
	v_lshlrev_b64_e32 v[8:9], 3, v[6:7]
	s_delay_alu instid0(VALU_DEP_1) | instskip(SKIP_1) | instid1(VALU_DEP_2)
	v_add_co_u32 v8, vcc_lo, s8, v8
	s_wait_alu 0xfffd
	v_add_co_ci_u32_e64 v9, null, s9, v9, vcc_lo
	global_load_b64 v[8:9], v[8:9], off
	s_wait_loadcnt 0x0
	v_sub_co_u32 v8, vcc_lo, v8, s24
	s_wait_alu 0xfffd
	v_subrev_co_ci_u32_e64 v9, null, 0, v9, vcc_lo
	s_delay_alu instid0(VALU_DEP_1) | instskip(SKIP_3) | instid1(VALU_DEP_2)
	v_cmp_lt_i64_e32 vcc_lo, v[14:15], v[8:9]
	s_wait_alu 0xfffd
	v_dual_cndmask_b32 v5, v5, v7 :: v_dual_cndmask_b32 v4, v4, v6
	v_dual_cndmask_b32 v3, v7, v3 :: v_dual_cndmask_b32 v2, v6, v2
	v_add_co_u32 v6, vcc_lo, v4, -1
	s_wait_alu 0xfffd
	s_delay_alu instid0(VALU_DEP_3) | instskip(NEXT) | instid1(VALU_DEP_3)
	v_add_co_ci_u32_e64 v7, null, -1, v5, vcc_lo
	v_cmp_ge_i64_e32 vcc_lo, v[2:3], v[4:5]
	s_delay_alu instid0(VALU_DEP_2)
	v_cmp_eq_u64_e64 s0, v[2:3], v[6:7]
	s_or_b32 s0, vcc_lo, s0
	s_wait_alu 0xfffe
	s_and_b32 s0, exec_lo, s0
	s_wait_alu 0xfffe
	s_or_b32 s29, s0, s29
	s_wait_alu 0xfffe
	s_and_not1_b32 exec_lo, exec_lo, s29
	s_cbranch_execnz .LBB104_88
; %bb.89:
	s_or_b32 exec_lo, exec_lo, s29
.LBB104_90:
	v_lshlrev_b64_e32 v[6:7], 3, v[4:5]
	v_lshlrev_b64_e32 v[8:9], 2, v[14:15]
	s_mov_b32 s29, exec_lo
	s_delay_alu instid0(VALU_DEP_2) | instskip(SKIP_1) | instid1(VALU_DEP_3)
	v_add_co_u32 v6, vcc_lo, s8, v6
	s_wait_alu 0xfffd
	v_add_co_ci_u32_e64 v7, null, s9, v7, vcc_lo
	s_delay_alu instid0(VALU_DEP_3)
	v_add_co_u32 v18, vcc_lo, s10, v8
	s_wait_alu 0xfffd
	v_add_co_ci_u32_e64 v19, null, s11, v9, vcc_lo
	global_load_b64 v[6:7], v[6:7], off
	s_lshl_b64 s[10:11], s[18:19], 3
	global_load_b32 v8, v[18:19], off
	s_wait_alu 0xfffe
	s_add_nc_u64 s[10:11], s[8:9], s[10:11]
	s_wait_loadcnt 0x1
	v_sub_co_u32 v6, vcc_lo, v6, s24
	s_wait_alu 0xfffd
	v_subrev_co_ci_u32_e64 v7, null, 0, v7, vcc_lo
	s_wait_loadcnt 0x0
	v_subrev_nc_u32_e32 v20, s24, v8
	s_delay_alu instid0(VALU_DEP_2) | instskip(NEXT) | instid1(VALU_DEP_2)
	v_cmp_lt_i64_e32 vcc_lo, v[14:15], v[6:7]
	v_ashrrev_i32_e32 v21, 31, v20
	s_wait_alu 0xfffd
	v_dual_cndmask_b32 v3, v5, v3 :: v_dual_cndmask_b32 v2, v4, v2
	s_delay_alu instid0(VALU_DEP_1)
	v_cmpx_ne_u64_e64 v[2:3], v[20:21]
	s_cbranch_execz .LBB104_104
; %bb.91:
	s_load_b64 s[34:35], s[10:11], 0x0
	s_wait_kmcnt 0x0
	s_sub_nc_u64 s[34:35], s[34:35], s[24:25]
	s_wait_alu 0xfffe
	v_cmp_gt_i64_e32 vcc_lo, s[34:35], v[14:15]
	s_and_b32 exec_lo, exec_lo, vcc_lo
	s_cbranch_execz .LBB104_104
; %bb.92:
	v_cmp_gt_i64_e32 vcc_lo, s[12:13], v[20:21]
	v_cmp_le_i64_e64 s0, s[18:19], v[20:21]
	v_lshlrev_b64_e32 v[2:3], 4, v[2:3]
	s_or_b32 s0, vcc_lo, s0
	s_wait_alu 0xfffe
	s_and_saveexec_b32 s33, s0
	s_delay_alu instid0(SALU_CYCLE_1)
	s_xor_b32 s0, exec_lo, s33
	s_cbranch_execz .LBB104_98
; %bb.93:
	v_add_co_u32 v2, vcc_lo, s14, v2
	s_wait_alu 0xfffd
	v_add_co_ci_u32_e64 v3, null, s15, v3, vcc_lo
	v_lshlrev_b64_e32 v[6:7], 4, v[20:21]
	s_mov_b32 s33, 0
	global_load_b128 v[2:5], v[2:3], off
	v_add_co_u32 v22, vcc_lo, s20, v6
	s_wait_alu 0xfffd
	v_add_co_ci_u32_e64 v23, null, s21, v7, vcc_lo
	ds_load_b128 v[6:9], v28
	global_load_b64 v[12:13], v[22:23], off
	s_wait_loadcnt_dscnt 0x100
	v_mul_f64_e64 v[10:11], v[4:5], -v[8:9]
	s_delay_alu instid0(VALU_DEP_1)
	v_fma_f64 v[24:25], v[6:7], v[2:3], v[10:11]
.LBB104_94:                             ; =>This Inner Loop Header: Depth=1
	s_wait_loadcnt 0x0
	s_delay_alu instid0(VALU_DEP_1)
	v_add_f64_e32 v[10:11], v[12:13], v[24:25]
	global_atomic_cmpswap_b64 v[10:11], v[22:23], v[10:13], off th:TH_ATOMIC_RETURN scope:SCOPE_DEV
	s_wait_loadcnt 0x0
	v_cmp_eq_u64_e32 vcc_lo, v[10:11], v[12:13]
	v_dual_mov_b32 v13, v11 :: v_dual_mov_b32 v12, v10
	s_or_b32 s33, vcc_lo, s33
	s_delay_alu instid0(SALU_CYCLE_1)
	s_and_not1_b32 exec_lo, exec_lo, s33
	s_cbranch_execnz .LBB104_94
; %bb.95:
	s_or_b32 exec_lo, exec_lo, s33
	global_load_b64 v[10:11], v[22:23], off offset:8
	v_mul_f64_e32 v[4:5], v[4:5], v[6:7]
	s_mov_b32 s33, 0
	s_delay_alu instid0(VALU_DEP_1)
	v_fma_f64 v[2:3], v[8:9], v[2:3], v[4:5]
.LBB104_96:                             ; =>This Inner Loop Header: Depth=1
	s_wait_loadcnt 0x0
	s_delay_alu instid0(VALU_DEP_1)
	v_add_f64_e32 v[8:9], v[10:11], v[2:3]
	global_atomic_cmpswap_b64 v[4:5], v[22:23], v[8:11], off offset:8 th:TH_ATOMIC_RETURN scope:SCOPE_DEV
	s_wait_loadcnt 0x0
	v_cmp_eq_u64_e32 vcc_lo, v[4:5], v[10:11]
	v_dual_mov_b32 v11, v5 :: v_dual_mov_b32 v10, v4
	s_or_b32 s33, vcc_lo, s33
	s_delay_alu instid0(SALU_CYCLE_1)
	s_and_not1_b32 exec_lo, exec_lo, s33
	s_cbranch_execnz .LBB104_96
; %bb.97:
	s_or_b32 exec_lo, exec_lo, s33
                                        ; implicit-def: $vgpr2_vgpr3
.LBB104_98:
	s_wait_alu 0xfffe
	s_and_not1_saveexec_b32 s0, s0
	s_cbranch_execz .LBB104_104
; %bb.99:
	v_add_co_u32 v2, vcc_lo, s14, v2
	s_wait_alu 0xfffd
	v_add_co_ci_u32_e64 v3, null, s15, v3, vcc_lo
	ds_load_b128 v[6:9], v28
	v_subrev_nc_u32_e32 v12, s12, v20
	s_mov_b32 s0, 0
	global_load_b128 v[2:5], v[2:3], off
	v_lshl_add_u32 v22, v12, 4, 0x4000
	ds_load_b64 v[12:13], v22
	s_wait_loadcnt_dscnt 0x1
	v_mul_f64_e64 v[10:11], v[4:5], -v[8:9]
	s_delay_alu instid0(VALU_DEP_1)
	v_fma_f64 v[10:11], v[6:7], v[2:3], v[10:11]
.LBB104_100:                            ; =>This Inner Loop Header: Depth=1
	s_wait_dscnt 0x0
	s_delay_alu instid0(VALU_DEP_1)
	v_add_f64_e32 v[23:24], v[12:13], v[10:11]
	ds_cmpstore_rtn_b64 v[23:24], v22, v[23:24], v[12:13]
	s_wait_dscnt 0x0
	v_cmp_eq_u64_e32 vcc_lo, v[23:24], v[12:13]
	v_dual_mov_b32 v12, v23 :: v_dual_mov_b32 v13, v24
	s_wait_alu 0xfffe
	s_or_b32 s0, vcc_lo, s0
	s_wait_alu 0xfffe
	s_and_not1_b32 exec_lo, exec_lo, s0
	s_cbranch_execnz .LBB104_100
; %bb.101:
	s_or_b32 exec_lo, exec_lo, s0
	v_mul_f64_e32 v[4:5], v[4:5], v[6:7]
	s_mov_b32 s0, 0
	s_delay_alu instid0(VALU_DEP_1)
	v_fma_f64 v[2:3], v[8:9], v[2:3], v[4:5]
	ds_load_b64 v[4:5], v22 offset:8
.LBB104_102:                            ; =>This Inner Loop Header: Depth=1
	s_wait_dscnt 0x0
	v_add_f64_e32 v[6:7], v[4:5], v[2:3]
	ds_cmpstore_rtn_b64 v[6:7], v22, v[6:7], v[4:5] offset:8
	s_wait_dscnt 0x0
	v_cmp_eq_u64_e32 vcc_lo, v[6:7], v[4:5]
	v_dual_mov_b32 v4, v6 :: v_dual_mov_b32 v5, v7
	s_wait_alu 0xfffe
	s_or_b32 s0, vcc_lo, s0
	s_wait_alu 0xfffe
	s_and_not1_b32 exec_lo, exec_lo, s0
	s_cbranch_execnz .LBB104_102
; %bb.103:
	s_or_b32 exec_lo, exec_lo, s0
.LBB104_104:
	s_delay_alu instid0(SALU_CYCLE_1)
	s_or_b32 exec_lo, exec_lo, s29
	v_lshlrev_b64_e32 v[2:3], 4, v[20:21]
	ds_load_b128 v[6:9], v28
	v_cndmask_b32_e64 v26, 0, 1, s7
	v_add_co_u32 v2, vcc_lo, s14, v2
	s_wait_alu 0xfffd
	v_add_co_ci_u32_e64 v3, null, s15, v3, vcc_lo
	global_load_b128 v[2:5], v[2:3], off
	s_wait_loadcnt_dscnt 0x0
	v_mul_f64_e64 v[10:11], v[4:5], -v[8:9]
	v_mul_f64_e32 v[4:5], v[4:5], v[6:7]
	s_delay_alu instid0(VALU_DEP_2) | instskip(NEXT) | instid1(VALU_DEP_2)
	v_fma_f64 v[10:11], v[6:7], v[2:3], v[10:11]
	v_fma_f64 v[12:13], v[8:9], v[2:3], v[4:5]
	v_add_co_u32 v2, vcc_lo, 0x100, v14
	s_wait_alu 0xfffd
	v_add_co_ci_u32_e64 v3, null, 0, v15, vcc_lo
	v_dual_mov_b32 v4, s16 :: v_dual_mov_b32 v5, s17
	v_dual_mov_b32 v6, s30 :: v_dual_mov_b32 v7, s31
	s_and_not1_b32 vcc_lo, exec_lo, s7
	ds_store_b128 v28, v[10:13]
	s_wait_alu 0xfffe
	s_cbranch_vccnz .LBB104_108
; %bb.105:
	v_dual_mov_b32 v4, s16 :: v_dual_mov_b32 v5, s17
	v_dual_mov_b32 v6, s30 :: v_dual_mov_b32 v7, s31
	s_mov_b32 s7, 0
.LBB104_106:                            ; =>This Inner Loop Header: Depth=1
	s_delay_alu instid0(VALU_DEP_1) | instskip(SKIP_1) | instid1(VALU_DEP_2)
	v_add_co_u32 v8, vcc_lo, v6, v4
	s_wait_alu 0xfffd
	v_add_co_ci_u32_e64 v9, null, v7, v5, vcc_lo
	s_delay_alu instid0(VALU_DEP_1) | instskip(NEXT) | instid1(VALU_DEP_1)
	v_lshrrev_b32_e32 v10, 31, v9
	v_add_co_u32 v8, vcc_lo, v8, v10
	s_wait_alu 0xfffd
	v_add_co_ci_u32_e64 v9, null, 0, v9, vcc_lo
	s_delay_alu instid0(VALU_DEP_1) | instskip(NEXT) | instid1(VALU_DEP_1)
	v_ashrrev_i64 v[8:9], 1, v[8:9]
	v_lshlrev_b64_e32 v[10:11], 3, v[8:9]
	s_delay_alu instid0(VALU_DEP_1) | instskip(SKIP_1) | instid1(VALU_DEP_2)
	v_add_co_u32 v10, vcc_lo, s8, v10
	s_wait_alu 0xfffd
	v_add_co_ci_u32_e64 v11, null, s9, v11, vcc_lo
	global_load_b64 v[10:11], v[10:11], off
	s_wait_loadcnt 0x0
	v_sub_co_u32 v10, vcc_lo, v10, s24
	s_wait_alu 0xfffd
	v_subrev_co_ci_u32_e64 v11, null, 0, v11, vcc_lo
	s_delay_alu instid0(VALU_DEP_1) | instskip(SKIP_3) | instid1(VALU_DEP_2)
	v_cmp_lt_i64_e32 vcc_lo, v[2:3], v[10:11]
	s_wait_alu 0xfffd
	v_dual_cndmask_b32 v7, v7, v9 :: v_dual_cndmask_b32 v6, v6, v8
	v_dual_cndmask_b32 v5, v9, v5 :: v_dual_cndmask_b32 v4, v8, v4
	v_add_co_u32 v8, vcc_lo, v6, -1
	s_wait_alu 0xfffd
	s_delay_alu instid0(VALU_DEP_3) | instskip(NEXT) | instid1(VALU_DEP_3)
	v_add_co_ci_u32_e64 v9, null, -1, v7, vcc_lo
	v_cmp_ge_i64_e32 vcc_lo, v[4:5], v[6:7]
	s_delay_alu instid0(VALU_DEP_2)
	v_cmp_eq_u64_e64 s0, v[4:5], v[8:9]
	s_or_b32 s0, vcc_lo, s0
	s_wait_alu 0xfffe
	s_and_b32 s0, exec_lo, s0
	s_wait_alu 0xfffe
	s_or_b32 s7, s0, s7
	s_wait_alu 0xfffe
	s_and_not1_b32 exec_lo, exec_lo, s7
	s_cbranch_execnz .LBB104_106
; %bb.107:
	s_or_b32 exec_lo, exec_lo, s7
.LBB104_108:
	v_lshlrev_b64_e32 v[8:9], 3, v[6:7]
	s_mov_b32 s7, exec_lo
	s_delay_alu instid0(VALU_DEP_1) | instskip(SKIP_1) | instid1(VALU_DEP_2)
	v_add_co_u32 v8, vcc_lo, s8, v8
	s_wait_alu 0xfffd
	v_add_co_ci_u32_e64 v9, null, s9, v9, vcc_lo
	global_load_b64 v[8:9], v[8:9], off
	global_load_b32 v10, v[18:19], off offset:1024
	s_wait_loadcnt 0x1
	v_sub_co_u32 v8, vcc_lo, v8, s24
	s_wait_alu 0xfffd
	v_subrev_co_ci_u32_e64 v9, null, 0, v9, vcc_lo
	s_wait_loadcnt 0x0
	v_subrev_nc_u32_e32 v20, s24, v10
	s_delay_alu instid0(VALU_DEP_2) | instskip(NEXT) | instid1(VALU_DEP_2)
	v_cmp_lt_i64_e32 vcc_lo, v[2:3], v[8:9]
	v_ashrrev_i32_e32 v21, 31, v20
	s_wait_alu 0xfffd
	v_dual_cndmask_b32 v5, v7, v5 :: v_dual_cndmask_b32 v4, v6, v4
	s_delay_alu instid0(VALU_DEP_1)
	v_cmpx_ne_u64_e64 v[4:5], v[20:21]
	s_cbranch_execz .LBB104_122
; %bb.109:
	s_load_b64 s[34:35], s[10:11], 0x0
	s_wait_kmcnt 0x0
	s_sub_nc_u64 s[34:35], s[34:35], s[24:25]
	s_wait_alu 0xfffe
	v_cmp_gt_i64_e32 vcc_lo, s[34:35], v[2:3]
	s_and_b32 exec_lo, exec_lo, vcc_lo
	s_cbranch_execz .LBB104_122
; %bb.110:
	v_cmp_gt_i64_e32 vcc_lo, s[12:13], v[20:21]
	v_cmp_le_i64_e64 s0, s[18:19], v[20:21]
	v_lshlrev_b64_e32 v[2:3], 4, v[4:5]
	s_or_b32 s0, vcc_lo, s0
	s_wait_alu 0xfffe
	s_and_saveexec_b32 s29, s0
	s_wait_alu 0xfffe
	s_xor_b32 s0, exec_lo, s29
	s_cbranch_execz .LBB104_116
; %bb.111:
	v_add_co_u32 v2, vcc_lo, s14, v2
	s_wait_alu 0xfffd
	v_add_co_ci_u32_e64 v3, null, s15, v3, vcc_lo
	v_lshlrev_b64_e32 v[6:7], 4, v[20:21]
	s_mov_b32 s29, 0
	global_load_b128 v[2:5], v[2:3], off
	v_add_co_u32 v22, vcc_lo, s20, v6
	s_wait_alu 0xfffd
	v_add_co_ci_u32_e64 v23, null, s21, v7, vcc_lo
	ds_load_b128 v[6:9], v28 offset:4096
	global_load_b64 v[12:13], v[22:23], off
	s_wait_loadcnt_dscnt 0x100
	v_mul_f64_e64 v[10:11], v[4:5], -v[8:9]
	s_delay_alu instid0(VALU_DEP_1)
	v_fma_f64 v[24:25], v[6:7], v[2:3], v[10:11]
.LBB104_112:                            ; =>This Inner Loop Header: Depth=1
	s_wait_loadcnt 0x0
	s_delay_alu instid0(VALU_DEP_1)
	v_add_f64_e32 v[10:11], v[12:13], v[24:25]
	global_atomic_cmpswap_b64 v[10:11], v[22:23], v[10:13], off th:TH_ATOMIC_RETURN scope:SCOPE_DEV
	s_wait_loadcnt 0x0
	v_cmp_eq_u64_e32 vcc_lo, v[10:11], v[12:13]
	v_dual_mov_b32 v13, v11 :: v_dual_mov_b32 v12, v10
	s_wait_alu 0xfffe
	s_or_b32 s29, vcc_lo, s29
	s_wait_alu 0xfffe
	s_and_not1_b32 exec_lo, exec_lo, s29
	s_cbranch_execnz .LBB104_112
; %bb.113:
	s_or_b32 exec_lo, exec_lo, s29
	global_load_b64 v[10:11], v[22:23], off offset:8
	v_mul_f64_e32 v[4:5], v[4:5], v[6:7]
	s_mov_b32 s29, 0
	s_delay_alu instid0(VALU_DEP_1)
	v_fma_f64 v[2:3], v[8:9], v[2:3], v[4:5]
.LBB104_114:                            ; =>This Inner Loop Header: Depth=1
	s_wait_loadcnt 0x0
	s_delay_alu instid0(VALU_DEP_1)
	v_add_f64_e32 v[8:9], v[10:11], v[2:3]
	global_atomic_cmpswap_b64 v[4:5], v[22:23], v[8:11], off offset:8 th:TH_ATOMIC_RETURN scope:SCOPE_DEV
	s_wait_loadcnt 0x0
	v_cmp_eq_u64_e32 vcc_lo, v[4:5], v[10:11]
	v_dual_mov_b32 v11, v5 :: v_dual_mov_b32 v10, v4
	s_wait_alu 0xfffe
	s_or_b32 s29, vcc_lo, s29
	s_wait_alu 0xfffe
	s_and_not1_b32 exec_lo, exec_lo, s29
	s_cbranch_execnz .LBB104_114
; %bb.115:
	s_or_b32 exec_lo, exec_lo, s29
                                        ; implicit-def: $vgpr2_vgpr3
.LBB104_116:
	s_wait_alu 0xfffe
	s_and_not1_saveexec_b32 s0, s0
	s_cbranch_execz .LBB104_122
; %bb.117:
	v_add_co_u32 v2, vcc_lo, s14, v2
	s_wait_alu 0xfffd
	v_add_co_ci_u32_e64 v3, null, s15, v3, vcc_lo
	ds_load_b128 v[6:9], v28 offset:4096
	v_subrev_nc_u32_e32 v12, s12, v20
	s_mov_b32 s0, 0
	global_load_b128 v[2:5], v[2:3], off
	v_lshl_add_u32 v22, v12, 4, 0x4000
	ds_load_b64 v[12:13], v22
	s_wait_loadcnt_dscnt 0x1
	v_mul_f64_e64 v[10:11], v[4:5], -v[8:9]
	s_delay_alu instid0(VALU_DEP_1)
	v_fma_f64 v[10:11], v[6:7], v[2:3], v[10:11]
.LBB104_118:                            ; =>This Inner Loop Header: Depth=1
	s_wait_dscnt 0x0
	s_delay_alu instid0(VALU_DEP_1)
	v_add_f64_e32 v[23:24], v[12:13], v[10:11]
	ds_cmpstore_rtn_b64 v[23:24], v22, v[23:24], v[12:13]
	s_wait_dscnt 0x0
	v_cmp_eq_u64_e32 vcc_lo, v[23:24], v[12:13]
	v_dual_mov_b32 v12, v23 :: v_dual_mov_b32 v13, v24
	s_wait_alu 0xfffe
	s_or_b32 s0, vcc_lo, s0
	s_wait_alu 0xfffe
	s_and_not1_b32 exec_lo, exec_lo, s0
	s_cbranch_execnz .LBB104_118
; %bb.119:
	s_or_b32 exec_lo, exec_lo, s0
	v_mul_f64_e32 v[4:5], v[4:5], v[6:7]
	s_mov_b32 s0, 0
	s_delay_alu instid0(VALU_DEP_1)
	v_fma_f64 v[2:3], v[8:9], v[2:3], v[4:5]
	ds_load_b64 v[4:5], v22 offset:8
.LBB104_120:                            ; =>This Inner Loop Header: Depth=1
	s_wait_dscnt 0x0
	v_add_f64_e32 v[6:7], v[4:5], v[2:3]
	ds_cmpstore_rtn_b64 v[6:7], v22, v[6:7], v[4:5] offset:8
	s_wait_dscnt 0x0
	v_cmp_eq_u64_e32 vcc_lo, v[6:7], v[4:5]
	v_dual_mov_b32 v4, v6 :: v_dual_mov_b32 v5, v7
	s_wait_alu 0xfffe
	s_or_b32 s0, vcc_lo, s0
	s_wait_alu 0xfffe
	s_and_not1_b32 exec_lo, exec_lo, s0
	s_cbranch_execnz .LBB104_120
; %bb.121:
	s_or_b32 exec_lo, exec_lo, s0
.LBB104_122:
	s_wait_alu 0xfffe
	s_or_b32 exec_lo, exec_lo, s7
	v_lshlrev_b64_e32 v[2:3], 4, v[20:21]
	ds_load_b128 v[6:9], v28 offset:4096
	v_add_co_u32 v2, vcc_lo, s14, v2
	s_wait_alu 0xfffd
	v_add_co_ci_u32_e64 v3, null, s15, v3, vcc_lo
	v_cmp_ne_u32_e32 vcc_lo, 1, v26
	global_load_b128 v[2:5], v[2:3], off
	s_and_b32 vcc_lo, exec_lo, vcc_lo
	s_wait_loadcnt_dscnt 0x0
	v_mul_f64_e64 v[10:11], v[4:5], -v[8:9]
	v_mul_f64_e32 v[4:5], v[4:5], v[6:7]
	s_delay_alu instid0(VALU_DEP_2) | instskip(NEXT) | instid1(VALU_DEP_2)
	v_fma_f64 v[10:11], v[6:7], v[2:3], v[10:11]
	v_fma_f64 v[12:13], v[8:9], v[2:3], v[4:5]
	v_add_co_u32 v2, s0, 0x200, v14
	s_wait_alu 0xf1ff
	v_add_co_ci_u32_e64 v3, null, 0, v15, s0
	v_dual_mov_b32 v4, s16 :: v_dual_mov_b32 v5, s17
	v_dual_mov_b32 v6, s30 :: v_dual_mov_b32 v7, s31
	ds_store_b128 v28, v[10:13] offset:4096
	s_wait_alu 0xfffe
	s_cbranch_vccnz .LBB104_126
; %bb.123:
	v_dual_mov_b32 v4, s16 :: v_dual_mov_b32 v5, s17
	v_dual_mov_b32 v6, s30 :: v_dual_mov_b32 v7, s31
	s_mov_b32 s7, 0
.LBB104_124:                            ; =>This Inner Loop Header: Depth=1
	s_delay_alu instid0(VALU_DEP_1) | instskip(SKIP_1) | instid1(VALU_DEP_2)
	v_add_co_u32 v8, vcc_lo, v6, v4
	s_wait_alu 0xfffd
	v_add_co_ci_u32_e64 v9, null, v7, v5, vcc_lo
	s_delay_alu instid0(VALU_DEP_1) | instskip(NEXT) | instid1(VALU_DEP_1)
	v_lshrrev_b32_e32 v10, 31, v9
	v_add_co_u32 v8, vcc_lo, v8, v10
	s_wait_alu 0xfffd
	v_add_co_ci_u32_e64 v9, null, 0, v9, vcc_lo
	s_delay_alu instid0(VALU_DEP_1) | instskip(NEXT) | instid1(VALU_DEP_1)
	v_ashrrev_i64 v[8:9], 1, v[8:9]
	v_lshlrev_b64_e32 v[10:11], 3, v[8:9]
	s_delay_alu instid0(VALU_DEP_1) | instskip(SKIP_1) | instid1(VALU_DEP_2)
	v_add_co_u32 v10, vcc_lo, s8, v10
	s_wait_alu 0xfffd
	v_add_co_ci_u32_e64 v11, null, s9, v11, vcc_lo
	global_load_b64 v[10:11], v[10:11], off
	s_wait_loadcnt 0x0
	v_sub_co_u32 v10, vcc_lo, v10, s24
	s_wait_alu 0xfffd
	v_subrev_co_ci_u32_e64 v11, null, 0, v11, vcc_lo
	s_delay_alu instid0(VALU_DEP_1) | instskip(SKIP_3) | instid1(VALU_DEP_2)
	v_cmp_lt_i64_e32 vcc_lo, v[2:3], v[10:11]
	s_wait_alu 0xfffd
	v_dual_cndmask_b32 v7, v7, v9 :: v_dual_cndmask_b32 v6, v6, v8
	v_dual_cndmask_b32 v5, v9, v5 :: v_dual_cndmask_b32 v4, v8, v4
	v_add_co_u32 v8, vcc_lo, v6, -1
	s_wait_alu 0xfffd
	s_delay_alu instid0(VALU_DEP_3) | instskip(NEXT) | instid1(VALU_DEP_3)
	v_add_co_ci_u32_e64 v9, null, -1, v7, vcc_lo
	v_cmp_ge_i64_e32 vcc_lo, v[4:5], v[6:7]
	s_delay_alu instid0(VALU_DEP_2)
	v_cmp_eq_u64_e64 s0, v[4:5], v[8:9]
	s_or_b32 s0, vcc_lo, s0
	s_wait_alu 0xfffe
	s_and_b32 s0, exec_lo, s0
	s_wait_alu 0xfffe
	s_or_b32 s7, s0, s7
	s_wait_alu 0xfffe
	s_and_not1_b32 exec_lo, exec_lo, s7
	s_cbranch_execnz .LBB104_124
; %bb.125:
	s_or_b32 exec_lo, exec_lo, s7
.LBB104_126:
	v_lshlrev_b64_e32 v[8:9], 3, v[6:7]
	s_mov_b32 s7, exec_lo
	s_delay_alu instid0(VALU_DEP_1) | instskip(SKIP_1) | instid1(VALU_DEP_2)
	v_add_co_u32 v8, vcc_lo, s8, v8
	s_wait_alu 0xfffd
	v_add_co_ci_u32_e64 v9, null, s9, v9, vcc_lo
	global_load_b64 v[8:9], v[8:9], off
	global_load_b32 v10, v[18:19], off offset:2048
	s_wait_loadcnt 0x1
	v_sub_co_u32 v8, vcc_lo, v8, s24
	s_wait_alu 0xfffd
	v_subrev_co_ci_u32_e64 v9, null, 0, v9, vcc_lo
	s_wait_loadcnt 0x0
	v_subrev_nc_u32_e32 v14, s24, v10
	s_delay_alu instid0(VALU_DEP_2) | instskip(NEXT) | instid1(VALU_DEP_2)
	v_cmp_lt_i64_e32 vcc_lo, v[2:3], v[8:9]
	v_ashrrev_i32_e32 v15, 31, v14
	s_wait_alu 0xfffd
	v_dual_cndmask_b32 v5, v7, v5 :: v_dual_cndmask_b32 v4, v6, v4
	s_delay_alu instid0(VALU_DEP_1)
	v_cmpx_ne_u64_e64 v[4:5], v[14:15]
	s_cbranch_execz .LBB104_140
; %bb.127:
	s_load_b64 s[34:35], s[10:11], 0x0
	s_wait_kmcnt 0x0
	s_sub_nc_u64 s[34:35], s[34:35], s[24:25]
	s_wait_alu 0xfffe
	v_cmp_gt_i64_e32 vcc_lo, s[34:35], v[2:3]
	s_and_b32 exec_lo, exec_lo, vcc_lo
	s_cbranch_execz .LBB104_140
; %bb.128:
	v_cmp_gt_i64_e32 vcc_lo, s[12:13], v[14:15]
	v_cmp_le_i64_e64 s0, s[18:19], v[14:15]
	v_lshlrev_b64_e32 v[2:3], 4, v[4:5]
	s_or_b32 s0, vcc_lo, s0
	s_wait_alu 0xfffe
	s_and_saveexec_b32 s29, s0
	s_wait_alu 0xfffe
	s_xor_b32 s0, exec_lo, s29
	s_cbranch_execz .LBB104_134
; %bb.129:
	v_add_co_u32 v2, vcc_lo, s14, v2
	s_wait_alu 0xfffd
	v_add_co_ci_u32_e64 v3, null, s15, v3, vcc_lo
	v_lshlrev_b64_e32 v[6:7], 4, v[14:15]
	s_mov_b32 s29, 0
	global_load_b128 v[2:5], v[2:3], off
	v_add_co_u32 v20, vcc_lo, s20, v6
	s_wait_alu 0xfffd
	v_add_co_ci_u32_e64 v21, null, s21, v7, vcc_lo
	ds_load_b128 v[6:9], v28 offset:8192
	global_load_b64 v[12:13], v[20:21], off
	s_wait_loadcnt_dscnt 0x100
	v_mul_f64_e64 v[10:11], v[4:5], -v[8:9]
	s_delay_alu instid0(VALU_DEP_1)
	v_fma_f64 v[22:23], v[6:7], v[2:3], v[10:11]
.LBB104_130:                            ; =>This Inner Loop Header: Depth=1
	s_wait_loadcnt 0x0
	s_delay_alu instid0(VALU_DEP_1)
	v_add_f64_e32 v[10:11], v[12:13], v[22:23]
	global_atomic_cmpswap_b64 v[10:11], v[20:21], v[10:13], off th:TH_ATOMIC_RETURN scope:SCOPE_DEV
	s_wait_loadcnt 0x0
	v_cmp_eq_u64_e32 vcc_lo, v[10:11], v[12:13]
	v_dual_mov_b32 v13, v11 :: v_dual_mov_b32 v12, v10
	s_wait_alu 0xfffe
	s_or_b32 s29, vcc_lo, s29
	s_wait_alu 0xfffe
	s_and_not1_b32 exec_lo, exec_lo, s29
	s_cbranch_execnz .LBB104_130
; %bb.131:
	s_or_b32 exec_lo, exec_lo, s29
	global_load_b64 v[10:11], v[20:21], off offset:8
	v_mul_f64_e32 v[4:5], v[4:5], v[6:7]
	s_mov_b32 s29, 0
	s_delay_alu instid0(VALU_DEP_1)
	v_fma_f64 v[2:3], v[8:9], v[2:3], v[4:5]
.LBB104_132:                            ; =>This Inner Loop Header: Depth=1
	s_wait_loadcnt 0x0
	s_delay_alu instid0(VALU_DEP_1)
	v_add_f64_e32 v[8:9], v[10:11], v[2:3]
	global_atomic_cmpswap_b64 v[4:5], v[20:21], v[8:11], off offset:8 th:TH_ATOMIC_RETURN scope:SCOPE_DEV
	s_wait_loadcnt 0x0
	v_cmp_eq_u64_e32 vcc_lo, v[4:5], v[10:11]
	v_dual_mov_b32 v11, v5 :: v_dual_mov_b32 v10, v4
	s_wait_alu 0xfffe
	s_or_b32 s29, vcc_lo, s29
	s_wait_alu 0xfffe
	s_and_not1_b32 exec_lo, exec_lo, s29
	s_cbranch_execnz .LBB104_132
; %bb.133:
	s_or_b32 exec_lo, exec_lo, s29
                                        ; implicit-def: $vgpr2_vgpr3
.LBB104_134:
	s_wait_alu 0xfffe
	s_and_not1_saveexec_b32 s0, s0
	s_cbranch_execz .LBB104_140
; %bb.135:
	v_add_co_u32 v2, vcc_lo, s14, v2
	s_wait_alu 0xfffd
	v_add_co_ci_u32_e64 v3, null, s15, v3, vcc_lo
	ds_load_b128 v[6:9], v28 offset:8192
	v_subrev_nc_u32_e32 v12, s12, v14
	s_mov_b32 s0, 0
	global_load_b128 v[2:5], v[2:3], off
	v_lshl_add_u32 v20, v12, 4, 0x4000
	ds_load_b64 v[12:13], v20
	s_wait_loadcnt_dscnt 0x1
	v_mul_f64_e64 v[10:11], v[4:5], -v[8:9]
	s_delay_alu instid0(VALU_DEP_1)
	v_fma_f64 v[10:11], v[6:7], v[2:3], v[10:11]
.LBB104_136:                            ; =>This Inner Loop Header: Depth=1
	s_wait_dscnt 0x0
	s_delay_alu instid0(VALU_DEP_1)
	v_add_f64_e32 v[21:22], v[12:13], v[10:11]
	ds_cmpstore_rtn_b64 v[21:22], v20, v[21:22], v[12:13]
	s_wait_dscnt 0x0
	v_cmp_eq_u64_e32 vcc_lo, v[21:22], v[12:13]
	v_dual_mov_b32 v12, v21 :: v_dual_mov_b32 v13, v22
	s_wait_alu 0xfffe
	s_or_b32 s0, vcc_lo, s0
	s_wait_alu 0xfffe
	s_and_not1_b32 exec_lo, exec_lo, s0
	s_cbranch_execnz .LBB104_136
; %bb.137:
	s_or_b32 exec_lo, exec_lo, s0
	v_mul_f64_e32 v[4:5], v[4:5], v[6:7]
	s_mov_b32 s0, 0
	s_delay_alu instid0(VALU_DEP_1)
	v_fma_f64 v[2:3], v[8:9], v[2:3], v[4:5]
	ds_load_b64 v[4:5], v20 offset:8
.LBB104_138:                            ; =>This Inner Loop Header: Depth=1
	s_wait_dscnt 0x0
	v_add_f64_e32 v[6:7], v[4:5], v[2:3]
	ds_cmpstore_rtn_b64 v[6:7], v20, v[6:7], v[4:5] offset:8
	s_wait_dscnt 0x0
	v_cmp_eq_u64_e32 vcc_lo, v[6:7], v[4:5]
	v_dual_mov_b32 v4, v6 :: v_dual_mov_b32 v5, v7
	s_wait_alu 0xfffe
	s_or_b32 s0, vcc_lo, s0
	s_wait_alu 0xfffe
	s_and_not1_b32 exec_lo, exec_lo, s0
	s_cbranch_execnz .LBB104_138
; %bb.139:
	s_or_b32 exec_lo, exec_lo, s0
.LBB104_140:
	s_wait_alu 0xfffe
	s_or_b32 exec_lo, exec_lo, s7
	v_lshlrev_b64_e32 v[2:3], 4, v[14:15]
	ds_load_b128 v[6:9], v28 offset:8192
	v_add_co_u32 v2, vcc_lo, s14, v2
	s_wait_alu 0xfffd
	v_add_co_ci_u32_e64 v3, null, s15, v3, vcc_lo
	v_cmp_ne_u32_e32 vcc_lo, 1, v26
	global_load_b128 v[2:5], v[2:3], off
	s_and_b32 vcc_lo, exec_lo, vcc_lo
	s_wait_loadcnt_dscnt 0x0
	v_mul_f64_e64 v[10:11], v[4:5], -v[8:9]
	v_mul_f64_e32 v[4:5], v[4:5], v[6:7]
	s_delay_alu instid0(VALU_DEP_2) | instskip(NEXT) | instid1(VALU_DEP_2)
	v_fma_f64 v[6:7], v[6:7], v[2:3], v[10:11]
	v_fma_f64 v[8:9], v[8:9], v[2:3], v[4:5]
	v_dual_mov_b32 v2, s16 :: v_dual_mov_b32 v3, s17
	v_dual_mov_b32 v4, s30 :: v_dual_mov_b32 v5, s31
	ds_store_b128 v28, v[6:9] offset:8192
	s_wait_alu 0xfffe
	s_cbranch_vccnz .LBB104_144
; %bb.141:
	v_dual_mov_b32 v2, s16 :: v_dual_mov_b32 v3, s17
	v_dual_mov_b32 v4, s30 :: v_dual_mov_b32 v5, s31
	s_mov_b32 s7, 0
.LBB104_142:                            ; =>This Inner Loop Header: Depth=1
	s_delay_alu instid0(VALU_DEP_1) | instskip(SKIP_1) | instid1(VALU_DEP_2)
	v_add_co_u32 v6, vcc_lo, v4, v2
	s_wait_alu 0xfffd
	v_add_co_ci_u32_e64 v7, null, v5, v3, vcc_lo
	s_delay_alu instid0(VALU_DEP_1) | instskip(NEXT) | instid1(VALU_DEP_1)
	v_lshrrev_b32_e32 v8, 31, v7
	v_add_co_u32 v6, vcc_lo, v6, v8
	s_wait_alu 0xfffd
	v_add_co_ci_u32_e64 v7, null, 0, v7, vcc_lo
	s_delay_alu instid0(VALU_DEP_1) | instskip(NEXT) | instid1(VALU_DEP_1)
	v_ashrrev_i64 v[6:7], 1, v[6:7]
	v_lshlrev_b64_e32 v[8:9], 3, v[6:7]
	s_delay_alu instid0(VALU_DEP_1) | instskip(SKIP_1) | instid1(VALU_DEP_2)
	v_add_co_u32 v8, vcc_lo, s8, v8
	s_wait_alu 0xfffd
	v_add_co_ci_u32_e64 v9, null, s9, v9, vcc_lo
	global_load_b64 v[8:9], v[8:9], off
	s_wait_loadcnt 0x0
	v_sub_co_u32 v8, vcc_lo, v8, s24
	s_wait_alu 0xfffd
	v_subrev_co_ci_u32_e64 v9, null, 0, v9, vcc_lo
	s_delay_alu instid0(VALU_DEP_1) | instskip(SKIP_3) | instid1(VALU_DEP_2)
	v_cmp_lt_i64_e32 vcc_lo, v[16:17], v[8:9]
	s_wait_alu 0xfffd
	v_dual_cndmask_b32 v5, v5, v7 :: v_dual_cndmask_b32 v4, v4, v6
	v_dual_cndmask_b32 v3, v7, v3 :: v_dual_cndmask_b32 v2, v6, v2
	v_add_co_u32 v6, vcc_lo, v4, -1
	s_wait_alu 0xfffd
	s_delay_alu instid0(VALU_DEP_3) | instskip(NEXT) | instid1(VALU_DEP_3)
	v_add_co_ci_u32_e64 v7, null, -1, v5, vcc_lo
	v_cmp_ge_i64_e32 vcc_lo, v[2:3], v[4:5]
	s_delay_alu instid0(VALU_DEP_2)
	v_cmp_eq_u64_e64 s0, v[2:3], v[6:7]
	s_or_b32 s0, vcc_lo, s0
	s_wait_alu 0xfffe
	s_and_b32 s0, exec_lo, s0
	s_wait_alu 0xfffe
	s_or_b32 s7, s0, s7
	s_wait_alu 0xfffe
	s_and_not1_b32 exec_lo, exec_lo, s7
	s_cbranch_execnz .LBB104_142
; %bb.143:
	s_or_b32 exec_lo, exec_lo, s7
.LBB104_144:
	v_lshlrev_b64_e32 v[6:7], 3, v[4:5]
	s_mov_b32 s7, exec_lo
	s_delay_alu instid0(VALU_DEP_1) | instskip(SKIP_1) | instid1(VALU_DEP_2)
	v_add_co_u32 v6, vcc_lo, s8, v6
	s_wait_alu 0xfffd
	v_add_co_ci_u32_e64 v7, null, s9, v7, vcc_lo
	global_load_b64 v[6:7], v[6:7], off
	global_load_b32 v8, v[18:19], off offset:3072
	s_wait_loadcnt 0x1
	v_sub_co_u32 v6, vcc_lo, v6, s24
	s_wait_alu 0xfffd
	v_subrev_co_ci_u32_e64 v7, null, 0, v7, vcc_lo
	s_wait_loadcnt 0x0
	v_subrev_nc_u32_e32 v14, s24, v8
	s_delay_alu instid0(VALU_DEP_2) | instskip(NEXT) | instid1(VALU_DEP_2)
	v_cmp_lt_i64_e32 vcc_lo, v[16:17], v[6:7]
	v_ashrrev_i32_e32 v15, 31, v14
	s_wait_alu 0xfffd
	v_dual_cndmask_b32 v3, v5, v3 :: v_dual_cndmask_b32 v2, v4, v2
	s_delay_alu instid0(VALU_DEP_1)
	v_cmpx_ne_u64_e64 v[2:3], v[14:15]
	s_cbranch_execz .LBB104_158
; %bb.145:
	s_load_b64 s[10:11], s[10:11], 0x0
	s_wait_kmcnt 0x0
	s_sub_nc_u64 s[10:11], s[10:11], s[24:25]
	s_wait_alu 0xfffe
	v_cmp_gt_i64_e32 vcc_lo, s[10:11], v[16:17]
	s_and_b32 exec_lo, exec_lo, vcc_lo
	s_cbranch_execz .LBB104_158
; %bb.146:
	v_cmp_gt_i64_e32 vcc_lo, s[12:13], v[14:15]
	v_cmp_le_i64_e64 s0, s[18:19], v[14:15]
	v_lshlrev_b64_e32 v[2:3], 4, v[2:3]
	s_or_b32 s0, vcc_lo, s0
	s_wait_alu 0xfffe
	s_and_saveexec_b32 s10, s0
	s_wait_alu 0xfffe
	s_xor_b32 s0, exec_lo, s10
	s_cbranch_execz .LBB104_152
; %bb.147:
	v_add_co_u32 v2, vcc_lo, s14, v2
	s_wait_alu 0xfffd
	v_add_co_ci_u32_e64 v3, null, s15, v3, vcc_lo
	v_lshlrev_b64_e32 v[6:7], 4, v[14:15]
	s_mov_b32 s10, 0
	global_load_b128 v[2:5], v[2:3], off
	v_add_co_u32 v16, vcc_lo, s20, v6
	s_wait_alu 0xfffd
	v_add_co_ci_u32_e64 v17, null, s21, v7, vcc_lo
	ds_load_b128 v[6:9], v28 offset:12288
	global_load_b64 v[12:13], v[16:17], off
	s_wait_loadcnt_dscnt 0x100
	v_mul_f64_e64 v[10:11], v[4:5], -v[8:9]
	s_delay_alu instid0(VALU_DEP_1)
	v_fma_f64 v[18:19], v[6:7], v[2:3], v[10:11]
.LBB104_148:                            ; =>This Inner Loop Header: Depth=1
	s_wait_loadcnt 0x0
	s_delay_alu instid0(VALU_DEP_1)
	v_add_f64_e32 v[10:11], v[12:13], v[18:19]
	global_atomic_cmpswap_b64 v[10:11], v[16:17], v[10:13], off th:TH_ATOMIC_RETURN scope:SCOPE_DEV
	s_wait_loadcnt 0x0
	v_cmp_eq_u64_e32 vcc_lo, v[10:11], v[12:13]
	v_dual_mov_b32 v13, v11 :: v_dual_mov_b32 v12, v10
	s_wait_alu 0xfffe
	s_or_b32 s10, vcc_lo, s10
	s_wait_alu 0xfffe
	s_and_not1_b32 exec_lo, exec_lo, s10
	s_cbranch_execnz .LBB104_148
; %bb.149:
	s_or_b32 exec_lo, exec_lo, s10
	global_load_b64 v[10:11], v[16:17], off offset:8
	v_mul_f64_e32 v[4:5], v[4:5], v[6:7]
	s_mov_b32 s10, 0
	s_delay_alu instid0(VALU_DEP_1)
	v_fma_f64 v[2:3], v[8:9], v[2:3], v[4:5]
.LBB104_150:                            ; =>This Inner Loop Header: Depth=1
	s_wait_loadcnt 0x0
	s_delay_alu instid0(VALU_DEP_1)
	v_add_f64_e32 v[8:9], v[10:11], v[2:3]
	global_atomic_cmpswap_b64 v[4:5], v[16:17], v[8:11], off offset:8 th:TH_ATOMIC_RETURN scope:SCOPE_DEV
	s_wait_loadcnt 0x0
	v_cmp_eq_u64_e32 vcc_lo, v[4:5], v[10:11]
	v_dual_mov_b32 v11, v5 :: v_dual_mov_b32 v10, v4
	s_wait_alu 0xfffe
	s_or_b32 s10, vcc_lo, s10
	s_wait_alu 0xfffe
	s_and_not1_b32 exec_lo, exec_lo, s10
	s_cbranch_execnz .LBB104_150
; %bb.151:
	s_or_b32 exec_lo, exec_lo, s10
                                        ; implicit-def: $vgpr2_vgpr3
.LBB104_152:
	s_wait_alu 0xfffe
	s_and_not1_saveexec_b32 s0, s0
	s_cbranch_execz .LBB104_158
; %bb.153:
	v_add_co_u32 v2, vcc_lo, s14, v2
	s_wait_alu 0xfffd
	v_add_co_ci_u32_e64 v3, null, s15, v3, vcc_lo
	ds_load_b128 v[6:9], v28 offset:12288
	v_subrev_nc_u32_e32 v12, s12, v14
	s_mov_b32 s0, 0
	global_load_b128 v[2:5], v[2:3], off
	v_lshl_add_u32 v16, v12, 4, 0x4000
	ds_load_b64 v[12:13], v16
	s_wait_loadcnt_dscnt 0x1
	v_mul_f64_e64 v[10:11], v[4:5], -v[8:9]
	s_delay_alu instid0(VALU_DEP_1)
	v_fma_f64 v[10:11], v[6:7], v[2:3], v[10:11]
.LBB104_154:                            ; =>This Inner Loop Header: Depth=1
	s_wait_dscnt 0x0
	s_delay_alu instid0(VALU_DEP_1)
	v_add_f64_e32 v[17:18], v[12:13], v[10:11]
	ds_cmpstore_rtn_b64 v[17:18], v16, v[17:18], v[12:13]
	s_wait_dscnt 0x0
	v_cmp_eq_u64_e32 vcc_lo, v[17:18], v[12:13]
	v_dual_mov_b32 v12, v17 :: v_dual_mov_b32 v13, v18
	s_wait_alu 0xfffe
	s_or_b32 s0, vcc_lo, s0
	s_wait_alu 0xfffe
	s_and_not1_b32 exec_lo, exec_lo, s0
	s_cbranch_execnz .LBB104_154
; %bb.155:
	s_or_b32 exec_lo, exec_lo, s0
	v_mul_f64_e32 v[4:5], v[4:5], v[6:7]
	s_mov_b32 s0, 0
	s_delay_alu instid0(VALU_DEP_1)
	v_fma_f64 v[2:3], v[8:9], v[2:3], v[4:5]
	ds_load_b64 v[4:5], v16 offset:8
.LBB104_156:                            ; =>This Inner Loop Header: Depth=1
	s_wait_dscnt 0x0
	v_add_f64_e32 v[6:7], v[4:5], v[2:3]
	ds_cmpstore_rtn_b64 v[6:7], v16, v[6:7], v[4:5] offset:8
	s_wait_dscnt 0x0
	v_cmp_eq_u64_e32 vcc_lo, v[6:7], v[4:5]
	v_dual_mov_b32 v4, v6 :: v_dual_mov_b32 v5, v7
	s_wait_alu 0xfffe
	s_or_b32 s0, vcc_lo, s0
	s_wait_alu 0xfffe
	s_and_not1_b32 exec_lo, exec_lo, s0
	s_cbranch_execnz .LBB104_156
; %bb.157:
	s_or_b32 exec_lo, exec_lo, s0
.LBB104_158:
	s_wait_alu 0xfffe
	s_or_b32 exec_lo, exec_lo, s7
	v_lshlrev_b64_e32 v[2:3], 4, v[14:15]
	ds_load_b128 v[6:9], v28 offset:12288
	v_add_co_u32 v2, vcc_lo, s14, v2
	s_wait_alu 0xfffd
	v_add_co_ci_u32_e64 v3, null, s15, v3, vcc_lo
	global_load_b128 v[2:5], v[2:3], off
	s_wait_loadcnt_dscnt 0x0
	v_mul_f64_e64 v[10:11], v[4:5], -v[8:9]
	v_mul_f64_e32 v[12:13], v[4:5], v[6:7]
	s_delay_alu instid0(VALU_DEP_2) | instskip(NEXT) | instid1(VALU_DEP_2)
	v_fma_f64 v[4:5], v[6:7], v[2:3], v[10:11]
	v_fma_f64 v[6:7], v[8:9], v[2:3], v[12:13]
	ds_store_b128 v28, v[4:7] offset:12288
.LBB104_159:
	s_wait_alu 0xfffe
	s_or_b32 exec_lo, exec_lo, s1
	v_cmp_lt_i64_e64 s0, s[18:19], s[2:3]
	s_wait_loadcnt_dscnt 0x0
	s_barrier_signal -1
	s_barrier_wait -1
	global_inv scope:SCOPE_SE
	s_and_b32 s0, s0, exec_lo
	s_cselect_b32 s1, s19, s3
	s_cselect_b32 s0, s18, s2
	s_wait_alu 0xfffe
	s_sub_nc_u64 s[2:3], s[0:1], s[22:23]
	s_mov_b32 s1, exec_lo
	s_wait_alu 0xfffe
	v_cmpx_gt_i64_e64 s[2:3], v[0:1]
	s_cbranch_execz .LBB104_166
; %bb.160:
	v_dual_mov_b32 v11, v1 :: v_dual_mov_b32 v10, v0
	s_lshl_b64 s[10:11], s[12:13], 4
	s_mov_b32 s7, 0
	s_wait_alu 0xfffe
	s_add_nc_u64 s[10:11], s[20:21], s[10:11]
.LBB104_161:                            ; =>This Loop Header: Depth=1
                                        ;     Child Loop BB104_162 Depth 2
                                        ;     Child Loop BB104_164 Depth 2
	v_lshlrev_b64_e32 v[2:3], 4, v[10:11]
	s_mov_b32 s12, 0
	s_wait_alu 0xfffe
	s_delay_alu instid0(VALU_DEP_1) | instskip(SKIP_1) | instid1(VALU_DEP_2)
	v_add_co_u32 v12, vcc_lo, s10, v2
	s_wait_alu 0xfffd
	v_add_co_ci_u32_e64 v13, null, s11, v3, vcc_lo
	v_lshl_add_u32 v2, v10, 4, 0x4000
	global_load_b64 v[8:9], v[12:13], off
	ds_load_2addr_b64 v[2:5], v2 offset1:1
.LBB104_162:                            ;   Parent Loop BB104_161 Depth=1
                                        ; =>  This Inner Loop Header: Depth=2
	s_wait_loadcnt_dscnt 0x0
	v_add_f64_e32 v[6:7], v[8:9], v[2:3]
	global_atomic_cmpswap_b64 v[6:7], v[12:13], v[6:9], off th:TH_ATOMIC_RETURN scope:SCOPE_DEV
	s_wait_loadcnt 0x0
	v_cmp_eq_u64_e32 vcc_lo, v[6:7], v[8:9]
	v_dual_mov_b32 v9, v7 :: v_dual_mov_b32 v8, v6
	s_or_b32 s12, vcc_lo, s12
	s_wait_alu 0xfffe
	s_and_not1_b32 exec_lo, exec_lo, s12
	s_cbranch_execnz .LBB104_162
; %bb.163:                              ;   in Loop: Header=BB104_161 Depth=1
	s_or_b32 exec_lo, exec_lo, s12
	global_load_b64 v[8:9], v[12:13], off offset:8
	s_mov_b32 s12, 0
.LBB104_164:                            ;   Parent Loop BB104_161 Depth=1
                                        ; =>  This Inner Loop Header: Depth=2
	s_wait_loadcnt 0x0
	v_add_f64_e32 v[6:7], v[8:9], v[4:5]
	global_atomic_cmpswap_b64 v[2:3], v[12:13], v[6:9], off offset:8 th:TH_ATOMIC_RETURN scope:SCOPE_DEV
	s_wait_loadcnt 0x0
	v_cmp_eq_u64_e32 vcc_lo, v[2:3], v[8:9]
	v_dual_mov_b32 v9, v3 :: v_dual_mov_b32 v8, v2
	s_wait_alu 0xfffe
	s_or_b32 s12, vcc_lo, s12
	s_wait_alu 0xfffe
	s_and_not1_b32 exec_lo, exec_lo, s12
	s_cbranch_execnz .LBB104_164
; %bb.165:                              ;   in Loop: Header=BB104_161 Depth=1
	s_or_b32 exec_lo, exec_lo, s12
	v_add_co_u32 v10, vcc_lo, 0x100, v10
	s_wait_alu 0xfffd
	v_add_co_ci_u32_e64 v11, null, 0, v11, vcc_lo
	s_delay_alu instid0(VALU_DEP_1)
	v_cmp_le_i64_e32 vcc_lo, s[2:3], v[10:11]
	s_or_b32 s7, vcc_lo, s7
	s_wait_alu 0xfffe
	s_and_not1_b32 exec_lo, exec_lo, s7
	s_cbranch_execnz .LBB104_161
.LBB104_166:
	s_or_b32 exec_lo, exec_lo, s1
	s_add_co_i32 s1, s28, -1
	v_add_co_u32 v10, s7, s16, v0
	s_wait_alu 0xfffe
	s_ashr_i32 s3, s1, 1
	v_add_co_ci_u32_e64 v11, null, s17, 0, s7
	s_wait_alu 0xfffe
	s_or_b32 s1, s3, s1
	s_wait_loadcnt 0x0
	s_wait_alu 0xfffe
	s_ashr_i32 s3, s1, 2
	s_barrier_signal -1
	s_wait_alu 0xfffe
	s_or_b32 s1, s3, s1
	s_barrier_wait -1
	s_wait_alu 0xfffe
	s_ashr_i32 s3, s1, 4
	global_inv scope:SCOPE_SE
	s_wait_alu 0xfffe
	s_or_b32 s1, s3, s1
	s_wait_alu 0xfffe
	s_ashr_i32 s3, s1, 8
	s_wait_alu 0xfffe
	s_or_b32 s1, s3, s1
	s_wait_alu 0xfffe
	s_ashr_i32 s3, s1, 16
	s_wait_alu 0xfffe
	s_or_b32 s3, s3, s1
	s_mov_b32 s1, -1
	s_wait_alu 0xfffe
	s_add_co_i32 s3, s3, 1
	s_wait_alu 0xfffe
	s_ashr_i32 s10, s3, 1
	s_wait_alu 0xfffe
	s_cmp_gt_i32 s10, 1
	s_cbranch_scc1 .LBB104_179
; %bb.167:
	s_mov_b32 s1, exec_lo
	v_cmpx_gt_i64_e64 s[18:19], v[10:11]
	s_cbranch_execz .LBB104_178
; %bb.168:
	s_sub_co_i32 s0, s0, s18
	v_dual_mov_b32 v13, v11 :: v_dual_mov_b32 v12, v10
	s_lshl_b32 s7, s4, 4
	s_wait_alu 0xfffe
	s_lshl_b32 s0, s0, 4
	s_mov_b32 s3, 0
	s_wait_alu 0xfffe
	s_addk_co_i32 s0, 0x4000
	s_sub_co_i32 s7, 0, s7
.LBB104_169:                            ; =>This Loop Header: Depth=1
                                        ;     Child Loop BB104_171 Depth 2
                                        ;     Child Loop BB104_174 Depth 2
	;; [unrolled: 1-line block ×3, first 2 shown]
	v_lshlrev_b64_e32 v[2:3], 3, v[12:13]
	v_mov_b32_e32 v14, 0
	v_dual_mov_b32 v15, 0 :: v_dual_mov_b32 v6, 0
	v_mov_b32_e32 v7, 0
	s_mov_b32 s11, exec_lo
	s_delay_alu instid0(VALU_DEP_4)
	v_add_co_u32 v2, vcc_lo, s8, v2
	s_wait_alu 0xfffd
	v_add_co_ci_u32_e64 v3, null, s9, v3, vcc_lo
	global_load_b128 v[2:5], v[2:3], off
	s_wait_loadcnt 0x0
	v_cmpx_lt_i64_e64 v[2:3], v[4:5]
	s_cbranch_execz .LBB104_173
; %bb.170:                              ;   in Loop: Header=BB104_169 Depth=1
	v_sub_co_u32 v4, vcc_lo, v4, s4
	s_wait_alu 0xfffd
	v_subrev_co_ci_u32_e64 v5, null, s5, v5, vcc_lo
	v_sub_co_u32 v8, vcc_lo, v2, s4
	v_mov_b32_e32 v14, 0
	v_dual_mov_b32 v15, 0 :: v_dual_mov_b32 v6, 0
	s_wait_alu 0xfffd
	v_subrev_co_ci_u32_e64 v9, null, s5, v3, vcc_lo
	v_mov_b32_e32 v7, 0
	s_wait_alu 0xfffe
	v_lshl_add_u32 v2, v2, 4, s7
	s_mov_b32 s12, 0
.LBB104_171:                            ;   Parent Loop BB104_169 Depth=1
                                        ; =>  This Inner Loop Header: Depth=2
	ds_load_b128 v[16:19], v2
	v_add_co_u32 v8, vcc_lo, v8, 1
	s_wait_alu 0xfffd
	v_add_co_ci_u32_e64 v9, null, 0, v9, vcc_lo
	v_add_nc_u32_e32 v2, 16, v2
	s_delay_alu instid0(VALU_DEP_2)
	v_cmp_ge_i64_e32 vcc_lo, v[8:9], v[4:5]
	s_wait_alu 0xfffe
	s_or_b32 s12, vcc_lo, s12
	s_wait_dscnt 0x0
	v_add_f64_e32 v[6:7], v[6:7], v[16:17]
	v_add_f64_e32 v[14:15], v[14:15], v[18:19]
	s_wait_alu 0xfffe
	s_and_not1_b32 exec_lo, exec_lo, s12
	s_cbranch_execnz .LBB104_171
; %bb.172:                              ;   in Loop: Header=BB104_169 Depth=1
	s_or_b32 exec_lo, exec_lo, s12
.LBB104_173:                            ;   in Loop: Header=BB104_169 Depth=1
	s_wait_alu 0xfffe
	s_or_b32 exec_lo, exec_lo, s11
	v_lshlrev_b64_e32 v[2:3], 4, v[12:13]
	s_mov_b32 s11, 0
	s_delay_alu instid0(VALU_DEP_1) | instskip(SKIP_1) | instid1(VALU_DEP_2)
	v_add_co_u32 v16, vcc_lo, s20, v2
	s_wait_alu 0xfffd
	v_add_co_ci_u32_e64 v17, null, s21, v3, vcc_lo
	v_lshl_add_u32 v2, v12, 4, s0
	global_load_b64 v[8:9], v[16:17], off
	ds_load_2addr_b64 v[2:5], v2 offset1:1
	s_wait_dscnt 0x0
	v_add_f64_e32 v[2:3], v[6:7], v[2:3]
.LBB104_174:                            ;   Parent Loop BB104_169 Depth=1
                                        ; =>  This Inner Loop Header: Depth=2
	s_wait_loadcnt 0x0
	s_delay_alu instid0(VALU_DEP_1)
	v_add_f64_e32 v[6:7], v[8:9], v[2:3]
	global_atomic_cmpswap_b64 v[6:7], v[16:17], v[6:9], off th:TH_ATOMIC_RETURN scope:SCOPE_DEV
	s_wait_loadcnt 0x0
	v_cmp_eq_u64_e32 vcc_lo, v[6:7], v[8:9]
	v_dual_mov_b32 v9, v7 :: v_dual_mov_b32 v8, v6
	s_wait_alu 0xfffe
	s_or_b32 s11, vcc_lo, s11
	s_wait_alu 0xfffe
	s_and_not1_b32 exec_lo, exec_lo, s11
	s_cbranch_execnz .LBB104_174
; %bb.175:                              ;   in Loop: Header=BB104_169 Depth=1
	s_or_b32 exec_lo, exec_lo, s11
	global_load_b64 v[6:7], v[16:17], off offset:8
	v_add_f64_e32 v[2:3], v[14:15], v[4:5]
	s_mov_b32 s11, 0
.LBB104_176:                            ;   Parent Loop BB104_169 Depth=1
                                        ; =>  This Inner Loop Header: Depth=2
	s_wait_loadcnt 0x0
	s_delay_alu instid0(VALU_DEP_1)
	v_add_f64_e32 v[4:5], v[6:7], v[2:3]
	global_atomic_cmpswap_b64 v[4:5], v[16:17], v[4:7], off offset:8 th:TH_ATOMIC_RETURN scope:SCOPE_DEV
	s_wait_loadcnt 0x0
	v_cmp_eq_u64_e32 vcc_lo, v[4:5], v[6:7]
	v_dual_mov_b32 v7, v5 :: v_dual_mov_b32 v6, v4
	s_wait_alu 0xfffe
	s_or_b32 s11, vcc_lo, s11
	s_wait_alu 0xfffe
	s_and_not1_b32 exec_lo, exec_lo, s11
	s_cbranch_execnz .LBB104_176
; %bb.177:                              ;   in Loop: Header=BB104_169 Depth=1
	s_or_b32 exec_lo, exec_lo, s11
	v_add_co_u32 v12, vcc_lo, v12, s6
	s_wait_alu 0xfffd
	v_add_co_ci_u32_e64 v13, null, 0, v13, vcc_lo
	s_delay_alu instid0(VALU_DEP_1)
	v_cmp_le_i64_e32 vcc_lo, s[18:19], v[12:13]
	s_or_b32 s3, vcc_lo, s3
	s_wait_alu 0xfffe
	s_and_not1_b32 exec_lo, exec_lo, s3
	s_cbranch_execnz .LBB104_169
.LBB104_178:
	s_wait_alu 0xfffe
	s_or_b32 exec_lo, exec_lo, s1
	s_mov_b32 s1, 0
.LBB104_179:
	s_wait_alu 0xfffe
	s_and_not1_b32 vcc_lo, exec_lo, s1
	s_wait_alu 0xfffe
	s_cbranch_vccnz .LBB104_199
; %bb.180:
	s_cvt_f32_u32 s0, s10
	s_sub_co_i32 s1, 0, s10
	s_mov_b32 s11, 0
	s_wait_alu 0xfffe
	v_rcp_iflag_f32_e32 v2, s0
	s_delay_alu instid0(TRANS32_DEP_1) | instskip(SKIP_2) | instid1(SALU_CYCLE_2)
	v_readfirstlane_b32 s0, v2
	s_mul_f32 s0, s0, 0x4f7ffffe
	s_wait_alu 0xfffe
	s_cvt_u32_f32 s0, s0
	s_wait_alu 0xfffe
	s_delay_alu instid0(SALU_CYCLE_2)
	s_mul_i32 s3, s1, s0
	s_wait_alu 0xfffe
	s_mul_hi_u32 s3, s0, s3
	s_wait_alu 0xfffe
	s_add_co_i32 s0, s0, s3
	s_wait_alu 0xfffe
	v_mul_hi_u32 v2, v0, s0
	s_mov_b32 s0, exec_lo
	s_delay_alu instid0(VALU_DEP_1) | instskip(SKIP_1) | instid1(VALU_DEP_2)
	v_mul_lo_u32 v3, v2, s10
	v_add_nc_u32_e32 v4, 1, v2
	v_sub_nc_u32_e32 v3, v0, v3
	s_delay_alu instid0(VALU_DEP_1) | instskip(SKIP_3) | instid1(VALU_DEP_3)
	v_subrev_nc_u32_e32 v5, s10, v3
	v_cmp_le_u32_e32 vcc_lo, s10, v3
	s_wait_alu 0xfffd
	v_cndmask_b32_e32 v2, v2, v4, vcc_lo
	v_dual_cndmask_b32 v4, v3, v5 :: v_dual_mov_b32 v3, 0
	s_delay_alu instid0(VALU_DEP_2) | instskip(NEXT) | instid1(VALU_DEP_2)
	v_add_nc_u32_e32 v5, 1, v2
	v_cmp_le_u32_e32 vcc_lo, s10, v4
	s_wait_alu 0xfffd
	s_delay_alu instid0(VALU_DEP_2) | instskip(NEXT) | instid1(VALU_DEP_1)
	v_cndmask_b32_e32 v2, v2, v5, vcc_lo
	v_lshlrev_b64_e32 v[4:5], 3, v[2:3]
	s_delay_alu instid0(VALU_DEP_1) | instskip(SKIP_1) | instid1(VALU_DEP_2)
	v_add_co_u32 v4, vcc_lo, s26, v4
	s_wait_alu 0xfffd
	v_add_co_ci_u32_e64 v5, null, s27, v5, vcc_lo
	global_load_b128 v[6:9], v[4:5], off
	v_mov_b32_e32 v4, v3
	s_wait_loadcnt 0x0
	v_sub_co_u32 v6, vcc_lo, v6, s4
	s_wait_alu 0xfffd
	v_subrev_co_ci_u32_e64 v7, null, s5, v7, vcc_lo
	v_sub_co_u32 v15, vcc_lo, v8, s4
	s_wait_alu 0xfffd
	v_subrev_co_ci_u32_e64 v16, null, s5, v9, vcc_lo
                                        ; implicit-def: $vgpr8_vgpr9
	s_delay_alu instid0(VALU_DEP_2) | instskip(SKIP_1) | instid1(VALU_DEP_2)
	v_sub_co_u32 v12, vcc_lo, v15, v6
	s_wait_alu 0xfffd
	v_sub_co_ci_u32_e64 v5, null, v16, v7, vcc_lo
	s_delay_alu instid0(VALU_DEP_1)
	v_cmpx_ne_u64_e32 0, v[4:5]
	s_wait_alu 0xfffe
	s_xor_b32 s3, exec_lo, s0
	s_cbranch_execz .LBB104_182
; %bb.181:
	s_add_nc_u64 s[4:5], s[10:11], 0
	s_mov_b32 s13, s11
	s_wait_alu 0xfffe
	s_xor_b64 s[4:5], s[4:5], 0
	s_mov_b32 s17, s11
	s_wait_alu 0xfffe
	s_cvt_f32_u32 s0, s4
	s_cvt_f32_u32 s6, s5
	s_sub_nc_u64 s[8:9], 0, s[4:5]
	v_ashrrev_i32_e32 v14, 31, v5
	s_wait_alu 0xfffe
	s_fmamk_f32 s0, s6, 0x4f800000, s0
	s_delay_alu instid0(VALU_DEP_1) | instskip(SKIP_1) | instid1(SALU_CYCLE_1)
	v_add_co_u32 v4, vcc_lo, v12, v14
	s_wait_alu 0xfffe
	v_s_rcp_f32 s0, s0
	s_wait_alu 0xfffd
	v_add_co_ci_u32_e64 v5, null, v5, v14, vcc_lo
	v_xor_b32_e32 v17, v4, v14
	s_delay_alu instid0(VALU_DEP_2) | instskip(NEXT) | instid1(TRANS32_DEP_1)
	v_xor_b32_e32 v18, v5, v14
	s_mul_f32 s0, s0, 0x5f7ffffc
	s_wait_alu 0xfffe
	s_delay_alu instid0(SALU_CYCLE_2) | instskip(SKIP_1) | instid1(SALU_CYCLE_2)
	s_mul_f32 s6, s0, 0x2f800000
	s_wait_alu 0xfffe
	s_trunc_f32 s6, s6
	s_wait_alu 0xfffe
	s_delay_alu instid0(SALU_CYCLE_2) | instskip(SKIP_2) | instid1(SALU_CYCLE_1)
	s_fmamk_f32 s0, s6, 0xcf800000, s0
	s_cvt_u32_f32 s7, s6
	s_wait_alu 0xfffe
	s_cvt_u32_f32 s6, s0
	s_wait_alu 0xfffe
	s_delay_alu instid0(SALU_CYCLE_2)
	s_mul_u64 s[14:15], s[8:9], s[6:7]
	s_wait_alu 0xfffe
	s_mul_hi_u32 s19, s6, s15
	s_mul_i32 s18, s6, s15
	s_mul_hi_u32 s12, s6, s14
	s_mul_i32 s16, s7, s14
	s_wait_alu 0xfffe
	s_add_nc_u64 s[12:13], s[12:13], s[18:19]
	s_mul_hi_u32 s0, s7, s14
	s_mul_hi_u32 s24, s7, s15
	s_wait_alu 0xfffe
	s_add_co_u32 s12, s12, s16
	s_add_co_ci_u32 s16, s13, s0
	s_mul_i32 s14, s7, s15
	s_add_co_ci_u32 s15, s24, 0
	s_wait_alu 0xfffe
	s_add_nc_u64 s[12:13], s[16:17], s[14:15]
	s_mov_b32 s15, s11
	s_wait_alu 0xfffe
	s_add_co_u32 s6, s6, s12
	s_cselect_b32 s0, -1, 0
	s_wait_alu 0xfffe
	s_cmp_lg_u32 s0, 0
	s_add_co_ci_u32 s7, s7, s13
	s_mov_b32 s13, s11
	s_wait_alu 0xfffe
	s_mul_u64 s[8:9], s[8:9], s[6:7]
	s_wait_alu 0xfffe
	s_mul_hi_u32 s17, s6, s9
	s_mul_i32 s16, s6, s9
	s_mul_hi_u32 s14, s6, s8
	s_mul_i32 s11, s7, s8
	s_wait_alu 0xfffe
	s_add_nc_u64 s[14:15], s[14:15], s[16:17]
	s_mul_hi_u32 s0, s7, s8
	s_mul_hi_u32 s18, s7, s9
	s_mul_i32 s8, s7, s9
	s_wait_alu 0xfffe
	s_add_co_u32 s9, s14, s11
	s_add_co_ci_u32 s12, s15, s0
	s_add_co_ci_u32 s9, s18, 0
	s_wait_alu 0xfffe
	s_add_nc_u64 s[8:9], s[12:13], s[8:9]
	s_wait_alu 0xfffe
	s_add_co_u32 s0, s6, s8
	s_cselect_b32 s6, -1, 0
	s_wait_alu 0xfffe
	v_mul_hi_u32 v19, v17, s0
	s_cmp_lg_u32 s6, 0
	v_mad_co_u64_u32 v[8:9], null, v18, s0, 0
	s_add_co_ci_u32 s6, s7, s9
	s_wait_alu 0xfffe
	v_mad_co_u64_u32 v[4:5], null, v17, s6, 0
	v_mad_co_u64_u32 v[12:13], null, v18, s6, 0
	s_delay_alu instid0(VALU_DEP_2) | instskip(SKIP_1) | instid1(VALU_DEP_3)
	v_add_co_u32 v4, vcc_lo, v19, v4
	s_wait_alu 0xfffd
	v_add_co_ci_u32_e64 v5, null, 0, v5, vcc_lo
	s_delay_alu instid0(VALU_DEP_2) | instskip(SKIP_1) | instid1(VALU_DEP_2)
	v_add_co_u32 v4, vcc_lo, v4, v8
	s_wait_alu 0xfffd
	v_add_co_ci_u32_e32 v4, vcc_lo, v5, v9, vcc_lo
	s_wait_alu 0xfffd
	v_add_co_ci_u32_e32 v5, vcc_lo, 0, v13, vcc_lo
	s_delay_alu instid0(VALU_DEP_2) | instskip(SKIP_1) | instid1(VALU_DEP_2)
	v_add_co_u32 v8, vcc_lo, v4, v12
	s_wait_alu 0xfffd
	v_add_co_ci_u32_e64 v9, null, 0, v5, vcc_lo
	s_delay_alu instid0(VALU_DEP_2) | instskip(SKIP_1) | instid1(VALU_DEP_3)
	v_mul_lo_u32 v12, s5, v8
	v_mad_co_u64_u32 v[4:5], null, s4, v8, 0
	v_mul_lo_u32 v13, s4, v9
	s_delay_alu instid0(VALU_DEP_2) | instskip(NEXT) | instid1(VALU_DEP_2)
	v_sub_co_u32 v4, vcc_lo, v17, v4
	v_add3_u32 v5, v5, v13, v12
	v_add_co_u32 v13, s0, v8, 2
	s_wait_alu 0xf1ff
	v_add_co_ci_u32_e64 v17, null, 0, v9, s0
	s_delay_alu instid0(VALU_DEP_3) | instskip(SKIP_3) | instid1(VALU_DEP_3)
	v_sub_nc_u32_e32 v12, v18, v5
	v_sub_co_u32 v19, s0, v4, s4
	s_wait_alu 0xfffd
	v_sub_co_ci_u32_e64 v5, null, v18, v5, vcc_lo
	v_subrev_co_ci_u32_e64 v12, null, s5, v12, vcc_lo
	s_delay_alu instid0(VALU_DEP_3) | instskip(SKIP_1) | instid1(VALU_DEP_2)
	v_cmp_le_u32_e32 vcc_lo, s4, v19
	s_wait_alu 0xf1ff
	v_subrev_co_ci_u32_e64 v12, null, 0, v12, s0
	s_wait_alu 0xfffd
	v_cndmask_b32_e64 v18, 0, -1, vcc_lo
	v_cmp_eq_u32_e64 s0, s5, v5
	s_delay_alu instid0(VALU_DEP_3)
	v_cmp_le_u32_e32 vcc_lo, s5, v12
	s_wait_alu 0xfffd
	v_cndmask_b32_e64 v19, 0, -1, vcc_lo
	v_cmp_le_u32_e32 vcc_lo, s4, v4
	s_wait_alu 0xfffd
	v_cndmask_b32_e64 v4, 0, -1, vcc_lo
	;; [unrolled: 3-line block ×3, first 2 shown]
	v_cmp_eq_u32_e32 vcc_lo, s5, v12
	s_wait_alu 0xf1ff
	s_delay_alu instid0(VALU_DEP_2)
	v_cndmask_b32_e64 v4, v20, v4, s0
	s_wait_alu 0xfffd
	v_cndmask_b32_e32 v12, v19, v18, vcc_lo
	v_add_co_u32 v18, vcc_lo, v8, 1
	s_wait_alu 0xfffd
	v_add_co_ci_u32_e64 v19, null, 0, v9, vcc_lo
	s_delay_alu instid0(VALU_DEP_3) | instskip(SKIP_1) | instid1(VALU_DEP_2)
	v_cmp_ne_u32_e32 vcc_lo, 0, v12
	s_wait_alu 0xfffd
	v_cndmask_b32_e32 v5, v19, v17, vcc_lo
	v_cndmask_b32_e32 v12, v18, v13, vcc_lo
	v_cmp_ne_u32_e32 vcc_lo, 0, v4
	s_wait_alu 0xfffd
	s_delay_alu instid0(VALU_DEP_2) | instskip(NEXT) | instid1(VALU_DEP_1)
	v_dual_cndmask_b32 v4, v9, v5 :: v_dual_cndmask_b32 v5, v8, v12
                                        ; implicit-def: $vgpr12
	v_xor_b32_e32 v4, v4, v14
	s_delay_alu instid0(VALU_DEP_2) | instskip(NEXT) | instid1(VALU_DEP_1)
	v_xor_b32_e32 v5, v5, v14
	v_sub_co_u32 v8, vcc_lo, v5, v14
	s_wait_alu 0xfffd
	s_delay_alu instid0(VALU_DEP_3)
	v_sub_co_ci_u32_e64 v9, null, v4, v14, vcc_lo
.LBB104_182:
	s_wait_alu 0xfffe
	s_and_not1_saveexec_b32 s0, s3
	s_cbranch_execz .LBB104_184
; %bb.183:
	v_cvt_f32_u32_e32 v4, s10
	s_delay_alu instid0(VALU_DEP_1) | instskip(NEXT) | instid1(TRANS32_DEP_1)
	v_rcp_iflag_f32_e32 v4, v4
	v_mul_f32_e32 v4, 0x4f7ffffe, v4
	s_delay_alu instid0(VALU_DEP_1) | instskip(NEXT) | instid1(VALU_DEP_1)
	v_cvt_u32_f32_e32 v4, v4
	v_mul_lo_u32 v5, s1, v4
	s_delay_alu instid0(VALU_DEP_1) | instskip(NEXT) | instid1(VALU_DEP_1)
	v_mul_hi_u32 v5, v4, v5
	v_add_nc_u32_e32 v4, v4, v5
	s_delay_alu instid0(VALU_DEP_1) | instskip(NEXT) | instid1(VALU_DEP_1)
	v_mul_hi_u32 v4, v12, v4
	v_mul_lo_u32 v5, v4, s10
	v_add_nc_u32_e32 v8, 1, v4
	s_delay_alu instid0(VALU_DEP_2) | instskip(NEXT) | instid1(VALU_DEP_1)
	v_sub_nc_u32_e32 v5, v12, v5
	v_subrev_nc_u32_e32 v9, s10, v5
	v_cmp_le_u32_e32 vcc_lo, s10, v5
	s_wait_alu 0xfffd
	s_delay_alu instid0(VALU_DEP_2) | instskip(SKIP_1) | instid1(VALU_DEP_2)
	v_dual_cndmask_b32 v5, v5, v9 :: v_dual_cndmask_b32 v4, v4, v8
	v_mov_b32_e32 v9, 0
	v_cmp_le_u32_e32 vcc_lo, s10, v5
	s_delay_alu instid0(VALU_DEP_3) | instskip(SKIP_1) | instid1(VALU_DEP_1)
	v_add_nc_u32_e32 v8, 1, v4
	s_wait_alu 0xfffd
	v_cndmask_b32_e32 v8, v4, v8, vcc_lo
.LBB104_184:
	s_wait_alu 0xfffe
	s_or_b32 exec_lo, exec_lo, s0
	v_mov_b32_e32 v4, 0
	v_cmp_gt_i64_e32 vcc_lo, s[22:23], v[2:3]
	v_dual_mov_b32 v5, 0 :: v_dual_mov_b32 v2, 0
	v_mov_b32_e32 v3, 0
	s_and_saveexec_b32 s0, vcc_lo
	s_cbranch_execz .LBB104_192
; %bb.185:
	s_add_co_i32 s1, s10, -1
	v_mov_b32_e32 v4, 0
	s_wait_alu 0xfffe
	v_dual_mov_b32 v5, 0 :: v_dual_and_b32 v12, s1, v0
	v_mov_b32_e32 v2, 0
	v_mov_b32_e32 v3, 0
	s_mov_b32 s1, exec_lo
	s_delay_alu instid0(VALU_DEP_3)
	v_lshlrev_b32_e32 v17, 4, v12
	v_cmpx_lt_i64_e32 0, v[8:9]
	s_cbranch_execz .LBB104_189
; %bb.186:
	v_mov_b32_e32 v4, 0
	v_dual_mov_b32 v5, 0 :: v_dual_mov_b32 v14, v9
	v_lshl_add_u32 v18, v6, 4, v17
	s_delay_alu instid0(VALU_DEP_3) | instskip(NEXT) | instid1(VALU_DEP_3)
	v_dual_mov_b32 v13, v8 :: v_dual_mov_b32 v2, v4
	v_mov_b32_e32 v3, v5
	s_lshl_b32 s4, s10, 4
	s_mov_b32 s3, 0
.LBB104_187:                            ; =>This Inner Loop Header: Depth=1
	ds_load_b128 v[19:22], v18
	v_add_co_u32 v13, vcc_lo, v13, -1
	s_wait_alu 0xfffd
	v_add_co_ci_u32_e64 v14, null, -1, v14, vcc_lo
	s_wait_alu 0xfffe
	v_add_nc_u32_e32 v18, s4, v18
	s_delay_alu instid0(VALU_DEP_2)
	v_cmp_eq_u64_e32 vcc_lo, 0, v[13:14]
	s_or_b32 s3, vcc_lo, s3
	s_wait_dscnt 0x0
	v_add_f64_e32 v[2:3], v[2:3], v[19:20]
	v_add_f64_e32 v[4:5], v[4:5], v[21:22]
	s_wait_alu 0xfffe
	s_and_not1_b32 exec_lo, exec_lo, s3
	s_cbranch_execnz .LBB104_187
; %bb.188:
	s_or_b32 exec_lo, exec_lo, s3
.LBB104_189:
	s_wait_alu 0xfffe
	s_or_b32 exec_lo, exec_lo, s1
	v_mad_co_u64_u32 v[6:7], null, v8, s10, v[6:7]
	v_mov_b32_e32 v13, 0
	s_mov_b32 s1, exec_lo
	s_delay_alu instid0(VALU_DEP_2) | instskip(NEXT) | instid1(VALU_DEP_3)
	v_mad_co_u64_u32 v[7:8], null, v9, s10, v[7:8]
	v_sub_co_u32 v8, vcc_lo, v15, v6
	s_wait_alu 0xfffd
	s_delay_alu instid0(VALU_DEP_2) | instskip(NEXT) | instid1(VALU_DEP_1)
	v_sub_co_ci_u32_e64 v9, null, v16, v7, vcc_lo
	v_cmpx_gt_i64_e64 v[8:9], v[12:13]
	s_cbranch_execz .LBB104_191
; %bb.190:
	v_lshl_add_u32 v6, v6, 4, v17
	ds_load_b128 v[6:9], v6
	s_wait_dscnt 0x0
	v_add_f64_e32 v[2:3], v[2:3], v[6:7]
	v_add_f64_e32 v[4:5], v[4:5], v[8:9]
.LBB104_191:
	s_wait_alu 0xfffe
	s_or_b32 exec_lo, exec_lo, s1
.LBB104_192:
	s_wait_alu 0xfffe
	s_or_b32 exec_lo, exec_lo, s0
	v_cmp_gt_i64_e32 vcc_lo, s[22:23], v[0:1]
	s_barrier_signal -1
	s_barrier_wait -1
	global_inv scope:SCOPE_SE
	ds_store_b128 v28, v[2:5]
	s_wait_loadcnt_dscnt 0x0
	s_barrier_signal -1
	s_barrier_wait -1
	global_inv scope:SCOPE_SE
	s_and_b32 exec_lo, exec_lo, vcc_lo
	s_cbranch_execz .LBB104_199
; %bb.193:
	v_mul_lo_u32 v1, s10, v0
	v_mov_b32_e32 v8, 0
	v_dual_mov_b32 v9, 0 :: v_dual_mov_b32 v4, 0
	v_mov_b32_e32 v5, 0
	s_delay_alu instid0(VALU_DEP_4)
	v_lshlrev_b32_e32 v1, 4, v1
.LBB104_194:                            ; =>This Inner Loop Header: Depth=1
	ds_load_b128 v[12:15], v1
	v_add_nc_u32_e32 v1, 16, v1
	s_add_co_i32 s10, s10, -1
	s_wait_alu 0xfffe
	s_cmp_eq_u32 s10, 0
	s_wait_dscnt 0x0
	v_add_f64_e32 v[4:5], v[4:5], v[12:13]
	v_add_f64_e32 v[8:9], v[8:9], v[14:15]
	s_cbranch_scc0 .LBB104_194
; %bb.195:
	v_lshlrev_b64_e32 v[1:2], 4, v[10:11]
	v_lshlrev_b32_e32 v0, 4, v0
	s_lshl_b32 s0, s2, 4
	s_wait_alu 0xfffe
	s_delay_alu instid0(VALU_DEP_1) | instskip(NEXT) | instid1(VALU_DEP_3)
	v_add3_u32 v0, 0x4000, s0, v0
	v_add_co_u32 v10, vcc_lo, s20, v1
	s_wait_alu 0xfffd
	v_add_co_ci_u32_e64 v11, null, s21, v2, vcc_lo
	ds_load_2addr_b64 v[0:3], v0 offset1:1
	s_mov_b32 s0, 0
	global_load_b64 v[6:7], v[10:11], off
	s_wait_dscnt 0x0
	v_add_f64_e32 v[0:1], v[4:5], v[0:1]
.LBB104_196:                            ; =>This Inner Loop Header: Depth=1
	s_wait_loadcnt 0x0
	s_delay_alu instid0(VALU_DEP_1)
	v_add_f64_e32 v[4:5], v[6:7], v[0:1]
	global_atomic_cmpswap_b64 v[4:5], v[10:11], v[4:7], off th:TH_ATOMIC_RETURN scope:SCOPE_DEV
	s_wait_loadcnt 0x0
	v_cmp_eq_u64_e32 vcc_lo, v[4:5], v[6:7]
	v_dual_mov_b32 v7, v5 :: v_dual_mov_b32 v6, v4
	s_wait_alu 0xfffe
	s_or_b32 s0, vcc_lo, s0
	s_wait_alu 0xfffe
	s_and_not1_b32 exec_lo, exec_lo, s0
	s_cbranch_execnz .LBB104_196
; %bb.197:
	s_or_b32 exec_lo, exec_lo, s0
	global_load_b64 v[4:5], v[10:11], off offset:8
	v_add_f64_e32 v[0:1], v[8:9], v[2:3]
	s_mov_b32 s0, 0
.LBB104_198:                            ; =>This Inner Loop Header: Depth=1
	s_wait_loadcnt 0x0
	s_delay_alu instid0(VALU_DEP_1)
	v_add_f64_e32 v[2:3], v[4:5], v[0:1]
	global_atomic_cmpswap_b64 v[2:3], v[10:11], v[2:5], off offset:8 th:TH_ATOMIC_RETURN scope:SCOPE_DEV
	s_wait_loadcnt 0x0
	v_cmp_eq_u64_e32 vcc_lo, v[2:3], v[4:5]
	v_dual_mov_b32 v5, v3 :: v_dual_mov_b32 v4, v2
	s_wait_alu 0xfffe
	s_or_b32 s0, vcc_lo, s0
	s_wait_alu 0xfffe
	s_and_not1_b32 exec_lo, exec_lo, s0
	s_cbranch_execnz .LBB104_198
.LBB104_199:
	s_endpgm
	.section	.rodata,"a",@progbits
	.p2align	6, 0x0
	.amdhsa_kernel _ZN9rocsparseL27csrmvn_symm_adaptive_kernelIlid21rocsparse_complex_numIdES2_S2_EEvbT_S3_PKS3_NS_24const_host_device_scalarIT4_EES5_PKT0_PKT1_PKT2_S8_PT3_21rocsparse_index_base_b
		.amdhsa_group_segment_fixed_size 16384
		.amdhsa_private_segment_fixed_size 0
		.amdhsa_kernarg_size 368
		.amdhsa_user_sgpr_count 2
		.amdhsa_user_sgpr_dispatch_ptr 0
		.amdhsa_user_sgpr_queue_ptr 0
		.amdhsa_user_sgpr_kernarg_segment_ptr 1
		.amdhsa_user_sgpr_dispatch_id 0
		.amdhsa_user_sgpr_private_segment_size 0
		.amdhsa_wavefront_size32 1
		.amdhsa_uses_dynamic_stack 0
		.amdhsa_enable_private_segment 0
		.amdhsa_system_sgpr_workgroup_id_x 1
		.amdhsa_system_sgpr_workgroup_id_y 0
		.amdhsa_system_sgpr_workgroup_id_z 0
		.amdhsa_system_sgpr_workgroup_info 0
		.amdhsa_system_vgpr_workitem_id 0
		.amdhsa_next_free_vgpr 29
		.amdhsa_next_free_sgpr 42
		.amdhsa_reserve_vcc 1
		.amdhsa_float_round_mode_32 0
		.amdhsa_float_round_mode_16_64 0
		.amdhsa_float_denorm_mode_32 3
		.amdhsa_float_denorm_mode_16_64 3
		.amdhsa_fp16_overflow 0
		.amdhsa_workgroup_processor_mode 1
		.amdhsa_memory_ordered 1
		.amdhsa_forward_progress 1
		.amdhsa_inst_pref_size 101
		.amdhsa_round_robin_scheduling 0
		.amdhsa_exception_fp_ieee_invalid_op 0
		.amdhsa_exception_fp_denorm_src 0
		.amdhsa_exception_fp_ieee_div_zero 0
		.amdhsa_exception_fp_ieee_overflow 0
		.amdhsa_exception_fp_ieee_underflow 0
		.amdhsa_exception_fp_ieee_inexact 0
		.amdhsa_exception_int_div_zero 0
	.end_amdhsa_kernel
	.section	.text._ZN9rocsparseL27csrmvn_symm_adaptive_kernelIlid21rocsparse_complex_numIdES2_S2_EEvbT_S3_PKS3_NS_24const_host_device_scalarIT4_EES5_PKT0_PKT1_PKT2_S8_PT3_21rocsparse_index_base_b,"axG",@progbits,_ZN9rocsparseL27csrmvn_symm_adaptive_kernelIlid21rocsparse_complex_numIdES2_S2_EEvbT_S3_PKS3_NS_24const_host_device_scalarIT4_EES5_PKT0_PKT1_PKT2_S8_PT3_21rocsparse_index_base_b,comdat
.Lfunc_end104:
	.size	_ZN9rocsparseL27csrmvn_symm_adaptive_kernelIlid21rocsparse_complex_numIdES2_S2_EEvbT_S3_PKS3_NS_24const_host_device_scalarIT4_EES5_PKT0_PKT1_PKT2_S8_PT3_21rocsparse_index_base_b, .Lfunc_end104-_ZN9rocsparseL27csrmvn_symm_adaptive_kernelIlid21rocsparse_complex_numIdES2_S2_EEvbT_S3_PKS3_NS_24const_host_device_scalarIT4_EES5_PKT0_PKT1_PKT2_S8_PT3_21rocsparse_index_base_b
                                        ; -- End function
	.set _ZN9rocsparseL27csrmvn_symm_adaptive_kernelIlid21rocsparse_complex_numIdES2_S2_EEvbT_S3_PKS3_NS_24const_host_device_scalarIT4_EES5_PKT0_PKT1_PKT2_S8_PT3_21rocsparse_index_base_b.num_vgpr, 29
	.set _ZN9rocsparseL27csrmvn_symm_adaptive_kernelIlid21rocsparse_complex_numIdES2_S2_EEvbT_S3_PKS3_NS_24const_host_device_scalarIT4_EES5_PKT0_PKT1_PKT2_S8_PT3_21rocsparse_index_base_b.num_agpr, 0
	.set _ZN9rocsparseL27csrmvn_symm_adaptive_kernelIlid21rocsparse_complex_numIdES2_S2_EEvbT_S3_PKS3_NS_24const_host_device_scalarIT4_EES5_PKT0_PKT1_PKT2_S8_PT3_21rocsparse_index_base_b.numbered_sgpr, 42
	.set _ZN9rocsparseL27csrmvn_symm_adaptive_kernelIlid21rocsparse_complex_numIdES2_S2_EEvbT_S3_PKS3_NS_24const_host_device_scalarIT4_EES5_PKT0_PKT1_PKT2_S8_PT3_21rocsparse_index_base_b.num_named_barrier, 0
	.set _ZN9rocsparseL27csrmvn_symm_adaptive_kernelIlid21rocsparse_complex_numIdES2_S2_EEvbT_S3_PKS3_NS_24const_host_device_scalarIT4_EES5_PKT0_PKT1_PKT2_S8_PT3_21rocsparse_index_base_b.private_seg_size, 0
	.set _ZN9rocsparseL27csrmvn_symm_adaptive_kernelIlid21rocsparse_complex_numIdES2_S2_EEvbT_S3_PKS3_NS_24const_host_device_scalarIT4_EES5_PKT0_PKT1_PKT2_S8_PT3_21rocsparse_index_base_b.uses_vcc, 1
	.set _ZN9rocsparseL27csrmvn_symm_adaptive_kernelIlid21rocsparse_complex_numIdES2_S2_EEvbT_S3_PKS3_NS_24const_host_device_scalarIT4_EES5_PKT0_PKT1_PKT2_S8_PT3_21rocsparse_index_base_b.uses_flat_scratch, 0
	.set _ZN9rocsparseL27csrmvn_symm_adaptive_kernelIlid21rocsparse_complex_numIdES2_S2_EEvbT_S3_PKS3_NS_24const_host_device_scalarIT4_EES5_PKT0_PKT1_PKT2_S8_PT3_21rocsparse_index_base_b.has_dyn_sized_stack, 0
	.set _ZN9rocsparseL27csrmvn_symm_adaptive_kernelIlid21rocsparse_complex_numIdES2_S2_EEvbT_S3_PKS3_NS_24const_host_device_scalarIT4_EES5_PKT0_PKT1_PKT2_S8_PT3_21rocsparse_index_base_b.has_recursion, 0
	.set _ZN9rocsparseL27csrmvn_symm_adaptive_kernelIlid21rocsparse_complex_numIdES2_S2_EEvbT_S3_PKS3_NS_24const_host_device_scalarIT4_EES5_PKT0_PKT1_PKT2_S8_PT3_21rocsparse_index_base_b.has_indirect_call, 0
	.section	.AMDGPU.csdata,"",@progbits
; Kernel info:
; codeLenInByte = 12840
; TotalNumSgprs: 44
; NumVgprs: 29
; ScratchSize: 0
; MemoryBound: 0
; FloatMode: 240
; IeeeMode: 1
; LDSByteSize: 16384 bytes/workgroup (compile time only)
; SGPRBlocks: 0
; VGPRBlocks: 3
; NumSGPRsForWavesPerEU: 44
; NumVGPRsForWavesPerEU: 29
; Occupancy: 16
; WaveLimiterHint : 1
; COMPUTE_PGM_RSRC2:SCRATCH_EN: 0
; COMPUTE_PGM_RSRC2:USER_SGPR: 2
; COMPUTE_PGM_RSRC2:TRAP_HANDLER: 0
; COMPUTE_PGM_RSRC2:TGID_X_EN: 1
; COMPUTE_PGM_RSRC2:TGID_Y_EN: 0
; COMPUTE_PGM_RSRC2:TGID_Z_EN: 0
; COMPUTE_PGM_RSRC2:TIDIG_COMP_CNT: 0
	.section	.text._ZL33csrmvn_symm_large_adaptive_kernelIlid21rocsparse_complex_numIdES1_S1_EvbT_PKS2_N9rocsparse24const_host_device_scalarIT4_EES4_PKT0_PKT1_PKT2_S8_PT3_21rocsparse_index_base_b,"axG",@progbits,_ZL33csrmvn_symm_large_adaptive_kernelIlid21rocsparse_complex_numIdES1_S1_EvbT_PKS2_N9rocsparse24const_host_device_scalarIT4_EES4_PKT0_PKT1_PKT2_S8_PT3_21rocsparse_index_base_b,comdat
	.globl	_ZL33csrmvn_symm_large_adaptive_kernelIlid21rocsparse_complex_numIdES1_S1_EvbT_PKS2_N9rocsparse24const_host_device_scalarIT4_EES4_PKT0_PKT1_PKT2_S8_PT3_21rocsparse_index_base_b ; -- Begin function _ZL33csrmvn_symm_large_adaptive_kernelIlid21rocsparse_complex_numIdES1_S1_EvbT_PKS2_N9rocsparse24const_host_device_scalarIT4_EES4_PKT0_PKT1_PKT2_S8_PT3_21rocsparse_index_base_b
	.p2align	8
	.type	_ZL33csrmvn_symm_large_adaptive_kernelIlid21rocsparse_complex_numIdES1_S1_EvbT_PKS2_N9rocsparse24const_host_device_scalarIT4_EES4_PKT0_PKT1_PKT2_S8_PT3_21rocsparse_index_base_b,@function
_ZL33csrmvn_symm_large_adaptive_kernelIlid21rocsparse_complex_numIdES1_S1_EvbT_PKS2_N9rocsparse24const_host_device_scalarIT4_EES4_PKT0_PKT1_PKT2_S8_PT3_21rocsparse_index_base_b: ; @_ZL33csrmvn_symm_large_adaptive_kernelIlid21rocsparse_complex_numIdES1_S1_EvbT_PKS2_N9rocsparse24const_host_device_scalarIT4_EES4_PKT0_PKT1_PKT2_S8_PT3_21rocsparse_index_base_b
; %bb.0:
	s_clause 0x1
	s_load_b64 s[6:7], s[0:1], 0x60
	s_load_b64 s[4:5], s[0:1], 0x18
	s_add_nc_u64 s[8:9], s[0:1], 24
	s_wait_kmcnt 0x0
	s_bitcmp1_b32 s7, 0
	s_cselect_b32 s3, -1, 0
	s_delay_alu instid0(SALU_CYCLE_1) | instskip(SKIP_2) | instid1(SALU_CYCLE_1)
	s_and_b32 s2, s3, exec_lo
	s_cselect_b32 s2, s8, s4
	s_cselect_b32 s4, s9, s5
	v_dual_mov_b32 v1, s2 :: v_dual_mov_b32 v2, s4
	flat_load_b128 v[1:4], v[1:2]
	s_wait_loadcnt_dscnt 0x0
	v_cmp_eq_f64_e32 vcc_lo, 0, v[1:2]
	v_cmp_eq_f64_e64 s2, 0, v[3:4]
	s_and_b32 s5, vcc_lo, s2
	s_mov_b32 s2, -1
	s_wait_alu 0xfffe
	s_and_saveexec_b32 s4, s5
	s_cbranch_execz .LBB105_2
; %bb.1:
	s_load_b64 s[8:9], s[0:1], 0x48
	s_add_nc_u64 s[10:11], s[0:1], 0x48
	s_and_b32 s2, s3, exec_lo
	s_wait_kmcnt 0x0
	s_cselect_b32 s2, s10, s8
	s_cselect_b32 s3, s11, s9
	s_wait_alu 0xfffe
	v_dual_mov_b32 v5, s2 :: v_dual_mov_b32 v6, s3
	flat_load_b128 v[5:8], v[5:6]
	s_wait_loadcnt_dscnt 0x0
	v_cmp_neq_f64_e32 vcc_lo, 1.0, v[5:6]
	v_cmp_neq_f64_e64 s2, 0, v[7:8]
	s_or_b32 s2, vcc_lo, s2
	s_wait_alu 0xfffe
	s_or_not1_b32 s2, s2, exec_lo
.LBB105_2:
	s_wait_alu 0xfffe
	s_or_b32 exec_lo, exec_lo, s4
	s_and_saveexec_b32 s3, s2
	s_cbranch_execz .LBB105_43
; %bb.3:
	s_load_b64 s[4:5], s[0:1], 0x10
	s_mov_b32 s24, 0
	s_mov_b32 s2, ttmp9
	s_mov_b32 s25, s24
	s_mov_b32 s26, s24
	s_mov_b32 s27, s24
	s_delay_alu instid0(SALU_CYCLE_1)
	v_dual_mov_b32 v5, s24 :: v_dual_mov_b32 v8, s27
	s_ashr_i32 s3, ttmp9, 31
	v_dual_mov_b32 v6, s25 :: v_dual_lshlrev_b32 v15, 4, v0
	v_dual_mov_b32 v7, s26 :: v_dual_mov_b32 v18, 0
	s_wait_alu 0xfffe
	s_lshl_b64 s[2:3], s[2:3], 3
	ds_store_b128 v15, v[5:8]
	ds_store_b128 v15, v[5:8] offset:4096
	ds_store_b128 v15, v[5:8] offset:8192
	;; [unrolled: 1-line block ×3, first 2 shown]
	s_wait_dscnt 0x0
	s_barrier_signal -1
	s_barrier_wait -1
	s_wait_kmcnt 0x0
	s_wait_alu 0xfffe
	s_add_nc_u64 s[2:3], s[4:5], s[2:3]
	global_inv scope:SCOPE_SE
	s_load_b128 s[16:19], s[2:3], 0x0
	s_clause 0x1
	s_load_b64 s[20:21], s[0:1], 0x58
	s_load_b256 s[8:15], s[0:1], 0x28
	v_sub_co_u32 v16, s1, v0, s6
	s_delay_alu instid0(VALU_DEP_1)
	v_sub_co_ci_u32_e64 v17, null, 0, 0, s1
	s_mov_b32 s7, s24
	s_wait_kmcnt 0x0
	v_cmp_ge_i64_e64 s0, s[16:17], s[18:19]
	s_and_b32 vcc_lo, exec_lo, s0
	s_cbranch_vccnz .LBB105_31
; %bb.4:
	v_cmp_gt_u32_e64 s0, 64, v0
	v_cmp_gt_u32_e64 s1, 16, v0
	;; [unrolled: 1-line block ×3, first 2 shown]
	v_cmp_eq_u32_e64 s3, 0, v0
	s_mov_b64 s[22:23], s[16:17]
	s_branch .LBB105_6
.LBB105_5:                              ;   in Loop: Header=BB105_6 Depth=1
	s_wait_alu 0xfffe
	s_or_b32 exec_lo, exec_lo, s24
	s_add_nc_u64 s[22:23], s[22:23], 1
	s_wait_alu 0xfffe
	v_cmp_ge_i64_e64 s4, s[22:23], s[18:19]
	s_and_b32 vcc_lo, exec_lo, s4
	s_wait_alu 0xfffe
	s_cbranch_vccnz .LBB105_31
.LBB105_6:                              ; =>This Loop Header: Depth=1
                                        ;     Child Loop BB105_8 Depth 2
                                        ;     Child Loop BB105_20 Depth 2
	;; [unrolled: 1-line block ×5, first 2 shown]
	s_lshl_b64 s[4:5], s[22:23], 3
	v_mov_b32_e32 v7, 0
	s_wait_alu 0xfffe
	s_add_nc_u64 s[4:5], s[8:9], s[4:5]
	v_dual_mov_b32 v8, 0 :: v_dual_mov_b32 v5, 0
	s_load_b128 s[24:27], s[4:5], 0x0
	v_mov_b32_e32 v6, 0
	s_mov_b32 s5, exec_lo
	s_wait_kmcnt 0x0
	v_add_co_u32 v9, vcc_lo, s24, v16
	s_wait_alu 0xfffd
	v_add_co_ci_u32_e64 v10, null, s25, v17, vcc_lo
	s_sub_nc_u64 s[24:25], s[26:27], s[6:7]
	s_wait_alu 0xfffe
	v_cmpx_gt_i64_e64 s[24:25], v[9:10]
	s_cbranch_execz .LBB105_10
; %bb.7:                                ;   in Loop: Header=BB105_6 Depth=1
	v_lshlrev_b64_e32 v[5:6], 2, v[9:10]
	v_lshlrev_b64_e32 v[13:14], 3, v[9:10]
	v_mov_b32_e32 v7, 0
	v_mov_b32_e32 v8, 0
	s_mov_b32 s26, 0
	s_delay_alu instid0(VALU_DEP_4)
	v_add_co_u32 v11, vcc_lo, s10, v5
	s_wait_alu 0xfffd
	v_add_co_ci_u32_e64 v12, null, s11, v6, vcc_lo
	v_add_co_u32 v13, vcc_lo, s12, v13
	s_wait_alu 0xfffd
	v_add_co_ci_u32_e64 v14, null, s13, v14, vcc_lo
	v_dual_mov_b32 v5, v7 :: v_dual_mov_b32 v6, v8
.LBB105_8:                              ;   Parent Loop BB105_6 Depth=1
                                        ; =>  This Inner Loop Header: Depth=2
	global_load_b32 v0, v[11:12], off
	s_wait_loadcnt 0x0
	v_subrev_nc_u32_e32 v19, s6, v0
	s_delay_alu instid0(VALU_DEP_1) | instskip(NEXT) | instid1(VALU_DEP_1)
	v_ashrrev_i32_e32 v20, 31, v19
	v_lshlrev_b64_e32 v[19:20], 4, v[19:20]
	s_delay_alu instid0(VALU_DEP_1) | instskip(SKIP_1) | instid1(VALU_DEP_2)
	v_add_co_u32 v19, vcc_lo, s14, v19
	s_wait_alu 0xfffd
	v_add_co_ci_u32_e64 v20, null, s15, v20, vcc_lo
	v_add_co_u32 v9, vcc_lo, 0x100, v9
	global_load_b64 v[23:24], v[13:14], off
	global_load_b128 v[19:22], v[19:20], off
	s_wait_alu 0xfffd
	v_add_co_ci_u32_e64 v10, null, 0, v10, vcc_lo
	v_add_co_u32 v11, vcc_lo, 0x400, v11
	s_wait_alu 0xfffd
	v_add_co_ci_u32_e64 v12, null, 0, v12, vcc_lo
	s_delay_alu instid0(VALU_DEP_3)
	v_cmp_le_i64_e32 vcc_lo, s[24:25], v[9:10]
	v_add_co_u32 v13, s4, 0x800, v13
	s_wait_alu 0xf1ff
	v_add_co_ci_u32_e64 v14, null, 0, v14, s4
	s_wait_alu 0xfffe
	s_or_b32 s26, vcc_lo, s26
	s_wait_loadcnt 0x0
	v_fma_f64 v[5:6], v[23:24], v[19:20], v[5:6]
	v_fma_f64 v[7:8], v[19:20], 0, v[7:8]
	s_delay_alu instid0(VALU_DEP_2) | instskip(NEXT) | instid1(VALU_DEP_2)
	v_fma_f64 v[5:6], 0x80000000, v[21:22], v[5:6]
	v_fma_f64 v[7:8], v[23:24], v[21:22], v[7:8]
	s_wait_alu 0xfffe
	s_and_not1_b32 exec_lo, exec_lo, s26
	s_cbranch_execnz .LBB105_8
; %bb.9:                                ;   in Loop: Header=BB105_6 Depth=1
	s_or_b32 exec_lo, exec_lo, s26
.LBB105_10:                             ;   in Loop: Header=BB105_6 Depth=1
	s_delay_alu instid0(SALU_CYCLE_1)
	s_or_b32 exec_lo, exec_lo, s5
	ds_store_b128 v15, v[5:8]
	s_wait_loadcnt_dscnt 0x0
	s_barrier_signal -1
	s_barrier_wait -1
	global_inv scope:SCOPE_SE
	ds_load_b128 v[5:8], v15 offset:4096
	ds_load_b128 v[9:12], v15 offset:8192
	;; [unrolled: 1-line block ×3, first 2 shown]
	ds_load_b128 v[23:26], v15
	s_wait_dscnt 0x2
	v_add_f64_e32 v[5:6], v[9:10], v[5:6]
	v_add_f64_e32 v[7:8], v[11:12], v[7:8]
	s_wait_dscnt 0x1
	s_delay_alu instid0(VALU_DEP_2) | instskip(NEXT) | instid1(VALU_DEP_2)
	v_add_f64_e32 v[5:6], v[5:6], v[19:20]
	v_add_f64_e32 v[7:8], v[7:8], v[21:22]
	s_wait_dscnt 0x0
	s_delay_alu instid0(VALU_DEP_2) | instskip(NEXT) | instid1(VALU_DEP_2)
	v_add_f64_e32 v[5:6], v[5:6], v[23:24]
	v_add_f64_e32 v[7:8], v[7:8], v[25:26]
	ds_store_b128 v15, v[5:8]
	s_wait_loadcnt_dscnt 0x0
	s_barrier_signal -1
	s_barrier_wait -1
	global_inv scope:SCOPE_SE
	s_and_saveexec_b32 s4, s0
	s_cbranch_execz .LBB105_12
; %bb.11:                               ;   in Loop: Header=BB105_6 Depth=1
	ds_load_b128 v[5:8], v15 offset:1024
	ds_load_b128 v[9:12], v15 offset:2048
	ds_load_b128 v[19:22], v15 offset:3072
	ds_load_b128 v[23:26], v15
	s_wait_dscnt 0x2
	v_add_f64_e32 v[5:6], v[9:10], v[5:6]
	v_add_f64_e32 v[7:8], v[11:12], v[7:8]
	s_wait_dscnt 0x1
	s_delay_alu instid0(VALU_DEP_2) | instskip(NEXT) | instid1(VALU_DEP_2)
	v_add_f64_e32 v[5:6], v[5:6], v[19:20]
	v_add_f64_e32 v[7:8], v[7:8], v[21:22]
	s_wait_dscnt 0x0
	s_delay_alu instid0(VALU_DEP_2) | instskip(NEXT) | instid1(VALU_DEP_2)
	v_add_f64_e32 v[5:6], v[5:6], v[23:24]
	v_add_f64_e32 v[7:8], v[7:8], v[25:26]
	ds_store_b128 v15, v[5:8]
.LBB105_12:                             ;   in Loop: Header=BB105_6 Depth=1
	s_wait_alu 0xfffe
	s_or_b32 exec_lo, exec_lo, s4
	s_wait_loadcnt_dscnt 0x0
	s_barrier_signal -1
	s_barrier_wait -1
	global_inv scope:SCOPE_SE
	s_and_saveexec_b32 s4, s1
	s_cbranch_execz .LBB105_14
; %bb.13:                               ;   in Loop: Header=BB105_6 Depth=1
	ds_load_b128 v[5:8], v15 offset:256
	ds_load_b128 v[9:12], v15 offset:512
	ds_load_b128 v[19:22], v15 offset:768
	ds_load_b128 v[23:26], v15
	s_wait_dscnt 0x2
	v_add_f64_e32 v[5:6], v[9:10], v[5:6]
	v_add_f64_e32 v[7:8], v[11:12], v[7:8]
	s_wait_dscnt 0x1
	s_delay_alu instid0(VALU_DEP_2) | instskip(NEXT) | instid1(VALU_DEP_2)
	v_add_f64_e32 v[5:6], v[5:6], v[19:20]
	v_add_f64_e32 v[7:8], v[7:8], v[21:22]
	s_wait_dscnt 0x0
	s_delay_alu instid0(VALU_DEP_2) | instskip(NEXT) | instid1(VALU_DEP_2)
	v_add_f64_e32 v[5:6], v[5:6], v[23:24]
	v_add_f64_e32 v[7:8], v[7:8], v[25:26]
	ds_store_b128 v15, v[5:8]
.LBB105_14:                             ;   in Loop: Header=BB105_6 Depth=1
	s_wait_alu 0xfffe
	s_or_b32 exec_lo, exec_lo, s4
	;; [unrolled: 26-line block ×4, first 2 shown]
	s_wait_loadcnt_dscnt 0x0
	s_barrier_signal -1
	s_barrier_wait -1
	global_inv scope:SCOPE_SE
	s_and_saveexec_b32 s24, s3
	s_cbranch_execz .LBB105_5
; %bb.19:                               ;   in Loop: Header=BB105_6 Depth=1
	ds_load_b128 v[5:8], v18
	v_mov_b32_e32 v13, 0
	v_bfrev_b32_e32 v14, 1
	s_mov_b32 s4, exec_lo
	s_wait_dscnt 0x0
	v_mul_f64_e64 v[9:10], v[7:8], -v[3:4]
	s_delay_alu instid0(VALU_DEP_1)
	v_fma_f64 v[9:10], v[1:2], v[5:6], v[9:10]
.LBB105_20:                             ;   Parent Loop BB105_6 Depth=1
                                        ; =>  This Inner Loop Header: Depth=2
	s_wait_alu 0xfffe
	s_ctz_i32_b32 s5, s4
	s_wait_alu 0xfffe
	s_delay_alu instid0(VALU_DEP_1) | instskip(NEXT) | instid1(VALU_DEP_2)
	v_readlane_b32 s27, v10, s5
	v_readlane_b32 s26, v9, s5
	s_lshl_b32 s5, 1, s5
	s_wait_alu 0xfffe
	s_and_not1_b32 s4, s4, s5
	v_add_f64_e32 v[13:14], s[26:27], v[13:14]
	s_wait_alu 0xfffe
	s_cmp_lg_u32 s4, 0
	s_cbranch_scc1 .LBB105_20
; %bb.21:                               ;   in Loop: Header=BB105_6 Depth=1
	v_mbcnt_lo_u32_b32 v0, exec_lo, 0
	s_lshl_b64 s[4:5], s[22:23], 4
	s_mov_b32 s25, exec_lo
	s_wait_alu 0xfffe
	s_add_nc_u64 s[4:5], s[20:21], s[4:5]
	v_cmpx_eq_u32_e32 0, v0
	s_xor_b32 s25, exec_lo, s25
	s_cbranch_execz .LBB105_25
; %bb.22:                               ;   in Loop: Header=BB105_6 Depth=1
	global_load_b64 v[11:12], v18, s[4:5]
	s_mov_b32 s26, 0
.LBB105_23:                             ;   Parent Loop BB105_6 Depth=1
                                        ; =>  This Inner Loop Header: Depth=2
	s_wait_loadcnt 0x0
	v_add_f64_e32 v[9:10], v[11:12], v[13:14]
	global_atomic_cmpswap_b64 v[9:10], v18, v[9:12], s[4:5] th:TH_ATOMIC_RETURN scope:SCOPE_DEV
	s_wait_loadcnt 0x0
	v_cmp_eq_u64_e32 vcc_lo, v[9:10], v[11:12]
	v_dual_mov_b32 v12, v10 :: v_dual_mov_b32 v11, v9
	s_wait_alu 0xfffe
	s_or_b32 s26, vcc_lo, s26
	s_wait_alu 0xfffe
	s_and_not1_b32 exec_lo, exec_lo, s26
	s_cbranch_execnz .LBB105_23
; %bb.24:                               ;   in Loop: Header=BB105_6 Depth=1
	s_or_b32 exec_lo, exec_lo, s26
.LBB105_25:                             ;   in Loop: Header=BB105_6 Depth=1
	s_wait_alu 0xfffe
	s_or_b32 exec_lo, exec_lo, s25
	v_mul_f64_e32 v[7:8], v[1:2], v[7:8]
	v_mov_b32_e32 v9, 0
	v_bfrev_b32_e32 v10, 1
	s_mov_b32 s25, exec_lo
	s_delay_alu instid0(VALU_DEP_3)
	v_fma_f64 v[5:6], v[3:4], v[5:6], v[7:8]
.LBB105_26:                             ;   Parent Loop BB105_6 Depth=1
                                        ; =>  This Inner Loop Header: Depth=2
	s_wait_alu 0xfffe
	s_ctz_i32_b32 s28, s25
	s_wait_alu 0xfffe
	s_delay_alu instid0(VALU_DEP_1) | instskip(NEXT) | instid1(VALU_DEP_2)
	v_readlane_b32 s27, v6, s28
	v_readlane_b32 s26, v5, s28
	s_wait_alu 0xf1ff
	s_delay_alu instid0(VALU_DEP_1)
	v_add_f64_e32 v[9:10], s[26:27], v[9:10]
	s_lshl_b32 s26, 1, s28
	s_wait_alu 0xfffe
	s_and_not1_b32 s25, s25, s26
	s_wait_alu 0xfffe
	s_cmp_lg_u32 s25, 0
	s_cbranch_scc1 .LBB105_26
; %bb.27:                               ;   in Loop: Header=BB105_6 Depth=1
	v_mbcnt_lo_u32_b32 v0, exec_lo, 0
	s_mov_b32 s25, exec_lo
	s_delay_alu instid0(VALU_DEP_1)
	v_cmpx_eq_u32_e32 0, v0
	s_wait_alu 0xfffe
	s_xor_b32 s25, exec_lo, s25
	s_cbranch_execz .LBB105_5
; %bb.28:                               ;   in Loop: Header=BB105_6 Depth=1
	global_load_b64 v[7:8], v18, s[4:5] offset:8
	s_mov_b32 s25, 0
.LBB105_29:                             ;   Parent Loop BB105_6 Depth=1
                                        ; =>  This Inner Loop Header: Depth=2
	s_wait_loadcnt 0x0
	v_add_f64_e32 v[5:6], v[7:8], v[9:10]
	global_atomic_cmpswap_b64 v[5:6], v18, v[5:8], s[4:5] offset:8 th:TH_ATOMIC_RETURN scope:SCOPE_DEV
	s_wait_loadcnt 0x0
	v_cmp_eq_u64_e32 vcc_lo, v[5:6], v[7:8]
	v_dual_mov_b32 v8, v6 :: v_dual_mov_b32 v7, v5
	s_wait_alu 0xfffe
	s_or_b32 s25, vcc_lo, s25
	s_wait_alu 0xfffe
	s_and_not1_b32 exec_lo, exec_lo, s25
	s_cbranch_execnz .LBB105_29
; %bb.30:                               ;   in Loop: Header=BB105_6 Depth=1
	s_or_b32 exec_lo, exec_lo, s25
	s_branch .LBB105_5
.LBB105_31:
	s_lshl_b64 s[0:1], s[16:17], 3
	s_lshl_b64 s[2:3], s[18:19], 3
	s_wait_alu 0xfffe
	s_add_nc_u64 s[0:1], s[8:9], s[0:1]
	s_add_nc_u64 s[2:3], s[8:9], s[2:3]
	s_clause 0x1
	s_load_b64 s[0:1], s[0:1], 0x0
	s_load_b64 s[2:3], s[2:3], 0x0
	s_wait_kmcnt 0x0
	v_add_co_u32 v13, vcc_lo, s0, v16
	s_wait_alu 0xfffd
	v_add_co_ci_u32_e64 v14, null, s1, v17, vcc_lo
	s_sub_nc_u64 s[2:3], s[2:3], s[6:7]
	s_wait_alu 0xfffe
	v_cmp_gt_i64_e32 vcc_lo, s[2:3], v[13:14]
	s_and_b32 exec_lo, exec_lo, vcc_lo
	s_cbranch_execz .LBB105_43
; %bb.32:
	v_mul_f64_e32 v[15:16], 0x80000000, v[3:4]
	v_mul_f64_e32 v[17:18], 0, v[1:2]
	s_add_nc_u64 s[4:5], s[18:19], -1
	s_add_nc_u64 s[0:1], s[18:19], -2
	s_wait_alu 0xfffe
	v_cmp_lt_i64_e64 s7, s[16:17], s[4:5]
	s_cmp_lg_u64 s[16:17], s[0:1]
	s_cselect_b32 s0, -1, 0
	s_wait_alu 0xfffe
	s_and_b32 s1, s7, s0
	s_mov_b32 s7, 0
	s_branch .LBB105_34
.LBB105_33:                             ;   in Loop: Header=BB105_34 Depth=1
	s_wait_alu 0xfffe
	s_or_b32 exec_lo, exec_lo, s0
	v_add_co_u32 v13, vcc_lo, 0x100, v13
	s_wait_alu 0xfffd
	v_add_co_ci_u32_e64 v14, null, 0, v14, vcc_lo
	s_delay_alu instid0(VALU_DEP_1)
	v_cmp_le_i64_e32 vcc_lo, s[2:3], v[13:14]
	s_or_b32 s7, vcc_lo, s7
	s_wait_alu 0xfffe
	s_and_not1_b32 exec_lo, exec_lo, s7
	s_cbranch_execz .LBB105_43
.LBB105_34:                             ; =>This Loop Header: Depth=1
                                        ;     Child Loop BB105_36 Depth 2
                                        ;     Child Loop BB105_40 Depth 2
	;; [unrolled: 1-line block ×3, first 2 shown]
	v_dual_mov_b32 v5, s16 :: v_dual_mov_b32 v6, s17
	v_dual_mov_b32 v8, s5 :: v_dual_mov_b32 v7, s4
	s_wait_alu 0xfffe
	s_and_not1_b32 vcc_lo, exec_lo, s1
	s_wait_alu 0xfffe
	s_cbranch_vccnz .LBB105_38
; %bb.35:                               ;   in Loop: Header=BB105_34 Depth=1
	v_dual_mov_b32 v5, s16 :: v_dual_mov_b32 v6, s17
	v_dual_mov_b32 v8, s5 :: v_dual_mov_b32 v7, s4
	s_mov_b32 s18, 0
.LBB105_36:                             ;   Parent Loop BB105_34 Depth=1
                                        ; =>  This Inner Loop Header: Depth=2
	s_delay_alu instid0(VALU_DEP_1) | instskip(SKIP_1) | instid1(VALU_DEP_2)
	v_add_co_u32 v0, vcc_lo, v7, v5
	s_wait_alu 0xfffd
	v_add_co_ci_u32_e64 v10, null, v8, v6, vcc_lo
	s_delay_alu instid0(VALU_DEP_1) | instskip(NEXT) | instid1(VALU_DEP_1)
	v_lshrrev_b32_e32 v9, 31, v10
	v_add_co_u32 v9, vcc_lo, v0, v9
	s_wait_alu 0xfffd
	v_add_co_ci_u32_e64 v10, null, 0, v10, vcc_lo
	s_delay_alu instid0(VALU_DEP_1) | instskip(NEXT) | instid1(VALU_DEP_1)
	v_ashrrev_i64 v[9:10], 1, v[9:10]
	v_lshlrev_b64_e32 v[11:12], 3, v[9:10]
	s_delay_alu instid0(VALU_DEP_1) | instskip(SKIP_1) | instid1(VALU_DEP_2)
	v_add_co_u32 v11, vcc_lo, s8, v11
	s_wait_alu 0xfffd
	v_add_co_ci_u32_e64 v12, null, s9, v12, vcc_lo
	global_load_b64 v[11:12], v[11:12], off
	s_wait_loadcnt 0x0
	v_sub_co_u32 v11, vcc_lo, v11, s6
	s_wait_alu 0xfffd
	v_subrev_co_ci_u32_e64 v12, null, 0, v12, vcc_lo
	s_delay_alu instid0(VALU_DEP_1) | instskip(SKIP_3) | instid1(VALU_DEP_2)
	v_cmp_lt_i64_e32 vcc_lo, v[13:14], v[11:12]
	s_wait_alu 0xfffd
	v_dual_cndmask_b32 v8, v8, v10 :: v_dual_cndmask_b32 v7, v7, v9
	v_dual_cndmask_b32 v6, v10, v6 :: v_dual_cndmask_b32 v5, v9, v5
	v_add_co_u32 v9, vcc_lo, v7, -1
	s_wait_alu 0xfffd
	s_delay_alu instid0(VALU_DEP_3) | instskip(NEXT) | instid1(VALU_DEP_3)
	v_add_co_ci_u32_e64 v10, null, -1, v8, vcc_lo
	v_cmp_ge_i64_e32 vcc_lo, v[5:6], v[7:8]
	s_delay_alu instid0(VALU_DEP_2)
	v_cmp_eq_u64_e64 s0, v[5:6], v[9:10]
	s_or_b32 s0, vcc_lo, s0
	s_wait_alu 0xfffe
	s_and_b32 s0, exec_lo, s0
	s_wait_alu 0xfffe
	s_or_b32 s18, s0, s18
	s_wait_alu 0xfffe
	s_and_not1_b32 exec_lo, exec_lo, s18
	s_cbranch_execnz .LBB105_36
; %bb.37:                               ;   in Loop: Header=BB105_34 Depth=1
	s_or_b32 exec_lo, exec_lo, s18
.LBB105_38:                             ;   in Loop: Header=BB105_34 Depth=1
	v_lshlrev_b64_e32 v[9:10], 3, v[7:8]
	v_lshlrev_b64_e32 v[11:12], 2, v[13:14]
	s_mov_b32 s0, exec_lo
	s_delay_alu instid0(VALU_DEP_2) | instskip(SKIP_1) | instid1(VALU_DEP_3)
	v_add_co_u32 v9, vcc_lo, s8, v9
	s_wait_alu 0xfffd
	v_add_co_ci_u32_e64 v10, null, s9, v10, vcc_lo
	s_delay_alu instid0(VALU_DEP_3)
	v_add_co_u32 v11, vcc_lo, s10, v11
	s_wait_alu 0xfffd
	v_add_co_ci_u32_e64 v12, null, s11, v12, vcc_lo
	global_load_b64 v[9:10], v[9:10], off
	global_load_b32 v0, v[11:12], off
	s_wait_loadcnt 0x1
	v_sub_co_u32 v9, vcc_lo, v9, s6
	s_wait_alu 0xfffd
	v_subrev_co_ci_u32_e64 v10, null, 0, v10, vcc_lo
	s_delay_alu instid0(VALU_DEP_1) | instskip(SKIP_2) | instid1(VALU_DEP_1)
	v_cmp_lt_i64_e32 vcc_lo, v[13:14], v[9:10]
	s_wait_loadcnt 0x0
	v_subrev_nc_u32_e32 v9, s6, v0
	v_ashrrev_i32_e32 v10, 31, v9
	s_wait_alu 0xfffd
	v_dual_cndmask_b32 v6, v8, v6 :: v_dual_cndmask_b32 v5, v7, v5
	s_delay_alu instid0(VALU_DEP_1)
	v_cmpx_ne_u64_e64 v[5:6], v[9:10]
	s_cbranch_execz .LBB105_33
; %bb.39:                               ;   in Loop: Header=BB105_34 Depth=1
	v_lshlrev_b64_e32 v[7:8], 3, v[13:14]
	v_lshlrev_b64_e32 v[5:6], 4, v[5:6]
	v_lshlrev_b64_e32 v[9:10], 4, v[9:10]
	s_mov_b32 s18, 0
	s_delay_alu instid0(VALU_DEP_3)
	v_add_co_u32 v7, vcc_lo, s12, v7
	s_wait_alu 0xfffd
	v_add_co_ci_u32_e64 v8, null, s13, v8, vcc_lo
	v_add_co_u32 v5, vcc_lo, s14, v5
	s_wait_alu 0xfffd
	v_add_co_ci_u32_e64 v6, null, s15, v6, vcc_lo
	global_load_b64 v[23:24], v[7:8], off
	v_add_co_u32 v19, vcc_lo, s20, v9
	global_load_b128 v[5:8], v[5:6], off
	s_wait_alu 0xfffd
	v_add_co_ci_u32_e64 v20, null, s21, v10, vcc_lo
	global_load_b64 v[11:12], v[19:20], off
	s_wait_loadcnt 0x2
	v_fma_f64 v[21:22], v[3:4], v[23:24], v[17:18]
	v_fma_f64 v[23:24], v[1:2], v[23:24], v[15:16]
	s_wait_loadcnt 0x1
	s_delay_alu instid0(VALU_DEP_2) | instskip(NEXT) | instid1(VALU_DEP_1)
	v_mul_f64_e64 v[9:10], v[7:8], -v[21:22]
	v_fma_f64 v[25:26], v[23:24], v[5:6], v[9:10]
.LBB105_40:                             ;   Parent Loop BB105_34 Depth=1
                                        ; =>  This Inner Loop Header: Depth=2
	s_wait_loadcnt 0x0
	s_delay_alu instid0(VALU_DEP_1)
	v_add_f64_e32 v[9:10], v[11:12], v[25:26]
	global_atomic_cmpswap_b64 v[9:10], v[19:20], v[9:12], off th:TH_ATOMIC_RETURN scope:SCOPE_DEV
	s_wait_loadcnt 0x0
	v_cmp_eq_u64_e32 vcc_lo, v[9:10], v[11:12]
	v_dual_mov_b32 v12, v10 :: v_dual_mov_b32 v11, v9
	s_wait_alu 0xfffe
	s_or_b32 s18, vcc_lo, s18
	s_wait_alu 0xfffe
	s_and_not1_b32 exec_lo, exec_lo, s18
	s_cbranch_execnz .LBB105_40
; %bb.41:                               ;   in Loop: Header=BB105_34 Depth=1
	s_or_b32 exec_lo, exec_lo, s18
	global_load_b64 v[9:10], v[19:20], off offset:8
	v_mul_f64_e32 v[7:8], v[23:24], v[7:8]
	s_mov_b32 s18, 0
	s_delay_alu instid0(VALU_DEP_1)
	v_fma_f64 v[5:6], v[21:22], v[5:6], v[7:8]
.LBB105_42:                             ;   Parent Loop BB105_34 Depth=1
                                        ; =>  This Inner Loop Header: Depth=2
	s_wait_loadcnt 0x0
	s_delay_alu instid0(VALU_DEP_1)
	v_add_f64_e32 v[7:8], v[9:10], v[5:6]
	global_atomic_cmpswap_b64 v[7:8], v[19:20], v[7:10], off offset:8 th:TH_ATOMIC_RETURN scope:SCOPE_DEV
	s_wait_loadcnt 0x0
	v_cmp_eq_u64_e32 vcc_lo, v[7:8], v[9:10]
	v_dual_mov_b32 v10, v8 :: v_dual_mov_b32 v9, v7
	s_wait_alu 0xfffe
	s_or_b32 s18, vcc_lo, s18
	s_wait_alu 0xfffe
	s_and_not1_b32 exec_lo, exec_lo, s18
	s_cbranch_execnz .LBB105_42
	s_branch .LBB105_33
.LBB105_43:
	s_endpgm
	.section	.rodata,"a",@progbits
	.p2align	6, 0x0
	.amdhsa_kernel _ZL33csrmvn_symm_large_adaptive_kernelIlid21rocsparse_complex_numIdES1_S1_EvbT_PKS2_N9rocsparse24const_host_device_scalarIT4_EES4_PKT0_PKT1_PKT2_S8_PT3_21rocsparse_index_base_b
		.amdhsa_group_segment_fixed_size 16384
		.amdhsa_private_segment_fixed_size 0
		.amdhsa_kernarg_size 104
		.amdhsa_user_sgpr_count 2
		.amdhsa_user_sgpr_dispatch_ptr 0
		.amdhsa_user_sgpr_queue_ptr 0
		.amdhsa_user_sgpr_kernarg_segment_ptr 1
		.amdhsa_user_sgpr_dispatch_id 0
		.amdhsa_user_sgpr_private_segment_size 0
		.amdhsa_wavefront_size32 1
		.amdhsa_uses_dynamic_stack 0
		.amdhsa_enable_private_segment 0
		.amdhsa_system_sgpr_workgroup_id_x 1
		.amdhsa_system_sgpr_workgroup_id_y 0
		.amdhsa_system_sgpr_workgroup_id_z 0
		.amdhsa_system_sgpr_workgroup_info 0
		.amdhsa_system_vgpr_workitem_id 0
		.amdhsa_next_free_vgpr 27
		.amdhsa_next_free_sgpr 29
		.amdhsa_reserve_vcc 1
		.amdhsa_float_round_mode_32 0
		.amdhsa_float_round_mode_16_64 0
		.amdhsa_float_denorm_mode_32 3
		.amdhsa_float_denorm_mode_16_64 3
		.amdhsa_fp16_overflow 0
		.amdhsa_workgroup_processor_mode 1
		.amdhsa_memory_ordered 1
		.amdhsa_forward_progress 1
		.amdhsa_inst_pref_size 23
		.amdhsa_round_robin_scheduling 0
		.amdhsa_exception_fp_ieee_invalid_op 0
		.amdhsa_exception_fp_denorm_src 0
		.amdhsa_exception_fp_ieee_div_zero 0
		.amdhsa_exception_fp_ieee_overflow 0
		.amdhsa_exception_fp_ieee_underflow 0
		.amdhsa_exception_fp_ieee_inexact 0
		.amdhsa_exception_int_div_zero 0
	.end_amdhsa_kernel
	.section	.text._ZL33csrmvn_symm_large_adaptive_kernelIlid21rocsparse_complex_numIdES1_S1_EvbT_PKS2_N9rocsparse24const_host_device_scalarIT4_EES4_PKT0_PKT1_PKT2_S8_PT3_21rocsparse_index_base_b,"axG",@progbits,_ZL33csrmvn_symm_large_adaptive_kernelIlid21rocsparse_complex_numIdES1_S1_EvbT_PKS2_N9rocsparse24const_host_device_scalarIT4_EES4_PKT0_PKT1_PKT2_S8_PT3_21rocsparse_index_base_b,comdat
.Lfunc_end105:
	.size	_ZL33csrmvn_symm_large_adaptive_kernelIlid21rocsparse_complex_numIdES1_S1_EvbT_PKS2_N9rocsparse24const_host_device_scalarIT4_EES4_PKT0_PKT1_PKT2_S8_PT3_21rocsparse_index_base_b, .Lfunc_end105-_ZL33csrmvn_symm_large_adaptive_kernelIlid21rocsparse_complex_numIdES1_S1_EvbT_PKS2_N9rocsparse24const_host_device_scalarIT4_EES4_PKT0_PKT1_PKT2_S8_PT3_21rocsparse_index_base_b
                                        ; -- End function
	.set _ZL33csrmvn_symm_large_adaptive_kernelIlid21rocsparse_complex_numIdES1_S1_EvbT_PKS2_N9rocsparse24const_host_device_scalarIT4_EES4_PKT0_PKT1_PKT2_S8_PT3_21rocsparse_index_base_b.num_vgpr, 27
	.set _ZL33csrmvn_symm_large_adaptive_kernelIlid21rocsparse_complex_numIdES1_S1_EvbT_PKS2_N9rocsparse24const_host_device_scalarIT4_EES4_PKT0_PKT1_PKT2_S8_PT3_21rocsparse_index_base_b.num_agpr, 0
	.set _ZL33csrmvn_symm_large_adaptive_kernelIlid21rocsparse_complex_numIdES1_S1_EvbT_PKS2_N9rocsparse24const_host_device_scalarIT4_EES4_PKT0_PKT1_PKT2_S8_PT3_21rocsparse_index_base_b.numbered_sgpr, 29
	.set _ZL33csrmvn_symm_large_adaptive_kernelIlid21rocsparse_complex_numIdES1_S1_EvbT_PKS2_N9rocsparse24const_host_device_scalarIT4_EES4_PKT0_PKT1_PKT2_S8_PT3_21rocsparse_index_base_b.num_named_barrier, 0
	.set _ZL33csrmvn_symm_large_adaptive_kernelIlid21rocsparse_complex_numIdES1_S1_EvbT_PKS2_N9rocsparse24const_host_device_scalarIT4_EES4_PKT0_PKT1_PKT2_S8_PT3_21rocsparse_index_base_b.private_seg_size, 0
	.set _ZL33csrmvn_symm_large_adaptive_kernelIlid21rocsparse_complex_numIdES1_S1_EvbT_PKS2_N9rocsparse24const_host_device_scalarIT4_EES4_PKT0_PKT1_PKT2_S8_PT3_21rocsparse_index_base_b.uses_vcc, 1
	.set _ZL33csrmvn_symm_large_adaptive_kernelIlid21rocsparse_complex_numIdES1_S1_EvbT_PKS2_N9rocsparse24const_host_device_scalarIT4_EES4_PKT0_PKT1_PKT2_S8_PT3_21rocsparse_index_base_b.uses_flat_scratch, 0
	.set _ZL33csrmvn_symm_large_adaptive_kernelIlid21rocsparse_complex_numIdES1_S1_EvbT_PKS2_N9rocsparse24const_host_device_scalarIT4_EES4_PKT0_PKT1_PKT2_S8_PT3_21rocsparse_index_base_b.has_dyn_sized_stack, 0
	.set _ZL33csrmvn_symm_large_adaptive_kernelIlid21rocsparse_complex_numIdES1_S1_EvbT_PKS2_N9rocsparse24const_host_device_scalarIT4_EES4_PKT0_PKT1_PKT2_S8_PT3_21rocsparse_index_base_b.has_recursion, 0
	.set _ZL33csrmvn_symm_large_adaptive_kernelIlid21rocsparse_complex_numIdES1_S1_EvbT_PKS2_N9rocsparse24const_host_device_scalarIT4_EES4_PKT0_PKT1_PKT2_S8_PT3_21rocsparse_index_base_b.has_indirect_call, 0
	.section	.AMDGPU.csdata,"",@progbits
; Kernel info:
; codeLenInByte = 2920
; TotalNumSgprs: 31
; NumVgprs: 27
; ScratchSize: 0
; MemoryBound: 0
; FloatMode: 240
; IeeeMode: 1
; LDSByteSize: 16384 bytes/workgroup (compile time only)
; SGPRBlocks: 0
; VGPRBlocks: 3
; NumSGPRsForWavesPerEU: 31
; NumVGPRsForWavesPerEU: 27
; Occupancy: 16
; WaveLimiterHint : 1
; COMPUTE_PGM_RSRC2:SCRATCH_EN: 0
; COMPUTE_PGM_RSRC2:USER_SGPR: 2
; COMPUTE_PGM_RSRC2:TRAP_HANDLER: 0
; COMPUTE_PGM_RSRC2:TGID_X_EN: 1
; COMPUTE_PGM_RSRC2:TGID_Y_EN: 0
; COMPUTE_PGM_RSRC2:TGID_Z_EN: 0
; COMPUTE_PGM_RSRC2:TIDIG_COMP_CNT: 0
	.section	.text._ZN9rocsparseL22csrmvn_adaptive_kernelIlld21rocsparse_complex_numIdES2_S2_EEvbT_PKS3_PjPKT0_NS_24const_host_device_scalarIT4_EES5_S9_PKT1_PKT2_SC_PT3_21rocsparse_index_base_b,"axG",@progbits,_ZN9rocsparseL22csrmvn_adaptive_kernelIlld21rocsparse_complex_numIdES2_S2_EEvbT_PKS3_PjPKT0_NS_24const_host_device_scalarIT4_EES5_S9_PKT1_PKT2_SC_PT3_21rocsparse_index_base_b,comdat
	.globl	_ZN9rocsparseL22csrmvn_adaptive_kernelIlld21rocsparse_complex_numIdES2_S2_EEvbT_PKS3_PjPKT0_NS_24const_host_device_scalarIT4_EES5_S9_PKT1_PKT2_SC_PT3_21rocsparse_index_base_b ; -- Begin function _ZN9rocsparseL22csrmvn_adaptive_kernelIlld21rocsparse_complex_numIdES2_S2_EEvbT_PKS3_PjPKT0_NS_24const_host_device_scalarIT4_EES5_S9_PKT1_PKT2_SC_PT3_21rocsparse_index_base_b
	.p2align	8
	.type	_ZN9rocsparseL22csrmvn_adaptive_kernelIlld21rocsparse_complex_numIdES2_S2_EEvbT_PKS3_PjPKT0_NS_24const_host_device_scalarIT4_EES5_S9_PKT1_PKT2_SC_PT3_21rocsparse_index_base_b,@function
_ZN9rocsparseL22csrmvn_adaptive_kernelIlld21rocsparse_complex_numIdES2_S2_EEvbT_PKS3_PjPKT0_NS_24const_host_device_scalarIT4_EES5_S9_PKT1_PKT2_SC_PT3_21rocsparse_index_base_b: ; @_ZN9rocsparseL22csrmvn_adaptive_kernelIlld21rocsparse_complex_numIdES2_S2_EEvbT_PKS3_PjPKT0_NS_24const_host_device_scalarIT4_EES5_S9_PKT1_PKT2_SC_PT3_21rocsparse_index_base_b
; %bb.0:
	s_clause 0x1
	s_load_b64 s[34:35], s[0:1], 0x70
	s_load_b64 s[2:3], s[0:1], 0x28
	s_add_nc_u64 s[4:5], s[0:1], 40
	s_load_b64 s[6:7], s[0:1], 0x58
	s_wait_kmcnt 0x0
	s_bitcmp1_b32 s35, 0
	s_cselect_b32 s2, s4, s2
	s_cselect_b32 s3, s5, s3
	s_delay_alu instid0(SALU_CYCLE_1)
	v_dual_mov_b32 v1, s2 :: v_dual_mov_b32 v2, s3
	s_add_nc_u64 s[2:3], s[0:1], 0x58
	s_wait_alu 0xfffe
	s_cselect_b32 s2, s2, s6
	s_cselect_b32 s3, s3, s7
	flat_load_b128 v[5:8], v[1:2]
	s_wait_alu 0xfffe
	v_dual_mov_b32 v1, s2 :: v_dual_mov_b32 v2, s3
	flat_load_b128 v[1:4], v[1:2]
	s_wait_loadcnt_dscnt 0x101
	v_cmp_eq_f64_e32 vcc_lo, 0, v[5:6]
	v_cmp_eq_f64_e64 s2, 0, v[7:8]
	s_and_b32 s4, vcc_lo, s2
	s_mov_b32 s2, -1
	s_and_saveexec_b32 s3, s4
	s_cbranch_execz .LBB106_2
; %bb.1:
	s_wait_loadcnt_dscnt 0x0
	v_cmp_neq_f64_e32 vcc_lo, 1.0, v[1:2]
	v_cmp_neq_f64_e64 s2, 0, v[3:4]
	s_wait_alu 0xfffe
	s_or_b32 s2, vcc_lo, s2
	s_wait_alu 0xfffe
	s_or_not1_b32 s2, s2, exec_lo
.LBB106_2:
	s_wait_alu 0xfffe
	s_or_b32 exec_lo, exec_lo, s3
	s_and_saveexec_b32 s3, s2
	s_cbranch_execz .LBB106_116
; %bb.3:
	s_clause 0x1
	s_load_b64 s[2:3], s[0:1], 0x10
	s_load_b64 s[6:7], s[0:1], 0x20
	s_mov_b32 s36, ttmp9
	s_ashr_i32 s37, ttmp9, 31
	s_delay_alu instid0(SALU_CYCLE_1)
	s_lshl_b64 s[4:5], s[36:37], 3
	s_wait_kmcnt 0x0
	s_add_nc_u64 s[2:3], s[2:3], s[4:5]
	s_add_nc_u64 s[4:5], s[6:7], s[4:5]
	s_load_b128 s[20:23], s[2:3], 0x0
	s_clause 0x1
	s_load_b256 s[12:19], s[0:1], 0x38
	s_load_b64 s[24:25], s[0:1], 0x68
	s_wait_kmcnt 0x0
	s_lshl_b64 s[2:3], s[20:21], 3
	s_wait_alu 0xfffe
	s_add_nc_u64 s[30:31], s[12:13], s[2:3]
	s_load_b64 s[26:27], s[4:5], 0x0
	s_load_b64 s[28:29], s[30:31], 0x0
	s_sub_nc_u64 s[2:3], s[22:23], s[20:21]
	s_wait_alu 0xfffe
	v_cmp_lt_i64_e64 s4, s[2:3], 2
	s_and_b32 vcc_lo, exec_lo, s4
	s_mov_b32 s4, -1
	s_cbranch_vccz .LBB106_72
; %bb.4:
	s_cmp_lg_u64 s[2:3], 1
	v_cmp_gt_u32_e64 s2, 0x80, v0
	s_cselect_b32 s4, -1, 0
	s_wait_kmcnt 0x0
	s_cmp_lg_u64 s[26:27], 0
	v_cmp_gt_u32_e64 s3, 64, v0
	s_cselect_b32 s5, -1, 0
	v_cmp_gt_u32_e64 s6, 8, v0
	s_or_b32 s5, s4, s5
	v_cmp_gt_u32_e64 s4, 32, v0
	s_and_b32 vcc_lo, exec_lo, s5
	v_cmp_gt_u32_e64 s5, 16, v0
	v_cmp_gt_u32_e64 s7, 4, v0
	;; [unrolled: 1-line block ×3, first 2 shown]
	v_cmp_eq_u32_e64 s9, 0, v0
	s_mov_b32 s10, -1
	s_cbranch_vccnz .LBB106_32
; %bb.5:
	s_wait_loadcnt_dscnt 0x0
	v_cmp_neq_f64_e32 vcc_lo, 0, v[1:2]
	v_cmp_neq_f64_e64 s10, 0, v[3:4]
	v_mul_f64_e32 v[13:14], 0x80000000, v[7:8]
	v_mul_f64_e32 v[15:16], 0, v[5:6]
	v_sub_co_u32 v24, s11, v0, s34
	v_dual_mov_b32 v23, 0 :: v_dual_lshlrev_b32 v26, 4, v0
	v_sub_co_ci_u32_e64 v25, null, 0, 0, s11
	s_mov_b32 s35, 0
	s_mov_b64 s[38:39], s[20:21]
	s_or_b32 s11, vcc_lo, s10
	s_branch .LBB106_8
.LBB106_6:                              ;   in Loop: Header=BB106_8 Depth=1
	s_or_b32 exec_lo, exec_lo, s33
	s_lshl_b64 s[40:41], s[38:39], 4
	s_wait_alu 0xfffe
	s_add_nc_u64 s[40:41], s[24:25], s[40:41]
	s_wait_dscnt 0x0
	global_store_b128 v23, v[9:12], s[40:41]
.LBB106_7:                              ;   in Loop: Header=BB106_8 Depth=1
	s_wait_alu 0xfffe
	s_or_b32 exec_lo, exec_lo, s10
	s_add_nc_u64 s[38:39], s[38:39], 1
	s_wait_alu 0xfffe
	v_cmp_ge_i64_e64 s10, s[38:39], s[22:23]
	s_and_b32 vcc_lo, exec_lo, s10
	s_wait_alu 0xfffe
	s_cbranch_vccnz .LBB106_31
.LBB106_8:                              ; =>This Loop Header: Depth=1
                                        ;     Child Loop BB106_10 Depth 2
	s_lshl_b64 s[40:41], s[38:39], 3
	v_mov_b32_e32 v11, 0
	s_wait_alu 0xfffe
	s_add_nc_u64 s[40:41], s[12:13], s[40:41]
	v_dual_mov_b32 v12, 0 :: v_dual_mov_b32 v9, 0
	s_load_b128 s[40:43], s[40:41], 0x0
	v_mov_b32_e32 v10, 0
	s_mov_b32 s33, exec_lo
	s_wait_kmcnt 0x0
	v_add_co_u32 v17, vcc_lo, s40, v24
	s_wait_alu 0xfffd
	v_add_co_ci_u32_e64 v18, null, s41, v25, vcc_lo
	s_sub_nc_u64 s[40:41], s[42:43], s[34:35]
	s_wait_alu 0xfffe
	v_cmpx_gt_i64_e64 s[40:41], v[17:18]
	s_cbranch_execz .LBB106_12
; %bb.9:                                ;   in Loop: Header=BB106_8 Depth=1
	v_lshlrev_b64_e32 v[9:10], 3, v[17:18]
	v_mov_b32_e32 v11, 0
	v_mov_b32_e32 v12, 0
	s_mov_b32 s42, 0
	s_delay_alu instid0(VALU_DEP_3)
	v_add_co_u32 v19, vcc_lo, s16, v9
	s_wait_alu 0xfffd
	v_add_co_ci_u32_e64 v20, null, s17, v10, vcc_lo
	v_add_co_u32 v21, vcc_lo, s14, v9
	s_wait_alu 0xfffd
	v_add_co_ci_u32_e64 v22, null, s15, v10, vcc_lo
	v_dual_mov_b32 v9, v11 :: v_dual_mov_b32 v10, v12
.LBB106_10:                             ;   Parent Loop BB106_8 Depth=1
                                        ; =>  This Inner Loop Header: Depth=2
	global_load_b64 v[27:28], v[21:22], off
	global_load_b64 v[31:32], v[19:20], off
	v_add_co_u32 v21, s10, 0x800, v21
	s_wait_alu 0xf1ff
	v_add_co_ci_u32_e64 v22, null, 0, v22, s10
	s_wait_loadcnt 0x1
	v_sub_co_u32 v27, vcc_lo, v27, s34
	s_wait_alu 0xfffd
	v_subrev_co_ci_u32_e64 v28, null, 0, v28, vcc_lo
	s_wait_loadcnt 0x0
	v_fma_f64 v[33:34], v[5:6], v[31:32], v[13:14]
	v_fma_f64 v[31:32], v[7:8], v[31:32], v[15:16]
	s_delay_alu instid0(VALU_DEP_3) | instskip(NEXT) | instid1(VALU_DEP_1)
	v_lshlrev_b64_e32 v[27:28], 4, v[27:28]
	v_add_co_u32 v27, vcc_lo, s18, v27
	s_wait_alu 0xfffd
	s_delay_alu instid0(VALU_DEP_2)
	v_add_co_ci_u32_e64 v28, null, s19, v28, vcc_lo
	v_add_co_u32 v17, vcc_lo, 0x100, v17
	s_wait_alu 0xfffd
	v_add_co_ci_u32_e64 v18, null, 0, v18, vcc_lo
	global_load_b128 v[27:30], v[27:28], off
	v_add_co_u32 v19, vcc_lo, 0x800, v19
	s_wait_alu 0xfffd
	v_add_co_ci_u32_e64 v20, null, 0, v20, vcc_lo
	v_cmp_le_i64_e32 vcc_lo, s[40:41], v[17:18]
	s_or_b32 s42, vcc_lo, s42
	s_wait_loadcnt 0x0
	v_fma_f64 v[9:10], v[33:34], v[27:28], v[9:10]
	v_fma_f64 v[11:12], v[31:32], v[27:28], v[11:12]
	s_delay_alu instid0(VALU_DEP_2) | instskip(NEXT) | instid1(VALU_DEP_2)
	v_fma_f64 v[9:10], -v[31:32], v[29:30], v[9:10]
	v_fma_f64 v[11:12], v[33:34], v[29:30], v[11:12]
	s_and_not1_b32 exec_lo, exec_lo, s42
	s_cbranch_execnz .LBB106_10
; %bb.11:                               ;   in Loop: Header=BB106_8 Depth=1
	s_or_b32 exec_lo, exec_lo, s42
.LBB106_12:                             ;   in Loop: Header=BB106_8 Depth=1
	s_delay_alu instid0(SALU_CYCLE_1)
	s_or_b32 exec_lo, exec_lo, s33
	ds_store_b128 v26, v[9:12]
	s_wait_dscnt 0x0
	s_barrier_signal -1
	s_barrier_wait -1
	global_inv scope:SCOPE_SE
	s_and_saveexec_b32 s10, s2
	s_cbranch_execz .LBB106_14
; %bb.13:                               ;   in Loop: Header=BB106_8 Depth=1
	ds_load_b128 v[9:12], v26 offset:2048
	ds_load_b128 v[17:20], v26
	s_wait_dscnt 0x0
	v_add_f64_e32 v[9:10], v[9:10], v[17:18]
	v_add_f64_e32 v[11:12], v[11:12], v[19:20]
	ds_store_b128 v26, v[9:12]
.LBB106_14:                             ;   in Loop: Header=BB106_8 Depth=1
	s_wait_alu 0xfffe
	s_or_b32 exec_lo, exec_lo, s10
	s_wait_loadcnt_dscnt 0x0
	s_barrier_signal -1
	s_barrier_wait -1
	global_inv scope:SCOPE_SE
	s_and_saveexec_b32 s10, s3
	s_cbranch_execz .LBB106_16
; %bb.15:                               ;   in Loop: Header=BB106_8 Depth=1
	ds_load_b128 v[9:12], v26 offset:1024
	ds_load_b128 v[17:20], v26
	s_wait_dscnt 0x0
	v_add_f64_e32 v[9:10], v[9:10], v[17:18]
	v_add_f64_e32 v[11:12], v[11:12], v[19:20]
	ds_store_b128 v26, v[9:12]
.LBB106_16:                             ;   in Loop: Header=BB106_8 Depth=1
	s_wait_alu 0xfffe
	s_or_b32 exec_lo, exec_lo, s10
	s_wait_loadcnt_dscnt 0x0
	;; [unrolled: 16-line block ×6, first 2 shown]
	s_barrier_signal -1
	s_barrier_wait -1
	global_inv scope:SCOPE_SE
	s_and_saveexec_b32 s10, s8
	s_cbranch_execz .LBB106_26
; %bb.25:                               ;   in Loop: Header=BB106_8 Depth=1
	ds_load_b128 v[9:12], v26
	ds_load_b128 v[17:20], v26 offset:32
	s_wait_dscnt 0x0
	v_add_f64_e32 v[9:10], v[17:18], v[9:10]
	v_add_f64_e32 v[11:12], v[19:20], v[11:12]
	ds_store_b128 v26, v[9:12]
.LBB106_26:                             ;   in Loop: Header=BB106_8 Depth=1
	s_wait_alu 0xfffe
	s_or_b32 exec_lo, exec_lo, s10
	s_wait_loadcnt_dscnt 0x0
	s_barrier_signal -1
	s_barrier_wait -1
	global_inv scope:SCOPE_SE
	s_and_saveexec_b32 s10, s9
	s_cbranch_execz .LBB106_28
; %bb.27:                               ;   in Loop: Header=BB106_8 Depth=1
	ds_load_b128 v[9:12], v23
	ds_load_b128 v[17:20], v23 offset:16
	s_wait_dscnt 0x0
	v_add_f64_e32 v[9:10], v[17:18], v[9:10]
	v_add_f64_e32 v[11:12], v[19:20], v[11:12]
	ds_store_b128 v23, v[9:12]
.LBB106_28:                             ;   in Loop: Header=BB106_8 Depth=1
	s_wait_alu 0xfffe
	s_or_b32 exec_lo, exec_lo, s10
	s_wait_loadcnt_dscnt 0x0
	s_barrier_signal -1
	s_barrier_wait -1
	global_inv scope:SCOPE_SE
	s_and_saveexec_b32 s10, s9
	s_cbranch_execz .LBB106_7
; %bb.29:                               ;   in Loop: Header=BB106_8 Depth=1
	ds_load_b128 v[9:12], v23
	s_and_saveexec_b32 s33, s11
	s_cbranch_execz .LBB106_6
; %bb.30:                               ;   in Loop: Header=BB106_8 Depth=1
	s_lshl_b64 s[40:41], s[38:39], 4
	s_wait_alu 0xfffe
	s_add_nc_u64 s[40:41], s[24:25], s[40:41]
	global_load_b128 v[17:20], v23, s[40:41]
	s_wait_loadcnt_dscnt 0x0
	v_fma_f64 v[9:10], v[1:2], v[17:18], v[9:10]
	v_fma_f64 v[11:12], v[3:4], v[17:18], v[11:12]
	s_delay_alu instid0(VALU_DEP_2) | instskip(NEXT) | instid1(VALU_DEP_2)
	v_fma_f64 v[9:10], -v[3:4], v[19:20], v[9:10]
	v_fma_f64 v[11:12], v[1:2], v[19:20], v[11:12]
	s_branch .LBB106_6
.LBB106_31:
	s_mov_b32 s10, 0
.LBB106_32:
	s_wait_alu 0xfffe
	s_and_b32 vcc_lo, exec_lo, s10
	s_wait_alu 0xfffe
	s_cbranch_vccz .LBB106_71
; %bb.33:
	s_load_b64 s[6:7], s[0:1], 0x18
	v_mov_b32_e32 v13, 0
	s_lshl_b64 s[2:3], s[36:37], 2
	v_mov_b32_e32 v9, 0
	v_mov_b32_e32 v10, 0
	s_cmp_lg_u64 s[26:27], 0
	v_cmp_eq_u32_e32 vcc_lo, 0, v0
	s_cselect_b32 s33, -1, 0
	s_cmp_eq_u64 s[26:27], 0
	v_mov_b32_e32 v11, 0
	v_mov_b32_e32 v12, 0
	s_sub_nc_u64 s[8:9], s[36:37], s[26:27]
	s_mov_b32 s35, 0
	s_wait_kmcnt 0x0
	s_wait_alu 0xfffe
	s_add_nc_u64 s[4:5], s[6:7], s[2:3]
	s_cselect_b32 s2, -1, 0
	global_load_b32 v23, v13, s[4:5]
	s_wait_alu 0xfffe
	s_and_b32 s2, vcc_lo, s2
	s_wait_alu 0xfffe
	s_and_saveexec_b32 s3, s2
	s_cbranch_execz .LBB106_37
; %bb.34:
	s_lshl_b64 s[36:37], s[20:21], 4
	s_wait_loadcnt_dscnt 0x100
	v_add_f64_e32 v[9:10], -1.0, v[1:2]
	s_add_nc_u64 s[36:37], s[24:25], s[36:37]
	s_mov_b32 s10, exec_lo
	global_load_b128 v[11:14], v13, s[36:37]
	s_wait_alu 0xfffe
	v_mbcnt_lo_u32_b32 v17, s10, 0
	s_mov_b32 s11, exec_lo
	s_wait_loadcnt 0x0
	s_wait_storecnt 0x0
	global_inv scope:SCOPE_DEV
	v_mul_f64_e64 v[15:16], v[13:14], -v[3:4]
	v_mul_f64_e32 v[13:14], v[9:10], v[13:14]
	v_cmpx_eq_u32_e32 0, v17
	s_cbranch_execz .LBB106_36
; %bb.35:
	s_bcnt1_i32_b32 s2, s10
	s_lshl_b64 s[36:37], s[8:9], 2
	s_wait_alu 0xfffe
	s_and_b32 s2, s2, 1
	s_wait_alu 0xfffe
	v_dual_mov_b32 v17, 0 :: v_dual_mov_b32 v18, s2
	s_add_nc_u64 s[36:37], s[6:7], s[36:37]
	global_atomic_xor_b32 v17, v18, s[36:37] scope:SCOPE_DEV
.LBB106_36:
	s_wait_alu 0xfffe
	s_or_b32 exec_lo, exec_lo, s11
	s_delay_alu instid0(VALU_DEP_3) | instskip(NEXT) | instid1(VALU_DEP_3)
	v_fma_f64 v[9:10], v[9:10], v[11:12], v[15:16]
	v_fma_f64 v[11:12], v[3:4], v[11:12], v[13:14]
.LBB106_37:
	s_wait_alu 0xfffe
	s_or_b32 exec_lo, exec_lo, s3
	s_load_b64 s[2:3], s[30:31], 0x8
	s_mul_u64 s[10:11], s[26:27], 0xc00
	s_sub_nc_u64 s[36:37], s[28:29], s[34:35]
	s_wait_alu 0xfffe
	s_add_nc_u64 s[36:37], s[36:37], s[10:11]
	s_delay_alu instid0(SALU_CYCLE_1)
	v_add_co_u32 v13, s10, s36, v0
	s_wait_alu 0xf1ff
	v_add_co_ci_u32_e64 v14, null, s37, 0, s10
	s_wait_kmcnt 0x0
	s_sub_nc_u64 s[10:11], s[2:3], s[34:35]
	s_mov_b32 s35, exec_lo
	s_wait_alu 0xfffe
	v_cmpx_gt_i64_e64 s[10:11], v[13:14]
	s_cbranch_execz .LBB106_41
; %bb.38:
	v_mul_f64_e32 v[15:16], 0x80000000, v[7:8]
	v_mul_f64_e32 v[17:18], 0, v[5:6]
	s_add_nc_u64 s[36:37], s[36:37], 0xc00
	v_lshlrev_b64_e32 v[21:22], 3, v[13:14]
	s_wait_alu 0xfffe
	v_cmp_lt_i64_e64 s2, s[36:37], s[10:11]
	s_and_b32 s2, s2, exec_lo
	v_add_co_u32 v19, s2, s16, v21
	s_wait_alu 0xf1fe
	v_add_co_ci_u32_e64 v20, null, s17, v22, s2
	v_add_co_u32 v21, s2, s14, v21
	s_wait_alu 0xf1ff
	v_add_co_ci_u32_e64 v22, null, s15, v22, s2
	s_cselect_b32 s11, s37, s11
	s_cselect_b32 s10, s36, s10
	s_mov_b32 s36, 0
.LBB106_39:                             ; =>This Inner Loop Header: Depth=1
	global_load_b64 v[24:25], v[21:22], off
	global_load_b64 v[28:29], v[19:20], off
	v_add_co_u32 v21, s3, 0x800, v21
	s_wait_alu 0xf1ff
	v_add_co_ci_u32_e64 v22, null, 0, v22, s3
	s_wait_loadcnt 0x1
	v_sub_co_u32 v24, s2, v24, s34
	s_wait_alu 0xf1ff
	v_subrev_co_ci_u32_e64 v25, null, 0, v25, s2
	s_wait_loadcnt 0x0
	v_fma_f64 v[30:31], v[5:6], v[28:29], v[15:16]
	v_fma_f64 v[28:29], v[7:8], v[28:29], v[17:18]
	s_delay_alu instid0(VALU_DEP_3) | instskip(NEXT) | instid1(VALU_DEP_1)
	v_lshlrev_b64_e32 v[24:25], 4, v[24:25]
	v_add_co_u32 v24, s2, s18, v24
	s_wait_alu 0xf1ff
	s_delay_alu instid0(VALU_DEP_2)
	v_add_co_ci_u32_e64 v25, null, s19, v25, s2
	v_add_co_u32 v13, s2, 0x100, v13
	s_wait_alu 0xf1ff
	v_add_co_ci_u32_e64 v14, null, 0, v14, s2
	global_load_b128 v[24:27], v[24:25], off
	v_add_co_u32 v19, s2, 0x800, v19
	s_wait_alu 0xf1ff
	v_add_co_ci_u32_e64 v20, null, 0, v20, s2
	s_wait_alu 0xfffe
	v_cmp_le_i64_e64 s2, s[10:11], v[13:14]
	s_or_b32 s36, s2, s36
	s_wait_loadcnt 0x0
	v_fma_f64 v[9:10], v[30:31], v[24:25], v[9:10]
	v_fma_f64 v[11:12], v[28:29], v[24:25], v[11:12]
	s_delay_alu instid0(VALU_DEP_2) | instskip(NEXT) | instid1(VALU_DEP_2)
	v_fma_f64 v[9:10], -v[28:29], v[26:27], v[9:10]
	v_fma_f64 v[11:12], v[30:31], v[26:27], v[11:12]
	s_wait_alu 0xfffe
	s_and_not1_b32 exec_lo, exec_lo, s36
	s_cbranch_execnz .LBB106_39
; %bb.40:
	s_or_b32 exec_lo, exec_lo, s36
.LBB106_41:
	s_delay_alu instid0(SALU_CYCLE_1)
	s_or_b32 exec_lo, exec_lo, s35
	v_lshlrev_b32_e32 v13, 4, v0
	s_mov_b32 s3, exec_lo
	ds_store_b128 v13, v[9:12]
	s_wait_storecnt 0x0
	s_wait_loadcnt_dscnt 0x0
	s_barrier_signal -1
	s_barrier_wait -1
	global_inv scope:SCOPE_SE
	v_cmpx_gt_u32_e32 0x80, v0
	s_cbranch_execz .LBB106_43
; %bb.42:
	ds_load_b128 v[9:12], v13 offset:2048
	ds_load_b128 v[14:17], v13
	s_wait_dscnt 0x0
	v_add_f64_e32 v[9:10], v[9:10], v[14:15]
	v_add_f64_e32 v[11:12], v[11:12], v[16:17]
	ds_store_b128 v13, v[9:12]
.LBB106_43:
	s_wait_alu 0xfffe
	s_or_b32 exec_lo, exec_lo, s3
	s_delay_alu instid0(SALU_CYCLE_1)
	s_mov_b32 s3, exec_lo
	s_wait_loadcnt_dscnt 0x0
	s_barrier_signal -1
	s_barrier_wait -1
	global_inv scope:SCOPE_SE
	v_cmpx_gt_u32_e32 64, v0
	s_cbranch_execz .LBB106_45
; %bb.44:
	ds_load_b128 v[9:12], v13 offset:1024
	ds_load_b128 v[14:17], v13
	s_wait_dscnt 0x0
	v_add_f64_e32 v[9:10], v[9:10], v[14:15]
	v_add_f64_e32 v[11:12], v[11:12], v[16:17]
	ds_store_b128 v13, v[9:12]
.LBB106_45:
	s_wait_alu 0xfffe
	s_or_b32 exec_lo, exec_lo, s3
	s_delay_alu instid0(SALU_CYCLE_1)
	s_mov_b32 s3, exec_lo
	;; [unrolled: 18-line block ×6, first 2 shown]
	s_wait_loadcnt_dscnt 0x0
	s_barrier_signal -1
	s_barrier_wait -1
	global_inv scope:SCOPE_SE
	v_cmpx_gt_u32_e32 2, v0
	s_cbranch_execz .LBB106_55
; %bb.54:
	ds_load_b128 v[9:12], v13
	ds_load_b128 v[14:17], v13 offset:32
	s_wait_dscnt 0x0
	v_add_f64_e32 v[9:10], v[14:15], v[9:10]
	v_add_f64_e32 v[11:12], v[16:17], v[11:12]
	ds_store_b128 v13, v[9:12]
.LBB106_55:
	s_wait_alu 0xfffe
	s_or_b32 exec_lo, exec_lo, s3
	s_wait_loadcnt_dscnt 0x0
	s_barrier_signal -1
	s_barrier_wait -1
	global_inv scope:SCOPE_SE
	s_and_saveexec_b32 s2, vcc_lo
	s_cbranch_execz .LBB106_57
; %bb.56:
	v_mov_b32_e32 v17, 0
	ds_load_b128 v[9:12], v17
	ds_load_b128 v[13:16], v17 offset:16
	s_wait_dscnt 0x0
	v_add_f64_e32 v[9:10], v[13:14], v[9:10]
	v_add_f64_e32 v[11:12], v[15:16], v[11:12]
	ds_store_b128 v17, v[9:12]
.LBB106_57:
	s_wait_alu 0xfffe
	s_or_b32 exec_lo, exec_lo, s2
	s_wait_loadcnt_dscnt 0x0
	s_barrier_signal -1
	s_barrier_wait -1
	global_inv scope:SCOPE_SE
	s_and_saveexec_b32 s10, vcc_lo
	s_cbranch_execz .LBB106_70
; %bb.58:
	s_and_not1_b32 vcc_lo, exec_lo, s33
	s_wait_alu 0xfffe
	s_cbranch_vccnz .LBB106_64
; %bb.59:
	v_mov_b32_e32 v9, 0
	s_lshl_b64 s[2:3], s[8:9], 2
	s_wait_alu 0xfffe
	s_add_nc_u64 s[2:3], s[6:7], s[2:3]
	s_branch .LBB106_61
.LBB106_60:                             ;   in Loop: Header=BB106_61 Depth=1
	s_wait_alu 0xfffe
	s_or_b32 exec_lo, exec_lo, s6
	s_wait_loadcnt 0x0
	v_readfirstlane_b32 s6, v10
	s_wait_alu 0xf1ff
	s_delay_alu instid0(VALU_DEP_1)
	v_cmp_eq_u32_e32 vcc_lo, s6, v23
	s_cbranch_vccz .LBB106_63
.LBB106_61:                             ; =>This Inner Loop Header: Depth=1
	v_mbcnt_lo_u32_b32 v10, exec_lo, 0
	s_delay_alu instid0(VALU_DEP_1)
	v_cmp_eq_u32_e32 vcc_lo, 0, v10
                                        ; implicit-def: $vgpr10
	s_and_saveexec_b32 s6, vcc_lo
	s_cbranch_execz .LBB106_60
; %bb.62:                               ;   in Loop: Header=BB106_61 Depth=1
	global_load_b32 v10, v9, s[2:3] scope:SCOPE_DEV
	s_branch .LBB106_60
.LBB106_63:
	v_mov_b32_e32 v9, 0
	global_load_u16 v10, v9, s[4:5]
	s_wait_loadcnt 0x0
	v_xor_b32_e32 v10, 1, v10
	global_store_b16 v9, v10, s[4:5]
.LBB106_64:
	v_mov_b32_e32 v17, 0
	s_mov_b32 s6, exec_lo
	s_lshl_b64 s[2:3], s[20:21], 4
	s_wait_alu 0xfffe
	v_mbcnt_lo_u32_b32 v13, s6, 0
	s_add_nc_u64 s[2:3], s[24:25], s[2:3]
	ds_load_b128 v[9:12], v17
	s_mov_b32 s5, 0
	s_mov_b32 s4, exec_lo
	v_cmpx_eq_u32_e32 0, v13
	s_cbranch_execz .LBB106_67
; %bb.65:
	global_load_b64 v[15:16], v17, s[2:3]
	s_bcnt1_i32_b32 s6, s6
	s_wait_alu 0xfffe
	v_cvt_f64_u32_e32 v[13:14], s6
	s_wait_dscnt 0x0
	s_delay_alu instid0(VALU_DEP_1)
	v_mul_f64_e32 v[9:10], v[9:10], v[13:14]
.LBB106_66:                             ; =>This Inner Loop Header: Depth=1
	s_wait_loadcnt 0x0
	s_delay_alu instid0(VALU_DEP_1)
	v_add_f64_e32 v[13:14], v[15:16], v[9:10]
	global_atomic_cmpswap_b64 v[13:14], v17, v[13:16], s[2:3] th:TH_ATOMIC_RETURN scope:SCOPE_DEV
	s_wait_loadcnt 0x0
	v_cmp_eq_u64_e32 vcc_lo, v[13:14], v[15:16]
	v_dual_mov_b32 v16, v14 :: v_dual_mov_b32 v15, v13
	s_or_b32 s5, vcc_lo, s5
	s_delay_alu instid0(SALU_CYCLE_1)
	s_and_not1_b32 exec_lo, exec_lo, s5
	s_cbranch_execnz .LBB106_66
.LBB106_67:
	s_or_b32 exec_lo, exec_lo, s4
	s_delay_alu instid0(SALU_CYCLE_1) | instskip(SKIP_3) | instid1(VALU_DEP_1)
	s_mov_b32 s5, exec_lo
	s_mov_b32 s4, 0
	s_wait_dscnt 0x0
	v_mbcnt_lo_u32_b32 v9, s5, 0
	v_cmp_eq_u32_e32 vcc_lo, 0, v9
	s_and_b32 s6, exec_lo, vcc_lo
	s_wait_alu 0xfffe
	s_mov_b32 exec_lo, s6
	s_cbranch_execz .LBB106_70
; %bb.68:
	v_mov_b32_e32 v15, 0
	s_bcnt1_i32_b32 s5, s5
	s_wait_alu 0xfffe
	v_cvt_f64_u32_e32 v[9:10], s5
	global_load_b64 v[13:14], v15, s[2:3] offset:8
	v_mul_f64_e32 v[9:10], v[11:12], v[9:10]
.LBB106_69:                             ; =>This Inner Loop Header: Depth=1
	s_wait_loadcnt 0x0
	s_delay_alu instid0(VALU_DEP_1)
	v_add_f64_e32 v[11:12], v[13:14], v[9:10]
	global_atomic_cmpswap_b64 v[11:12], v15, v[11:14], s[2:3] offset:8 th:TH_ATOMIC_RETURN scope:SCOPE_DEV
	s_wait_loadcnt 0x0
	v_cmp_eq_u64_e32 vcc_lo, v[11:12], v[13:14]
	v_dual_mov_b32 v14, v12 :: v_dual_mov_b32 v13, v11
	s_or_b32 s4, vcc_lo, s4
	s_wait_alu 0xfffe
	s_and_not1_b32 exec_lo, exec_lo, s4
	s_cbranch_execnz .LBB106_69
.LBB106_70:
	s_wait_alu 0xfffe
	s_or_b32 exec_lo, exec_lo, s10
.LBB106_71:
	s_mov_b32 s4, 0
.LBB106_72:
	s_wait_alu 0xfffe
	s_and_not1_b32 vcc_lo, exec_lo, s4
	s_wait_alu 0xfffe
	s_cbranch_vccnz .LBB106_116
; %bb.73:
	s_load_b64 s[0:1], s[0:1], 0x8
	v_sub_co_u32 v9, s2, v0, s34
	s_wait_alu 0xf1ff
	v_sub_co_ci_u32_e64 v10, null, 0, 0, s2
	s_mov_b32 s35, 0
	s_wait_kmcnt 0x0
	v_add_co_u32 v9, vcc_lo, s28, v9
	s_wait_alu 0xfffd
	v_add_co_ci_u32_e64 v10, null, s29, v10, vcc_lo
	s_delay_alu instid0(VALU_DEP_2) | instskip(SKIP_1) | instid1(VALU_DEP_2)
	v_add_co_u32 v11, vcc_lo, 0x300, v9
	s_wait_alu 0xfffd
	v_add_co_ci_u32_e64 v12, null, 0, v10, vcc_lo
	s_delay_alu instid0(VALU_DEP_1)
	v_cmp_le_i64_e32 vcc_lo, s[0:1], v[11:12]
	s_and_saveexec_b32 s0, vcc_lo
	s_wait_alu 0xfffe
	s_xor_b32 s1, exec_lo, s0
	s_cbranch_execz .LBB106_78
; %bb.74:
	s_lshl_b64 s[2:3], s[22:23], 3
	s_mov_b32 s4, exec_lo
	s_wait_alu 0xfffe
	s_add_nc_u64 s[2:3], s[12:13], s[2:3]
	s_load_b64 s[2:3], s[2:3], 0x0
	s_wait_kmcnt 0x0
	s_sub_nc_u64 s[2:3], s[2:3], s[34:35]
	s_wait_alu 0xfffe
	v_cmpx_gt_i64_e64 s[2:3], v[9:10]
	s_cbranch_execz .LBB106_77
; %bb.75:
	v_mul_f64_e32 v[11:12], 0x80000000, v[7:8]
	v_mul_f64_e32 v[13:14], 0, v[5:6]
	v_lshlrev_b64_e32 v[17:18], 3, v[9:10]
	v_lshlrev_b32_e32 v19, 4, v0
	s_mov_b32 s5, 0
	s_delay_alu instid0(VALU_DEP_2) | instskip(SKIP_1) | instid1(VALU_DEP_3)
	v_add_co_u32 v15, vcc_lo, s16, v17
	s_wait_alu 0xfffd
	v_add_co_ci_u32_e64 v16, null, s17, v18, vcc_lo
	v_add_co_u32 v17, vcc_lo, s14, v17
	s_wait_alu 0xfffd
	v_add_co_ci_u32_e64 v18, null, s15, v18, vcc_lo
.LBB106_76:                             ; =>This Inner Loop Header: Depth=1
	global_load_b64 v[20:21], v[17:18], off
	global_load_b64 v[24:25], v[15:16], off
	s_wait_loadcnt 0x1
	v_sub_co_u32 v20, vcc_lo, v20, s34
	s_wait_alu 0xfffd
	v_subrev_co_ci_u32_e64 v21, null, 0, v21, vcc_lo
	s_wait_loadcnt 0x0
	v_fma_f64 v[26:27], v[7:8], v[24:25], v[13:14]
	v_fma_f64 v[24:25], v[5:6], v[24:25], v[11:12]
	s_delay_alu instid0(VALU_DEP_3) | instskip(NEXT) | instid1(VALU_DEP_1)
	v_lshlrev_b64_e32 v[20:21], 4, v[20:21]
	v_add_co_u32 v20, vcc_lo, s18, v20
	s_wait_alu 0xfffd
	s_delay_alu instid0(VALU_DEP_2)
	v_add_co_ci_u32_e64 v21, null, s19, v21, vcc_lo
	v_add_co_u32 v9, vcc_lo, 0x100, v9
	s_wait_alu 0xfffd
	v_add_co_ci_u32_e64 v10, null, 0, v10, vcc_lo
	global_load_b128 v[20:23], v[20:21], off
	v_add_co_u32 v15, vcc_lo, 0x800, v15
	v_cmp_le_i64_e64 s0, s[2:3], v[9:10]
	s_wait_alu 0xfffd
	v_add_co_ci_u32_e64 v16, null, 0, v16, vcc_lo
	v_add_co_u32 v17, vcc_lo, 0x800, v17
	s_wait_alu 0xfffd
	v_add_co_ci_u32_e64 v18, null, 0, v18, vcc_lo
	s_wait_alu 0xfffe
	s_or_b32 s5, s0, s5
	s_wait_loadcnt 0x0
	v_mul_f64_e64 v[28:29], v[22:23], -v[26:27]
	v_mul_f64_e32 v[30:31], v[24:25], v[22:23]
	s_delay_alu instid0(VALU_DEP_2) | instskip(NEXT) | instid1(VALU_DEP_2)
	v_fma_f64 v[22:23], v[24:25], v[20:21], v[28:29]
	v_fma_f64 v[24:25], v[26:27], v[20:21], v[30:31]
	ds_store_b128 v19, v[22:25]
	v_add_nc_u32_e32 v19, 0x1000, v19
	s_wait_alu 0xfffe
	s_and_not1_b32 exec_lo, exec_lo, s5
	s_cbranch_execnz .LBB106_76
.LBB106_77:
	s_or_b32 exec_lo, exec_lo, s4
                                        ; implicit-def: $vgpr7_vgpr8
                                        ; implicit-def: $vgpr9_vgpr10
.LBB106_78:
	s_wait_alu 0xfffe
	s_or_saveexec_b32 s0, s1
	v_lshlrev_b32_e32 v17, 4, v0
	s_wait_alu 0xfffe
	s_xor_b32 exec_lo, exec_lo, s0
	s_cbranch_execz .LBB106_80
; %bb.79:
	v_lshlrev_b64_e32 v[9:10], 3, v[9:10]
	v_mul_f64_e32 v[34:35], 0, v[5:6]
	v_mul_f64_e32 v[36:37], 0x80000000, v[7:8]
	s_delay_alu instid0(VALU_DEP_3) | instskip(SKIP_1) | instid1(VALU_DEP_4)
	v_add_co_u32 v11, vcc_lo, s14, v9
	s_wait_alu 0xfffd
	v_add_co_ci_u32_e64 v12, null, s15, v10, vcc_lo
	v_add_co_u32 v9, vcc_lo, s16, v9
	s_wait_alu 0xfffd
	v_add_co_ci_u32_e64 v10, null, s17, v10, vcc_lo
	s_clause 0x3
	global_load_b64 v[13:14], v[11:12], off
	global_load_b64 v[15:16], v[11:12], off offset:2048
	global_load_b64 v[18:19], v[11:12], off offset:4096
	;; [unrolled: 1-line block ×3, first 2 shown]
	s_clause 0x3
	global_load_b64 v[26:27], v[9:10], off
	global_load_b64 v[28:29], v[9:10], off offset:2048
	global_load_b64 v[30:31], v[9:10], off offset:4096
	;; [unrolled: 1-line block ×3, first 2 shown]
	s_wait_loadcnt 0x7
	v_sub_co_u32 v9, vcc_lo, v13, s34
	s_wait_alu 0xfffd
	v_subrev_co_ci_u32_e64 v10, null, 0, v14, vcc_lo
	s_wait_loadcnt 0x6
	v_sub_co_u32 v13, vcc_lo, v15, s34
	s_wait_alu 0xfffd
	v_subrev_co_ci_u32_e64 v14, null, 0, v16, vcc_lo
	;; [unrolled: 4-line block ×3, first 2 shown]
	s_wait_loadcnt 0x4
	v_sub_co_u32 v11, vcc_lo, v11, s34
	v_lshlrev_b64_e32 v[9:10], 4, v[9:10]
	s_wait_alu 0xfffd
	v_subrev_co_ci_u32_e64 v12, null, 0, v12, vcc_lo
	v_lshlrev_b64_e32 v[13:14], 4, v[13:14]
	v_lshlrev_b64_e32 v[15:16], 4, v[15:16]
	s_wait_loadcnt 0x3
	v_fma_f64 v[38:39], v[7:8], v[26:27], v[34:35]
	v_lshlrev_b64_e32 v[18:19], 4, v[11:12]
	v_add_co_u32 v9, vcc_lo, s18, v9
	s_wait_alu 0xfffd
	v_add_co_ci_u32_e64 v10, null, s19, v10, vcc_lo
	v_add_co_u32 v13, vcc_lo, s18, v13
	s_wait_alu 0xfffd
	v_add_co_ci_u32_e64 v14, null, s19, v14, vcc_lo
	;; [unrolled: 3-line block ×3, first 2 shown]
	v_add_co_u32 v22, vcc_lo, s18, v18
	global_load_b128 v[9:12], v[9:10], off
	s_wait_alu 0xfffd
	v_add_co_ci_u32_e64 v23, null, s19, v19, vcc_lo
	s_clause 0x2
	global_load_b128 v[13:16], v[13:14], off
	global_load_b128 v[18:21], v[20:21], off
	;; [unrolled: 1-line block ×3, first 2 shown]
	v_fma_f64 v[26:27], v[5:6], v[26:27], v[36:37]
	s_wait_loadcnt 0x6
	v_fma_f64 v[40:41], v[7:8], v[28:29], v[34:35]
	v_fma_f64 v[28:29], v[5:6], v[28:29], v[36:37]
	s_wait_loadcnt 0x5
	v_fma_f64 v[42:43], v[7:8], v[30:31], v[34:35]
	;; [unrolled: 3-line block ×3, first 2 shown]
	v_fma_f64 v[32:33], v[5:6], v[32:33], v[36:37]
	s_wait_loadcnt 0x3
	v_mul_f64_e64 v[5:6], v[11:12], -v[38:39]
	v_mul_f64_e32 v[7:8], v[26:27], v[11:12]
	s_wait_loadcnt 0x2
	v_mul_f64_e64 v[11:12], v[15:16], -v[40:41]
	v_mul_f64_e32 v[15:16], v[28:29], v[15:16]
	;; [unrolled: 3-line block ×4, first 2 shown]
	v_fma_f64 v[5:6], v[26:27], v[9:10], v[5:6]
	v_fma_f64 v[7:8], v[38:39], v[9:10], v[7:8]
	;; [unrolled: 1-line block ×8, first 2 shown]
	ds_store_b128 v17, v[5:8]
	ds_store_b128 v17, v[9:12] offset:4096
	ds_store_b128 v17, v[13:16] offset:8192
	;; [unrolled: 1-line block ×3, first 2 shown]
.LBB106_80:
	s_or_b32 exec_lo, exec_lo, s0
	v_cmp_lt_i64_e64 s0, s[26:27], 2
	s_wait_storecnt 0x0
	s_wait_loadcnt_dscnt 0x0
	s_barrier_signal -1
	s_barrier_wait -1
	global_inv scope:SCOPE_SE
	s_and_b32 vcc_lo, exec_lo, s0
	s_mov_b32 s0, -1
	s_wait_alu 0xfffe
	s_cbranch_vccz .LBB106_91
; %bb.81:
	v_add_co_u32 v13, s0, s20, v0
	s_wait_alu 0xf1ff
	v_add_co_ci_u32_e64 v14, null, s21, 0, s0
	s_mov_b32 s1, exec_lo
	v_cmpx_gt_i64_e64 s[22:23], v[13:14]
	s_cbranch_execz .LBB106_90
; %bb.82:
	v_cmp_neq_f64_e32 vcc_lo, 0, v[1:2]
	v_cmp_neq_f64_e64 s0, 0, v[3:4]
	s_lshl_b32 s4, s28, 4
	s_mov_b32 s2, 0
	s_wait_alu 0xfffe
	s_sub_co_i32 s4, 0, s4
	s_or_b32 s3, vcc_lo, s0
	s_branch .LBB106_84
.LBB106_83:                             ;   in Loop: Header=BB106_84 Depth=1
	s_wait_alu 0xfffe
	s_or_b32 exec_lo, exec_lo, s0
	v_add_co_u32 v13, vcc_lo, 0x100, v13
	s_wait_alu 0xfffd
	v_add_co_ci_u32_e64 v14, null, 0, v14, vcc_lo
	v_add_co_u32 v9, s0, s24, v9
	s_wait_alu 0xf1ff
	v_add_co_ci_u32_e64 v10, null, s25, v10, s0
	s_delay_alu instid0(VALU_DEP_3)
	v_cmp_le_i64_e32 vcc_lo, s[22:23], v[13:14]
	global_store_b128 v[9:10], v[5:8], off
	s_or_b32 s2, vcc_lo, s2
	s_wait_alu 0xfffe
	s_and_not1_b32 exec_lo, exec_lo, s2
	s_cbranch_execz .LBB106_90
.LBB106_84:                             ; =>This Loop Header: Depth=1
                                        ;     Child Loop BB106_86 Depth 2
	v_lshlrev_b64_e32 v[5:6], 3, v[13:14]
	v_mov_b32_e32 v7, 0
	v_mov_b32_e32 v8, 0
	s_mov_b32 s0, exec_lo
	s_delay_alu instid0(VALU_DEP_3)
	v_add_co_u32 v5, vcc_lo, s12, v5
	s_wait_alu 0xfffd
	v_add_co_ci_u32_e64 v6, null, s13, v6, vcc_lo
	global_load_b128 v[9:12], v[5:6], off
	v_mov_b32_e32 v5, 0
	v_mov_b32_e32 v6, 0
	s_wait_loadcnt 0x0
	v_cmpx_lt_i64_e64 v[9:10], v[11:12]
	s_cbranch_execz .LBB106_88
; %bb.85:                               ;   in Loop: Header=BB106_84 Depth=1
	v_mov_b32_e32 v7, 0
	v_mov_b32_e32 v8, 0
	v_sub_co_u32 v11, vcc_lo, v11, s28
	s_wait_alu 0xfffd
	v_subrev_co_ci_u32_e64 v12, null, s29, v12, vcc_lo
	v_sub_co_u32 v15, vcc_lo, v9, s28
	s_wait_alu 0xfffd
	v_subrev_co_ci_u32_e64 v16, null, s29, v10, vcc_lo
	s_wait_alu 0xfffe
	v_lshl_add_u32 v9, v9, 4, s4
	v_dual_mov_b32 v5, v7 :: v_dual_mov_b32 v6, v8
	s_mov_b32 s5, 0
.LBB106_86:                             ;   Parent Loop BB106_84 Depth=1
                                        ; =>  This Inner Loop Header: Depth=2
	ds_load_b128 v[18:21], v9
	v_add_co_u32 v15, vcc_lo, v15, 1
	s_wait_alu 0xfffd
	v_add_co_ci_u32_e64 v16, null, 0, v16, vcc_lo
	v_add_nc_u32_e32 v9, 16, v9
	s_delay_alu instid0(VALU_DEP_2)
	v_cmp_ge_i64_e32 vcc_lo, v[15:16], v[11:12]
	s_wait_alu 0xfffe
	s_or_b32 s5, vcc_lo, s5
	s_wait_dscnt 0x0
	v_add_f64_e32 v[5:6], v[5:6], v[18:19]
	v_add_f64_e32 v[7:8], v[7:8], v[20:21]
	s_wait_alu 0xfffe
	s_and_not1_b32 exec_lo, exec_lo, s5
	s_cbranch_execnz .LBB106_86
; %bb.87:                               ;   in Loop: Header=BB106_84 Depth=1
	s_or_b32 exec_lo, exec_lo, s5
.LBB106_88:                             ;   in Loop: Header=BB106_84 Depth=1
	s_wait_alu 0xfffe
	s_or_b32 exec_lo, exec_lo, s0
	v_lshlrev_b64_e32 v[9:10], 4, v[13:14]
	s_and_saveexec_b32 s0, s3
	s_cbranch_execz .LBB106_83
; %bb.89:                               ;   in Loop: Header=BB106_84 Depth=1
	s_delay_alu instid0(VALU_DEP_1) | instskip(SKIP_1) | instid1(VALU_DEP_2)
	v_add_co_u32 v11, vcc_lo, s24, v9
	s_wait_alu 0xfffd
	v_add_co_ci_u32_e64 v12, null, s25, v10, vcc_lo
	global_load_b128 v[18:21], v[11:12], off
	s_wait_loadcnt 0x0
	v_fma_f64 v[5:6], v[1:2], v[18:19], v[5:6]
	v_fma_f64 v[7:8], v[3:4], v[18:19], v[7:8]
	s_delay_alu instid0(VALU_DEP_2) | instskip(NEXT) | instid1(VALU_DEP_2)
	v_fma_f64 v[5:6], -v[3:4], v[20:21], v[5:6]
	v_fma_f64 v[7:8], v[1:2], v[20:21], v[7:8]
	s_branch .LBB106_83
.LBB106_90:
	s_wait_alu 0xfffe
	s_or_b32 exec_lo, exec_lo, s1
	s_mov_b32 s0, 0
.LBB106_91:
	s_wait_alu 0xfffe
	s_and_not1_b32 vcc_lo, exec_lo, s0
	s_wait_alu 0xfffe
	s_cbranch_vccnz .LBB106_116
; %bb.92:
	s_clz_i32_u32 s0, s26
	v_dual_mov_b32 v5, 0 :: v_dual_mov_b32 v12, 0
	s_wait_alu 0xfffe
	s_min_u32 s0, s0, 32
	s_mov_b32 s1, exec_lo
	s_wait_alu 0xfffe
	s_sub_co_i32 s0, 31, s0
	s_wait_alu 0xfffe
	v_lshrrev_b32_e32 v13, s0, v0
	s_delay_alu instid0(VALU_DEP_1)
	v_add_co_u32 v9, s0, s20, v13
	s_wait_alu 0xf1ff
	v_add_co_ci_u32_e64 v10, null, s21, 0, s0
	s_add_co_i32 s0, s26, -1
	s_wait_alu 0xfffe
	v_dual_mov_b32 v6, 0 :: v_dual_and_b32 v11, s0, v0
	v_cmp_le_i64_e64 s0, s[22:23], v[9:10]
	s_delay_alu instid0(VALU_DEP_2)
	v_dual_mov_b32 v8, v6 :: v_dual_mov_b32 v7, v5
	v_cmpx_gt_i64_e64 s[22:23], v[9:10]
	s_cbranch_execz .LBB106_98
; %bb.93:
	v_lshlrev_b32_e32 v0, 3, v13
	global_load_b128 v[5:8], v0, s[30:31]
	v_sub_co_u32 v0, s2, v11, s28
	s_wait_alu 0xf1ff
	v_sub_co_ci_u32_e64 v16, null, 0, s29, s2
	s_mov_b32 s2, exec_lo
	s_wait_loadcnt 0x0
	v_sub_co_u32 v13, vcc_lo, v7, s28
	s_wait_alu 0xfffd
	v_subrev_co_ci_u32_e64 v14, null, s29, v8, vcc_lo
	v_add_co_u32 v15, vcc_lo, v5, v0
	v_mov_b32_e32 v7, 0
	s_wait_alu 0xfffd
	v_add_co_ci_u32_e64 v16, null, v6, v16, vcc_lo
	v_dual_mov_b32 v8, 0 :: v_dual_mov_b32 v5, 0
	v_mov_b32_e32 v6, 0
	s_delay_alu instid0(VALU_DEP_3)
	v_cmpx_lt_i64_e64 v[15:16], v[13:14]
	s_cbranch_execz .LBB106_97
; %bb.94:
	v_dual_mov_b32 v7, 0 :: v_dual_lshlrev_b32 v0, 4, v15
	v_mov_b32_e32 v8, 0
	s_delay_alu instid0(VALU_DEP_2) | instskip(SKIP_2) | instid1(VALU_DEP_2)
	v_mov_b32_e32 v5, v7
	s_lshl_b32 s4, s26, 4
	s_mov_b32 s3, 0
	v_mov_b32_e32 v6, v8
.LBB106_95:                             ; =>This Inner Loop Header: Depth=1
	ds_load_b128 v[18:21], v0
	v_add_co_u32 v15, vcc_lo, v15, s26
	s_wait_alu 0xfffd
	v_add_co_ci_u32_e64 v16, null, s27, v16, vcc_lo
	s_wait_alu 0xfffe
	v_add_nc_u32_e32 v0, s4, v0
	s_delay_alu instid0(VALU_DEP_2)
	v_cmp_ge_i64_e32 vcc_lo, v[15:16], v[13:14]
	s_or_b32 s3, vcc_lo, s3
	s_wait_dscnt 0x0
	v_add_f64_e32 v[5:6], v[5:6], v[18:19]
	v_add_f64_e32 v[7:8], v[7:8], v[20:21]
	s_wait_alu 0xfffe
	s_and_not1_b32 exec_lo, exec_lo, s3
	s_cbranch_execnz .LBB106_95
; %bb.96:
	s_or_b32 exec_lo, exec_lo, s3
.LBB106_97:
	s_wait_alu 0xfffe
	s_or_b32 exec_lo, exec_lo, s2
.LBB106_98:
	s_delay_alu instid0(SALU_CYCLE_1)
	s_or_b32 exec_lo, exec_lo, s1
	v_cmp_gt_u64_e64 s1, 0x81, s[26:27]
	s_wait_loadcnt 0x0
	s_wait_storecnt 0x0
	s_barrier_signal -1
	s_barrier_wait -1
	global_inv scope:SCOPE_SE
	ds_store_b128 v17, v[5:8]
	s_and_b32 vcc_lo, exec_lo, s1
	s_wait_loadcnt_dscnt 0x0
	s_barrier_signal -1
	s_barrier_wait -1
	global_inv scope:SCOPE_SE
	s_wait_alu 0xfffe
	s_cbranch_vccnz .LBB106_100
; %bb.99:
	ds_load_b128 v[13:16], v17 offset:2048
	s_wait_loadcnt_dscnt 0x0
	s_barrier_signal -1
	s_barrier_wait -1
	global_inv scope:SCOPE_SE
	v_add_f64_e32 v[5:6], v[5:6], v[13:14]
	v_add_f64_e32 v[7:8], v[7:8], v[15:16]
	ds_store_b128 v17, v[5:8]
.LBB106_100:
	v_cmp_gt_u64_e64 s1, 0x41, s[26:27]
	s_wait_loadcnt_dscnt 0x0
	s_barrier_signal -1
	s_barrier_wait -1
	global_inv scope:SCOPE_SE
	s_and_b32 vcc_lo, exec_lo, s1
	s_wait_alu 0xfffe
	s_cbranch_vccnz .LBB106_102
; %bb.101:
	ds_load_b128 v[13:16], v17 offset:1024
	s_wait_loadcnt_dscnt 0x0
	s_barrier_signal -1
	s_barrier_wait -1
	global_inv scope:SCOPE_SE
	v_add_f64_e32 v[5:6], v[5:6], v[13:14]
	v_add_f64_e32 v[7:8], v[7:8], v[15:16]
	ds_store_b128 v17, v[5:8]
.LBB106_102:
	v_cmp_lt_u64_e64 s1, s[26:27], 33
	s_wait_loadcnt_dscnt 0x0
	s_barrier_signal -1
	s_barrier_wait -1
	global_inv scope:SCOPE_SE
	s_and_b32 vcc_lo, exec_lo, s1
	s_wait_alu 0xfffe
	s_cbranch_vccnz .LBB106_104
; %bb.103:
	ds_load_b128 v[13:16], v17 offset:512
	s_wait_loadcnt_dscnt 0x0
	s_barrier_signal -1
	s_barrier_wait -1
	global_inv scope:SCOPE_SE
	v_add_f64_e32 v[5:6], v[5:6], v[13:14]
	v_add_f64_e32 v[7:8], v[7:8], v[15:16]
	ds_store_b128 v17, v[5:8]
.LBB106_104:
	v_cmp_lt_u64_e64 s1, s[26:27], 17
	;; [unrolled: 18-line block ×4, first 2 shown]
	s_wait_loadcnt_dscnt 0x0
	s_barrier_signal -1
	s_barrier_wait -1
	global_inv scope:SCOPE_SE
	s_and_b32 vcc_lo, exec_lo, s1
	s_wait_alu 0xfffe
	s_cbranch_vccnz .LBB106_110
; %bb.109:
	ds_load_b128 v[13:16], v17 offset:64
	s_wait_loadcnt_dscnt 0x0
	s_barrier_signal -1
	s_barrier_wait -1
	global_inv scope:SCOPE_SE
	v_add_f64_e32 v[5:6], v[5:6], v[13:14]
	v_add_f64_e32 v[7:8], v[7:8], v[15:16]
	ds_store_b128 v17, v[5:8]
.LBB106_110:
	s_cmp_eq_u64 s[26:27], 2
	s_wait_loadcnt_dscnt 0x0
	s_barrier_signal -1
	s_barrier_wait -1
	global_inv scope:SCOPE_SE
	s_cbranch_scc1 .LBB106_112
; %bb.111:
	ds_load_b128 v[13:16], v17 offset:32
	s_wait_loadcnt_dscnt 0x0
	s_barrier_signal -1
	s_barrier_wait -1
	global_inv scope:SCOPE_SE
	v_add_f64_e32 v[5:6], v[5:6], v[13:14]
	v_add_f64_e32 v[7:8], v[7:8], v[15:16]
	ds_store_b128 v17, v[5:8]
.LBB106_112:
	s_wait_loadcnt_dscnt 0x0
	s_barrier_signal -1
	s_barrier_wait -1
	global_inv scope:SCOPE_SE
	ds_load_b128 v[13:16], v17 offset:16
	v_cmp_eq_u64_e32 vcc_lo, 0, v[11:12]
	s_xor_b32 s0, s0, -1
	s_wait_loadcnt_dscnt 0x0
	s_barrier_signal -1
	s_barrier_wait -1
	global_inv scope:SCOPE_SE
	s_wait_alu 0xfffe
	s_and_b32 s0, vcc_lo, s0
	v_add_f64_e32 v[5:6], v[5:6], v[13:14]
	v_add_f64_e32 v[7:8], v[7:8], v[15:16]
	ds_store_b128 v17, v[5:8]
	s_wait_alu 0xfffe
	s_and_b32 exec_lo, exec_lo, s0
	s_cbranch_execz .LBB106_116
; %bb.113:
	v_cmp_neq_f64_e32 vcc_lo, 0, v[1:2]
	v_cmp_neq_f64_e64 s0, 0, v[3:4]
	v_lshlrev_b64_e32 v[9:10], 4, v[9:10]
	s_or_b32 s1, vcc_lo, s0
	s_wait_alu 0xfffe
	s_and_saveexec_b32 s0, s1
	s_cbranch_execz .LBB106_115
; %bb.114:
	s_delay_alu instid0(VALU_DEP_1)
	v_add_co_u32 v11, vcc_lo, s24, v9
	s_wait_alu 0xfffd
	v_add_co_ci_u32_e64 v12, null, s25, v10, vcc_lo
	global_load_b128 v[11:14], v[11:12], off
	s_wait_loadcnt 0x0
	v_fma_f64 v[5:6], v[1:2], v[11:12], v[5:6]
	v_fma_f64 v[7:8], v[3:4], v[11:12], v[7:8]
	s_delay_alu instid0(VALU_DEP_2) | instskip(NEXT) | instid1(VALU_DEP_2)
	v_fma_f64 v[5:6], -v[3:4], v[13:14], v[5:6]
	v_fma_f64 v[7:8], v[1:2], v[13:14], v[7:8]
.LBB106_115:
	s_wait_alu 0xfffe
	s_or_b32 exec_lo, exec_lo, s0
	v_add_co_u32 v0, vcc_lo, s24, v9
	s_wait_alu 0xfffd
	v_add_co_ci_u32_e64 v1, null, s25, v10, vcc_lo
	global_store_b128 v[0:1], v[5:8], off
.LBB106_116:
	s_endpgm
	.section	.rodata,"a",@progbits
	.p2align	6, 0x0
	.amdhsa_kernel _ZN9rocsparseL22csrmvn_adaptive_kernelIlld21rocsparse_complex_numIdES2_S2_EEvbT_PKS3_PjPKT0_NS_24const_host_device_scalarIT4_EES5_S9_PKT1_PKT2_SC_PT3_21rocsparse_index_base_b
		.amdhsa_group_segment_fixed_size 16384
		.amdhsa_private_segment_fixed_size 0
		.amdhsa_kernarg_size 120
		.amdhsa_user_sgpr_count 2
		.amdhsa_user_sgpr_dispatch_ptr 0
		.amdhsa_user_sgpr_queue_ptr 0
		.amdhsa_user_sgpr_kernarg_segment_ptr 1
		.amdhsa_user_sgpr_dispatch_id 0
		.amdhsa_user_sgpr_private_segment_size 0
		.amdhsa_wavefront_size32 1
		.amdhsa_uses_dynamic_stack 0
		.amdhsa_enable_private_segment 0
		.amdhsa_system_sgpr_workgroup_id_x 1
		.amdhsa_system_sgpr_workgroup_id_y 0
		.amdhsa_system_sgpr_workgroup_id_z 0
		.amdhsa_system_sgpr_workgroup_info 0
		.amdhsa_system_vgpr_workitem_id 0
		.amdhsa_next_free_vgpr 46
		.amdhsa_next_free_sgpr 44
		.amdhsa_reserve_vcc 1
		.amdhsa_float_round_mode_32 0
		.amdhsa_float_round_mode_16_64 0
		.amdhsa_float_denorm_mode_32 3
		.amdhsa_float_denorm_mode_16_64 3
		.amdhsa_fp16_overflow 0
		.amdhsa_workgroup_processor_mode 1
		.amdhsa_memory_ordered 1
		.amdhsa_forward_progress 1
		.amdhsa_inst_pref_size 52
		.amdhsa_round_robin_scheduling 0
		.amdhsa_exception_fp_ieee_invalid_op 0
		.amdhsa_exception_fp_denorm_src 0
		.amdhsa_exception_fp_ieee_div_zero 0
		.amdhsa_exception_fp_ieee_overflow 0
		.amdhsa_exception_fp_ieee_underflow 0
		.amdhsa_exception_fp_ieee_inexact 0
		.amdhsa_exception_int_div_zero 0
	.end_amdhsa_kernel
	.section	.text._ZN9rocsparseL22csrmvn_adaptive_kernelIlld21rocsparse_complex_numIdES2_S2_EEvbT_PKS3_PjPKT0_NS_24const_host_device_scalarIT4_EES5_S9_PKT1_PKT2_SC_PT3_21rocsparse_index_base_b,"axG",@progbits,_ZN9rocsparseL22csrmvn_adaptive_kernelIlld21rocsparse_complex_numIdES2_S2_EEvbT_PKS3_PjPKT0_NS_24const_host_device_scalarIT4_EES5_S9_PKT1_PKT2_SC_PT3_21rocsparse_index_base_b,comdat
.Lfunc_end106:
	.size	_ZN9rocsparseL22csrmvn_adaptive_kernelIlld21rocsparse_complex_numIdES2_S2_EEvbT_PKS3_PjPKT0_NS_24const_host_device_scalarIT4_EES5_S9_PKT1_PKT2_SC_PT3_21rocsparse_index_base_b, .Lfunc_end106-_ZN9rocsparseL22csrmvn_adaptive_kernelIlld21rocsparse_complex_numIdES2_S2_EEvbT_PKS3_PjPKT0_NS_24const_host_device_scalarIT4_EES5_S9_PKT1_PKT2_SC_PT3_21rocsparse_index_base_b
                                        ; -- End function
	.set _ZN9rocsparseL22csrmvn_adaptive_kernelIlld21rocsparse_complex_numIdES2_S2_EEvbT_PKS3_PjPKT0_NS_24const_host_device_scalarIT4_EES5_S9_PKT1_PKT2_SC_PT3_21rocsparse_index_base_b.num_vgpr, 46
	.set _ZN9rocsparseL22csrmvn_adaptive_kernelIlld21rocsparse_complex_numIdES2_S2_EEvbT_PKS3_PjPKT0_NS_24const_host_device_scalarIT4_EES5_S9_PKT1_PKT2_SC_PT3_21rocsparse_index_base_b.num_agpr, 0
	.set _ZN9rocsparseL22csrmvn_adaptive_kernelIlld21rocsparse_complex_numIdES2_S2_EEvbT_PKS3_PjPKT0_NS_24const_host_device_scalarIT4_EES5_S9_PKT1_PKT2_SC_PT3_21rocsparse_index_base_b.numbered_sgpr, 44
	.set _ZN9rocsparseL22csrmvn_adaptive_kernelIlld21rocsparse_complex_numIdES2_S2_EEvbT_PKS3_PjPKT0_NS_24const_host_device_scalarIT4_EES5_S9_PKT1_PKT2_SC_PT3_21rocsparse_index_base_b.num_named_barrier, 0
	.set _ZN9rocsparseL22csrmvn_adaptive_kernelIlld21rocsparse_complex_numIdES2_S2_EEvbT_PKS3_PjPKT0_NS_24const_host_device_scalarIT4_EES5_S9_PKT1_PKT2_SC_PT3_21rocsparse_index_base_b.private_seg_size, 0
	.set _ZN9rocsparseL22csrmvn_adaptive_kernelIlld21rocsparse_complex_numIdES2_S2_EEvbT_PKS3_PjPKT0_NS_24const_host_device_scalarIT4_EES5_S9_PKT1_PKT2_SC_PT3_21rocsparse_index_base_b.uses_vcc, 1
	.set _ZN9rocsparseL22csrmvn_adaptive_kernelIlld21rocsparse_complex_numIdES2_S2_EEvbT_PKS3_PjPKT0_NS_24const_host_device_scalarIT4_EES5_S9_PKT1_PKT2_SC_PT3_21rocsparse_index_base_b.uses_flat_scratch, 0
	.set _ZN9rocsparseL22csrmvn_adaptive_kernelIlld21rocsparse_complex_numIdES2_S2_EEvbT_PKS3_PjPKT0_NS_24const_host_device_scalarIT4_EES5_S9_PKT1_PKT2_SC_PT3_21rocsparse_index_base_b.has_dyn_sized_stack, 0
	.set _ZN9rocsparseL22csrmvn_adaptive_kernelIlld21rocsparse_complex_numIdES2_S2_EEvbT_PKS3_PjPKT0_NS_24const_host_device_scalarIT4_EES5_S9_PKT1_PKT2_SC_PT3_21rocsparse_index_base_b.has_recursion, 0
	.set _ZN9rocsparseL22csrmvn_adaptive_kernelIlld21rocsparse_complex_numIdES2_S2_EEvbT_PKS3_PjPKT0_NS_24const_host_device_scalarIT4_EES5_S9_PKT1_PKT2_SC_PT3_21rocsparse_index_base_b.has_indirect_call, 0
	.section	.AMDGPU.csdata,"",@progbits
; Kernel info:
; codeLenInByte = 6612
; TotalNumSgprs: 46
; NumVgprs: 46
; ScratchSize: 0
; MemoryBound: 0
; FloatMode: 240
; IeeeMode: 1
; LDSByteSize: 16384 bytes/workgroup (compile time only)
; SGPRBlocks: 0
; VGPRBlocks: 5
; NumSGPRsForWavesPerEU: 46
; NumVGPRsForWavesPerEU: 46
; Occupancy: 16
; WaveLimiterHint : 1
; COMPUTE_PGM_RSRC2:SCRATCH_EN: 0
; COMPUTE_PGM_RSRC2:USER_SGPR: 2
; COMPUTE_PGM_RSRC2:TRAP_HANDLER: 0
; COMPUTE_PGM_RSRC2:TGID_X_EN: 1
; COMPUTE_PGM_RSRC2:TGID_Y_EN: 0
; COMPUTE_PGM_RSRC2:TGID_Z_EN: 0
; COMPUTE_PGM_RSRC2:TIDIG_COMP_CNT: 0
	.section	.text._ZN9rocsparseL27csrmvn_symm_adaptive_kernelIlld21rocsparse_complex_numIdES2_S2_EEvbT_S3_PKS3_NS_24const_host_device_scalarIT4_EES5_PKT0_PKT1_PKT2_S8_PT3_21rocsparse_index_base_b,"axG",@progbits,_ZN9rocsparseL27csrmvn_symm_adaptive_kernelIlld21rocsparse_complex_numIdES2_S2_EEvbT_S3_PKS3_NS_24const_host_device_scalarIT4_EES5_PKT0_PKT1_PKT2_S8_PT3_21rocsparse_index_base_b,comdat
	.globl	_ZN9rocsparseL27csrmvn_symm_adaptive_kernelIlld21rocsparse_complex_numIdES2_S2_EEvbT_S3_PKS3_NS_24const_host_device_scalarIT4_EES5_PKT0_PKT1_PKT2_S8_PT3_21rocsparse_index_base_b ; -- Begin function _ZN9rocsparseL27csrmvn_symm_adaptive_kernelIlld21rocsparse_complex_numIdES2_S2_EEvbT_S3_PKS3_NS_24const_host_device_scalarIT4_EES5_PKT0_PKT1_PKT2_S8_PT3_21rocsparse_index_base_b
	.p2align	8
	.type	_ZN9rocsparseL27csrmvn_symm_adaptive_kernelIlld21rocsparse_complex_numIdES2_S2_EEvbT_S3_PKS3_NS_24const_host_device_scalarIT4_EES5_PKT0_PKT1_PKT2_S8_PT3_21rocsparse_index_base_b,@function
_ZN9rocsparseL27csrmvn_symm_adaptive_kernelIlld21rocsparse_complex_numIdES2_S2_EEvbT_S3_PKS3_NS_24const_host_device_scalarIT4_EES5_PKT0_PKT1_PKT2_S8_PT3_21rocsparse_index_base_b: ; @_ZN9rocsparseL27csrmvn_symm_adaptive_kernelIlld21rocsparse_complex_numIdES2_S2_EEvbT_S3_PKS3_NS_24const_host_device_scalarIT4_EES5_PKT0_PKT1_PKT2_S8_PT3_21rocsparse_index_base_b
; %bb.0:
	s_clause 0x1
	s_load_b64 s[24:25], s[0:1], 0x68
	s_load_b64 s[4:5], s[0:1], 0x20
	s_add_nc_u64 s[6:7], s[0:1], 32
	s_wait_kmcnt 0x0
	s_bitcmp1_b32 s25, 0
	s_cselect_b32 s3, -1, 0
	s_delay_alu instid0(SALU_CYCLE_1) | instskip(SKIP_2) | instid1(SALU_CYCLE_1)
	s_and_b32 s2, s3, exec_lo
	s_cselect_b32 s2, s6, s4
	s_cselect_b32 s4, s7, s5
	v_dual_mov_b32 v1, s2 :: v_dual_mov_b32 v2, s4
	flat_load_b128 v[2:5], v[1:2]
	s_wait_loadcnt_dscnt 0x0
	v_cmp_eq_f64_e32 vcc_lo, 0, v[2:3]
	v_cmp_eq_f64_e64 s2, 0, v[4:5]
	s_and_b32 s5, vcc_lo, s2
	s_mov_b32 s2, -1
	s_wait_alu 0xfffe
	s_and_saveexec_b32 s4, s5
	s_cbranch_execz .LBB107_2
; %bb.1:
	s_load_b64 s[6:7], s[0:1], 0x50
	s_add_nc_u64 s[8:9], s[0:1], 0x50
	s_and_b32 s2, s3, exec_lo
	s_wait_kmcnt 0x0
	s_cselect_b32 s2, s8, s6
	s_cselect_b32 s3, s9, s7
	s_wait_alu 0xfffe
	v_dual_mov_b32 v6, s2 :: v_dual_mov_b32 v7, s3
	flat_load_b128 v[6:9], v[6:7]
	s_wait_loadcnt_dscnt 0x0
	v_cmp_neq_f64_e32 vcc_lo, 1.0, v[6:7]
	v_cmp_neq_f64_e64 s2, 0, v[8:9]
	s_or_b32 s2, vcc_lo, s2
	s_wait_alu 0xfffe
	s_or_not1_b32 s2, s2, exec_lo
.LBB107_2:
	s_wait_alu 0xfffe
	s_or_b32 exec_lo, exec_lo, s4
	s_and_saveexec_b32 s3, s2
	s_cbranch_execz .LBB107_199
; %bb.3:
	s_load_b64 s[8:9], s[0:1], 0x18
	s_mov_b32 s25, 0
	s_mov_b32 s2, ttmp9
	s_mov_b32 s7, s25
	s_mov_b32 s4, s25
	;; [unrolled: 1-line block ×4, first 2 shown]
	v_dual_mov_b32 v9, s7 :: v_dual_lshlrev_b32 v28, 4, v0
	s_ashr_i32 s3, ttmp9, 31
	s_wait_alu 0xfffe
	v_dual_mov_b32 v8, s6 :: v_dual_mov_b32 v7, s5
	v_mov_b32_e32 v6, s4
	s_lshl_b64 s[2:3], s[2:3], 3
	ds_store_b128 v28, v[6:9]
	ds_store_b128 v28, v[6:9] offset:4096
	ds_store_b128 v28, v[6:9] offset:8192
	ds_store_b128 v28, v[6:9] offset:12288
	s_wait_dscnt 0x0
	s_barrier_signal -1
	s_wait_kmcnt 0x0
	s_wait_alu 0xfffe
	s_add_nc_u64 s[2:3], s[8:9], s[2:3]
	s_barrier_wait -1
	global_inv scope:SCOPE_SE
	s_load_b128 s[16:19], s[2:3], 0x0
	s_clause 0x1
	s_load_b64 s[20:21], s[0:1], 0x60
	s_load_b256 s[8:15], s[0:1], 0x30
	s_wait_kmcnt 0x0
	s_sub_nc_u64 s[22:23], s[18:19], s[16:17]
	s_delay_alu instid0(SALU_CYCLE_1)
	v_cmp_gt_i64_e64 s2, s[22:23], 2
	s_and_b32 vcc_lo, exec_lo, s2
	s_mov_b32 s2, -1
	s_cbranch_vccnz .LBB107_47
; %bb.4:
	v_cmp_le_i64_e64 s2, s[18:19], s[16:17]
	v_sub_co_u32 v1, s3, v0, s24
	v_mov_b32_e32 v17, 0
	s_wait_alu 0xf1ff
	v_sub_co_ci_u32_e64 v16, null, 0, 0, s3
	s_wait_alu 0xfffe
	s_and_b32 vcc_lo, exec_lo, s2
	s_cbranch_vccnz .LBB107_34
; %bb.5:
	v_cmp_gt_u32_e64 s2, 0x100, v0
	v_cmp_gt_u32_e64 s3, 64, v0
	;; [unrolled: 1-line block ×4, first 2 shown]
	v_cmp_eq_u32_e64 s6, 0, v0
	s_mov_b64 s[26:27], s[16:17]
	s_branch .LBB107_7
.LBB107_6:                              ;   in Loop: Header=BB107_7 Depth=1
	s_wait_alu 0xfffe
	s_or_b32 exec_lo, exec_lo, s7
	s_add_nc_u64 s[26:27], s[26:27], 1
	s_wait_alu 0xfffe
	v_cmp_ge_i64_e64 s7, s[26:27], s[18:19]
	s_and_b32 vcc_lo, exec_lo, s7
	s_wait_alu 0xfffe
	s_cbranch_vccnz .LBB107_34
.LBB107_7:                              ; =>This Loop Header: Depth=1
                                        ;     Child Loop BB107_9 Depth 2
                                        ;     Child Loop BB107_23 Depth 2
	;; [unrolled: 1-line block ×5, first 2 shown]
	s_lshl_b64 s[28:29], s[26:27], 3
	v_mov_b32_e32 v8, 0
	s_wait_alu 0xfffe
	s_add_nc_u64 s[28:29], s[8:9], s[28:29]
	v_dual_mov_b32 v9, 0 :: v_dual_mov_b32 v6, 0
	s_load_b128 s[28:31], s[28:29], 0x0
	v_mov_b32_e32 v7, 0
	s_wait_kmcnt 0x0
	v_add_co_u32 v10, vcc_lo, s28, v1
	s_wait_alu 0xfffd
	v_add_co_ci_u32_e64 v11, null, s29, v16, vcc_lo
	s_sub_nc_u64 s[28:29], s[30:31], s[24:25]
	s_mov_b32 s30, exec_lo
	s_wait_alu 0xfffe
	v_cmpx_gt_i64_e64 s[28:29], v[10:11]
	s_cbranch_execz .LBB107_11
; %bb.8:                                ;   in Loop: Header=BB107_7 Depth=1
	v_lshlrev_b64_e32 v[6:7], 3, v[10:11]
	v_mov_b32_e32 v8, 0
	v_mov_b32_e32 v9, 0
	s_mov_b32 s31, 0
	s_delay_alu instid0(VALU_DEP_3)
	v_add_co_u32 v12, vcc_lo, s10, v6
	s_wait_alu 0xfffd
	v_add_co_ci_u32_e64 v13, null, s11, v7, vcc_lo
	v_add_co_u32 v14, vcc_lo, s12, v6
	s_wait_alu 0xfffd
	v_add_co_ci_u32_e64 v15, null, s13, v7, vcc_lo
	v_dual_mov_b32 v6, v8 :: v_dual_mov_b32 v7, v9
.LBB107_9:                              ;   Parent Loop BB107_7 Depth=1
                                        ; =>  This Inner Loop Header: Depth=2
	global_load_b64 v[18:19], v[12:13], off
	s_wait_loadcnt 0x0
	v_sub_co_u32 v18, vcc_lo, v18, s24
	s_wait_alu 0xfffd
	v_subrev_co_ci_u32_e64 v19, null, 0, v19, vcc_lo
	s_delay_alu instid0(VALU_DEP_1) | instskip(NEXT) | instid1(VALU_DEP_1)
	v_lshlrev_b64_e32 v[18:19], 4, v[18:19]
	v_add_co_u32 v18, vcc_lo, s14, v18
	s_wait_alu 0xfffd
	s_delay_alu instid0(VALU_DEP_2)
	v_add_co_ci_u32_e64 v19, null, s15, v19, vcc_lo
	v_add_co_u32 v10, vcc_lo, 0x100, v10
	global_load_b64 v[22:23], v[14:15], off
	global_load_b128 v[18:21], v[18:19], off
	s_wait_alu 0xfffd
	v_add_co_ci_u32_e64 v11, null, 0, v11, vcc_lo
	v_add_co_u32 v12, vcc_lo, 0x800, v12
	s_wait_alu 0xfffd
	v_add_co_ci_u32_e64 v13, null, 0, v13, vcc_lo
	s_delay_alu instid0(VALU_DEP_3)
	v_cmp_le_i64_e32 vcc_lo, s[28:29], v[10:11]
	v_add_co_u32 v14, s7, 0x800, v14
	s_wait_alu 0xf1ff
	v_add_co_ci_u32_e64 v15, null, 0, v15, s7
	s_wait_alu 0xfffe
	s_or_b32 s31, vcc_lo, s31
	s_wait_loadcnt 0x0
	v_fma_f64 v[6:7], v[22:23], v[18:19], v[6:7]
	v_fma_f64 v[8:9], v[18:19], 0, v[8:9]
	s_delay_alu instid0(VALU_DEP_2) | instskip(NEXT) | instid1(VALU_DEP_2)
	v_fma_f64 v[6:7], 0x80000000, v[20:21], v[6:7]
	v_fma_f64 v[8:9], v[22:23], v[20:21], v[8:9]
	s_wait_alu 0xfffe
	s_and_not1_b32 exec_lo, exec_lo, s31
	s_cbranch_execnz .LBB107_9
; %bb.10:                               ;   in Loop: Header=BB107_7 Depth=1
	s_or_b32 exec_lo, exec_lo, s31
.LBB107_11:                             ;   in Loop: Header=BB107_7 Depth=1
	s_delay_alu instid0(SALU_CYCLE_1)
	s_or_b32 exec_lo, exec_lo, s30
	ds_store_b128 v28, v[6:9]
	s_wait_loadcnt_dscnt 0x0
	s_barrier_signal -1
	s_barrier_wait -1
	global_inv scope:SCOPE_SE
	s_and_saveexec_b32 s7, s2
	s_cbranch_execz .LBB107_13
; %bb.12:                               ;   in Loop: Header=BB107_7 Depth=1
	ds_load_b128 v[6:9], v28 offset:4096
	ds_load_b128 v[10:13], v28 offset:8192
	ds_load_b128 v[18:21], v28 offset:12288
	ds_load_b128 v[22:25], v28
	s_wait_dscnt 0x2
	v_add_f64_e32 v[6:7], v[10:11], v[6:7]
	v_add_f64_e32 v[8:9], v[12:13], v[8:9]
	s_wait_dscnt 0x1
	s_delay_alu instid0(VALU_DEP_2) | instskip(NEXT) | instid1(VALU_DEP_2)
	v_add_f64_e32 v[6:7], v[6:7], v[18:19]
	v_add_f64_e32 v[8:9], v[8:9], v[20:21]
	s_wait_dscnt 0x0
	s_delay_alu instid0(VALU_DEP_2) | instskip(NEXT) | instid1(VALU_DEP_2)
	v_add_f64_e32 v[6:7], v[6:7], v[22:23]
	v_add_f64_e32 v[8:9], v[8:9], v[24:25]
	ds_store_b128 v28, v[6:9]
.LBB107_13:                             ;   in Loop: Header=BB107_7 Depth=1
	s_wait_alu 0xfffe
	s_or_b32 exec_lo, exec_lo, s7
	s_wait_loadcnt_dscnt 0x0
	s_barrier_signal -1
	s_barrier_wait -1
	global_inv scope:SCOPE_SE
	s_and_saveexec_b32 s7, s3
	s_cbranch_execz .LBB107_15
; %bb.14:                               ;   in Loop: Header=BB107_7 Depth=1
	ds_load_b128 v[6:9], v28 offset:1024
	ds_load_b128 v[10:13], v28 offset:2048
	ds_load_b128 v[18:21], v28 offset:3072
	ds_load_b128 v[22:25], v28
	s_wait_dscnt 0x2
	v_add_f64_e32 v[6:7], v[10:11], v[6:7]
	v_add_f64_e32 v[8:9], v[12:13], v[8:9]
	s_wait_dscnt 0x1
	s_delay_alu instid0(VALU_DEP_2) | instskip(NEXT) | instid1(VALU_DEP_2)
	v_add_f64_e32 v[6:7], v[6:7], v[18:19]
	v_add_f64_e32 v[8:9], v[8:9], v[20:21]
	s_wait_dscnt 0x0
	s_delay_alu instid0(VALU_DEP_2) | instskip(NEXT) | instid1(VALU_DEP_2)
	v_add_f64_e32 v[6:7], v[6:7], v[22:23]
	v_add_f64_e32 v[8:9], v[8:9], v[24:25]
	ds_store_b128 v28, v[6:9]
.LBB107_15:                             ;   in Loop: Header=BB107_7 Depth=1
	s_wait_alu 0xfffe
	s_or_b32 exec_lo, exec_lo, s7
	;; [unrolled: 26-line block ×5, first 2 shown]
	s_wait_loadcnt_dscnt 0x0
	s_barrier_signal -1
	s_barrier_wait -1
	global_inv scope:SCOPE_SE
	s_and_saveexec_b32 s7, s6
	s_cbranch_execz .LBB107_6
; %bb.22:                               ;   in Loop: Header=BB107_7 Depth=1
	ds_load_b128 v[6:9], v17
	v_mov_b32_e32 v14, 0
	v_bfrev_b32_e32 v15, 1
	s_mov_b32 s28, exec_lo
	s_wait_dscnt 0x0
	v_mul_f64_e64 v[10:11], v[8:9], -v[4:5]
	s_delay_alu instid0(VALU_DEP_1)
	v_fma_f64 v[10:11], v[2:3], v[6:7], v[10:11]
.LBB107_23:                             ;   Parent Loop BB107_7 Depth=1
                                        ; =>  This Inner Loop Header: Depth=2
	s_wait_alu 0xfffe
	s_ctz_i32_b32 s29, s28
	s_wait_alu 0xfffe
	s_delay_alu instid0(VALU_DEP_1) | instskip(NEXT) | instid1(VALU_DEP_2)
	v_readlane_b32 s31, v11, s29
	v_readlane_b32 s30, v10, s29
	s_lshl_b32 s29, 1, s29
	s_wait_alu 0xfffe
	s_and_not1_b32 s28, s28, s29
	v_add_f64_e32 v[14:15], s[30:31], v[14:15]
	s_wait_alu 0xfffe
	s_cmp_lg_u32 s28, 0
	s_cbranch_scc1 .LBB107_23
; %bb.24:                               ;   in Loop: Header=BB107_7 Depth=1
	v_mbcnt_lo_u32_b32 v10, exec_lo, 0
	s_lshl_b64 s[28:29], s[26:27], 4
	s_mov_b32 s30, exec_lo
	s_wait_alu 0xfffe
	s_add_nc_u64 s[28:29], s[20:21], s[28:29]
	v_cmpx_eq_u32_e32 0, v10
	s_xor_b32 s30, exec_lo, s30
	s_cbranch_execz .LBB107_28
; %bb.25:                               ;   in Loop: Header=BB107_7 Depth=1
	global_load_b64 v[12:13], v17, s[28:29]
	s_mov_b32 s31, 0
.LBB107_26:                             ;   Parent Loop BB107_7 Depth=1
                                        ; =>  This Inner Loop Header: Depth=2
	s_wait_loadcnt 0x0
	v_add_f64_e32 v[10:11], v[12:13], v[14:15]
	global_atomic_cmpswap_b64 v[10:11], v17, v[10:13], s[28:29] th:TH_ATOMIC_RETURN scope:SCOPE_DEV
	s_wait_loadcnt 0x0
	v_cmp_eq_u64_e32 vcc_lo, v[10:11], v[12:13]
	v_dual_mov_b32 v13, v11 :: v_dual_mov_b32 v12, v10
	s_wait_alu 0xfffe
	s_or_b32 s31, vcc_lo, s31
	s_wait_alu 0xfffe
	s_and_not1_b32 exec_lo, exec_lo, s31
	s_cbranch_execnz .LBB107_26
; %bb.27:                               ;   in Loop: Header=BB107_7 Depth=1
	s_or_b32 exec_lo, exec_lo, s31
.LBB107_28:                             ;   in Loop: Header=BB107_7 Depth=1
	s_wait_alu 0xfffe
	s_or_b32 exec_lo, exec_lo, s30
	v_mul_f64_e32 v[8:9], v[2:3], v[8:9]
	v_mov_b32_e32 v10, 0
	v_bfrev_b32_e32 v11, 1
	s_mov_b32 s30, exec_lo
	s_delay_alu instid0(VALU_DEP_3)
	v_fma_f64 v[6:7], v[4:5], v[6:7], v[8:9]
.LBB107_29:                             ;   Parent Loop BB107_7 Depth=1
                                        ; =>  This Inner Loop Header: Depth=2
	s_wait_alu 0xfffe
	s_ctz_i32_b32 s31, s30
	s_wait_alu 0xfffe
	s_delay_alu instid0(VALU_DEP_1) | instskip(NEXT) | instid1(VALU_DEP_2)
	v_readlane_b32 s35, v7, s31
	v_readlane_b32 s34, v6, s31
	s_lshl_b32 s31, 1, s31
	s_wait_alu 0xfffe
	s_and_not1_b32 s30, s30, s31
	v_add_f64_e32 v[10:11], s[34:35], v[10:11]
	s_wait_alu 0xfffe
	s_cmp_lg_u32 s30, 0
	s_cbranch_scc1 .LBB107_29
; %bb.30:                               ;   in Loop: Header=BB107_7 Depth=1
	v_mbcnt_lo_u32_b32 v6, exec_lo, 0
	s_mov_b32 s30, exec_lo
	s_delay_alu instid0(VALU_DEP_1)
	v_cmpx_eq_u32_e32 0, v6
	s_wait_alu 0xfffe
	s_xor_b32 s30, exec_lo, s30
	s_cbranch_execz .LBB107_6
; %bb.31:                               ;   in Loop: Header=BB107_7 Depth=1
	global_load_b64 v[8:9], v17, s[28:29] offset:8
	s_mov_b32 s30, 0
.LBB107_32:                             ;   Parent Loop BB107_7 Depth=1
                                        ; =>  This Inner Loop Header: Depth=2
	s_wait_loadcnt 0x0
	v_add_f64_e32 v[6:7], v[8:9], v[10:11]
	global_atomic_cmpswap_b64 v[6:7], v17, v[6:9], s[28:29] offset:8 th:TH_ATOMIC_RETURN scope:SCOPE_DEV
	s_wait_loadcnt 0x0
	v_cmp_eq_u64_e32 vcc_lo, v[6:7], v[8:9]
	v_dual_mov_b32 v9, v7 :: v_dual_mov_b32 v8, v6
	s_wait_alu 0xfffe
	s_or_b32 s30, vcc_lo, s30
	s_wait_alu 0xfffe
	s_and_not1_b32 exec_lo, exec_lo, s30
	s_cbranch_execnz .LBB107_32
; %bb.33:                               ;   in Loop: Header=BB107_7 Depth=1
	s_or_b32 exec_lo, exec_lo, s30
	s_branch .LBB107_6
.LBB107_34:
	s_lshl_b64 s[2:3], s[16:17], 3
	s_lshl_b64 s[4:5], s[18:19], 3
	s_wait_alu 0xfffe
	s_add_nc_u64 s[2:3], s[8:9], s[2:3]
	s_add_nc_u64 s[4:5], s[8:9], s[4:5]
	s_clause 0x1
	s_load_b64 s[2:3], s[2:3], 0x0
	s_load_b64 s[4:5], s[4:5], 0x0
	s_wait_kmcnt 0x0
	v_add_co_u32 v14, vcc_lo, s2, v1
	s_wait_alu 0xfffd
	v_add_co_ci_u32_e64 v15, null, s3, v16, vcc_lo
	s_sub_nc_u64 s[4:5], s[4:5], s[24:25]
	s_mov_b32 s3, exec_lo
	s_wait_alu 0xfffe
	v_cmpx_gt_i64_e64 s[4:5], v[14:15]
	s_cbranch_execz .LBB107_46
; %bb.35:
	v_mul_f64_e32 v[16:17], 0x80000000, v[4:5]
	v_mul_f64_e32 v[18:19], 0, v[2:3]
	s_add_nc_u64 s[6:7], s[18:19], -1
	s_add_nc_u64 s[26:27], s[18:19], -2
	s_wait_alu 0xfffe
	v_cmp_lt_i64_e64 s2, s[16:17], s[6:7]
	s_cmp_lg_u64 s[16:17], s[26:27]
	s_mov_b32 s26, 0
	s_cselect_b32 s25, -1, 0
	s_wait_alu 0xfffe
	s_and_b32 s25, s2, s25
	s_branch .LBB107_37
.LBB107_36:                             ;   in Loop: Header=BB107_37 Depth=1
	s_wait_alu 0xfffe
	s_or_b32 exec_lo, exec_lo, s2
	v_add_co_u32 v14, vcc_lo, 0x100, v14
	s_wait_alu 0xfffd
	v_add_co_ci_u32_e64 v15, null, 0, v15, vcc_lo
	s_delay_alu instid0(VALU_DEP_1)
	v_cmp_le_i64_e32 vcc_lo, s[4:5], v[14:15]
	s_or_b32 s26, vcc_lo, s26
	s_wait_alu 0xfffe
	s_and_not1_b32 exec_lo, exec_lo, s26
	s_cbranch_execz .LBB107_46
.LBB107_37:                             ; =>This Loop Header: Depth=1
                                        ;     Child Loop BB107_39 Depth 2
                                        ;     Child Loop BB107_43 Depth 2
	;; [unrolled: 1-line block ×3, first 2 shown]
	v_dual_mov_b32 v6, s16 :: v_dual_mov_b32 v7, s17
	v_dual_mov_b32 v9, s7 :: v_dual_mov_b32 v8, s6
	s_wait_alu 0xfffe
	s_and_not1_b32 vcc_lo, exec_lo, s25
	s_wait_alu 0xfffe
	s_cbranch_vccnz .LBB107_41
; %bb.38:                               ;   in Loop: Header=BB107_37 Depth=1
	v_dual_mov_b32 v6, s16 :: v_dual_mov_b32 v7, s17
	v_dual_mov_b32 v9, s7 :: v_dual_mov_b32 v8, s6
	s_mov_b32 s27, 0
.LBB107_39:                             ;   Parent Loop BB107_37 Depth=1
                                        ; =>  This Inner Loop Header: Depth=2
	s_delay_alu instid0(VALU_DEP_1) | instskip(SKIP_1) | instid1(VALU_DEP_2)
	v_add_co_u32 v1, vcc_lo, v8, v6
	s_wait_alu 0xfffd
	v_add_co_ci_u32_e64 v11, null, v9, v7, vcc_lo
	s_delay_alu instid0(VALU_DEP_1) | instskip(NEXT) | instid1(VALU_DEP_1)
	v_lshrrev_b32_e32 v10, 31, v11
	v_add_co_u32 v10, vcc_lo, v1, v10
	s_wait_alu 0xfffd
	v_add_co_ci_u32_e64 v11, null, 0, v11, vcc_lo
	s_delay_alu instid0(VALU_DEP_1) | instskip(NEXT) | instid1(VALU_DEP_1)
	v_ashrrev_i64 v[10:11], 1, v[10:11]
	v_lshlrev_b64_e32 v[12:13], 3, v[10:11]
	s_delay_alu instid0(VALU_DEP_1) | instskip(SKIP_1) | instid1(VALU_DEP_2)
	v_add_co_u32 v12, vcc_lo, s8, v12
	s_wait_alu 0xfffd
	v_add_co_ci_u32_e64 v13, null, s9, v13, vcc_lo
	global_load_b64 v[12:13], v[12:13], off
	s_wait_loadcnt 0x0
	v_sub_co_u32 v12, vcc_lo, v12, s24
	s_wait_alu 0xfffd
	v_subrev_co_ci_u32_e64 v13, null, 0, v13, vcc_lo
	s_delay_alu instid0(VALU_DEP_1) | instskip(SKIP_3) | instid1(VALU_DEP_2)
	v_cmp_lt_i64_e32 vcc_lo, v[14:15], v[12:13]
	s_wait_alu 0xfffd
	v_dual_cndmask_b32 v9, v9, v11 :: v_dual_cndmask_b32 v8, v8, v10
	v_dual_cndmask_b32 v7, v11, v7 :: v_dual_cndmask_b32 v6, v10, v6
	v_add_co_u32 v10, vcc_lo, v8, -1
	s_wait_alu 0xfffd
	s_delay_alu instid0(VALU_DEP_3) | instskip(NEXT) | instid1(VALU_DEP_3)
	v_add_co_ci_u32_e64 v11, null, -1, v9, vcc_lo
	v_cmp_ge_i64_e32 vcc_lo, v[6:7], v[8:9]
	s_delay_alu instid0(VALU_DEP_2)
	v_cmp_eq_u64_e64 s2, v[6:7], v[10:11]
	s_or_b32 s2, vcc_lo, s2
	s_wait_alu 0xfffe
	s_and_b32 s2, exec_lo, s2
	s_wait_alu 0xfffe
	s_or_b32 s27, s2, s27
	s_wait_alu 0xfffe
	s_and_not1_b32 exec_lo, exec_lo, s27
	s_cbranch_execnz .LBB107_39
; %bb.40:                               ;   in Loop: Header=BB107_37 Depth=1
	s_or_b32 exec_lo, exec_lo, s27
.LBB107_41:                             ;   in Loop: Header=BB107_37 Depth=1
	v_lshlrev_b64_e32 v[10:11], 3, v[8:9]
	v_lshlrev_b64_e32 v[12:13], 3, v[14:15]
	s_mov_b32 s2, exec_lo
	s_delay_alu instid0(VALU_DEP_2) | instskip(SKIP_1) | instid1(VALU_DEP_3)
	v_add_co_u32 v10, vcc_lo, s8, v10
	s_wait_alu 0xfffd
	v_add_co_ci_u32_e64 v11, null, s9, v11, vcc_lo
	s_delay_alu instid0(VALU_DEP_3)
	v_add_co_u32 v20, vcc_lo, s10, v12
	s_wait_alu 0xfffd
	v_add_co_ci_u32_e64 v21, null, s11, v13, vcc_lo
	global_load_b64 v[10:11], v[10:11], off
	global_load_b64 v[20:21], v[20:21], off
	s_wait_loadcnt 0x1
	v_sub_co_u32 v10, vcc_lo, v10, s24
	s_wait_alu 0xfffd
	v_subrev_co_ci_u32_e64 v11, null, 0, v11, vcc_lo
	s_delay_alu instid0(VALU_DEP_1)
	v_cmp_lt_i64_e32 vcc_lo, v[14:15], v[10:11]
	s_wait_alu 0xfffd
	v_dual_cndmask_b32 v7, v9, v7 :: v_dual_cndmask_b32 v6, v8, v6
	s_wait_loadcnt 0x0
	v_sub_co_u32 v10, vcc_lo, v20, s24
	s_wait_alu 0xfffd
	v_subrev_co_ci_u32_e64 v11, null, 0, v21, vcc_lo
	s_delay_alu instid0(VALU_DEP_1)
	v_cmpx_ne_u64_e64 v[10:11], v[6:7]
	s_cbranch_execz .LBB107_36
; %bb.42:                               ;   in Loop: Header=BB107_37 Depth=1
	v_add_co_u32 v8, vcc_lo, s12, v12
	s_wait_alu 0xfffd
	v_add_co_ci_u32_e64 v9, null, s13, v13, vcc_lo
	v_lshlrev_b64_e32 v[6:7], 4, v[6:7]
	v_lshlrev_b64_e32 v[10:11], 4, v[10:11]
	s_mov_b32 s27, 0
	global_load_b64 v[24:25], v[8:9], off
	v_add_co_u32 v6, vcc_lo, s14, v6
	s_wait_alu 0xfffd
	v_add_co_ci_u32_e64 v7, null, s15, v7, vcc_lo
	v_add_co_u32 v20, vcc_lo, s20, v10
	s_wait_alu 0xfffd
	v_add_co_ci_u32_e64 v21, null, s21, v11, vcc_lo
	global_load_b128 v[6:9], v[6:7], off
	global_load_b64 v[12:13], v[20:21], off
	s_wait_loadcnt 0x2
	v_fma_f64 v[22:23], v[4:5], v[24:25], v[18:19]
	v_fma_f64 v[24:25], v[2:3], v[24:25], v[16:17]
	s_wait_loadcnt 0x1
	s_delay_alu instid0(VALU_DEP_2) | instskip(NEXT) | instid1(VALU_DEP_1)
	v_mul_f64_e64 v[10:11], v[8:9], -v[22:23]
	v_fma_f64 v[26:27], v[24:25], v[6:7], v[10:11]
.LBB107_43:                             ;   Parent Loop BB107_37 Depth=1
                                        ; =>  This Inner Loop Header: Depth=2
	s_wait_loadcnt 0x0
	s_delay_alu instid0(VALU_DEP_1)
	v_add_f64_e32 v[10:11], v[12:13], v[26:27]
	global_atomic_cmpswap_b64 v[10:11], v[20:21], v[10:13], off th:TH_ATOMIC_RETURN scope:SCOPE_DEV
	s_wait_loadcnt 0x0
	v_cmp_eq_u64_e32 vcc_lo, v[10:11], v[12:13]
	v_dual_mov_b32 v13, v11 :: v_dual_mov_b32 v12, v10
	s_wait_alu 0xfffe
	s_or_b32 s27, vcc_lo, s27
	s_wait_alu 0xfffe
	s_and_not1_b32 exec_lo, exec_lo, s27
	s_cbranch_execnz .LBB107_43
; %bb.44:                               ;   in Loop: Header=BB107_37 Depth=1
	s_or_b32 exec_lo, exec_lo, s27
	global_load_b64 v[10:11], v[20:21], off offset:8
	v_mul_f64_e32 v[8:9], v[24:25], v[8:9]
	s_mov_b32 s27, 0
	s_delay_alu instid0(VALU_DEP_1)
	v_fma_f64 v[6:7], v[22:23], v[6:7], v[8:9]
.LBB107_45:                             ;   Parent Loop BB107_37 Depth=1
                                        ; =>  This Inner Loop Header: Depth=2
	s_wait_loadcnt 0x0
	s_delay_alu instid0(VALU_DEP_1)
	v_add_f64_e32 v[8:9], v[10:11], v[6:7]
	global_atomic_cmpswap_b64 v[8:9], v[20:21], v[8:11], off offset:8 th:TH_ATOMIC_RETURN scope:SCOPE_DEV
	s_wait_loadcnt 0x0
	v_cmp_eq_u64_e32 vcc_lo, v[8:9], v[10:11]
	v_dual_mov_b32 v11, v9 :: v_dual_mov_b32 v10, v8
	s_wait_alu 0xfffe
	s_or_b32 s27, vcc_lo, s27
	s_wait_alu 0xfffe
	s_and_not1_b32 exec_lo, exec_lo, s27
	s_cbranch_execnz .LBB107_45
	s_branch .LBB107_36
.LBB107_46:
	s_or_b32 exec_lo, exec_lo, s3
	s_mov_b32 s2, 0
.LBB107_47:
	s_wait_alu 0xfffe
	s_and_b32 vcc_lo, exec_lo, s2
	s_wait_alu 0xfffe
	s_cbranch_vccz .LBB107_199
; %bb.48:
	s_load_b32 s2, s[0:1], 0x7c
	s_mov_b32 s25, 0
	s_mov_b64 s[28:29], 0
	s_wait_alu 0xfffe
	s_mov_b32 s7, s25
	s_wait_kmcnt 0x0
	s_and_b32 s6, s2, 0xffff
	s_wait_alu 0xfffe
	v_cmp_lt_u64_e64 s2, s[6:7], s[22:23]
	s_and_b32 vcc_lo, exec_lo, s2
	s_wait_alu 0xfffe
	s_cbranch_vccnz .LBB107_50
; %bb.49:
	v_cvt_f32_u32_e32 v1, s22
	s_sub_co_i32 s3, 0, s22
	s_delay_alu instid0(VALU_DEP_1) | instskip(NEXT) | instid1(TRANS32_DEP_1)
	v_rcp_iflag_f32_e32 v1, v1
	v_mul_f32_e32 v1, 0x4f7ffffe, v1
	s_delay_alu instid0(VALU_DEP_1) | instskip(NEXT) | instid1(VALU_DEP_1)
	v_cvt_u32_f32_e32 v1, v1
	v_readfirstlane_b32 s2, v1
	s_wait_alu 0xfffe
	s_mul_i32 s3, s3, s2
	s_wait_alu 0xfffe
	s_mul_hi_u32 s3, s2, s3
	s_wait_alu 0xfffe
	s_add_co_i32 s2, s2, s3
	s_wait_alu 0xfffe
	s_mul_hi_u32 s2, s6, s2
	s_wait_alu 0xfffe
	s_mul_i32 s3, s2, s22
	s_add_co_i32 s4, s2, 1
	s_wait_alu 0xfffe
	s_sub_co_i32 s3, s6, s3
	s_wait_alu 0xfffe
	s_sub_co_i32 s5, s3, s22
	s_cmp_ge_u32 s3, s22
	s_cselect_b32 s2, s4, s2
	s_wait_alu 0xfffe
	s_cselect_b32 s3, s5, s3
	s_add_co_i32 s4, s2, 1
	s_wait_alu 0xfffe
	s_cmp_ge_u32 s3, s22
	s_cselect_b32 s28, s4, s2
.LBB107_50:
	s_lshl_b64 s[2:3], s[16:17], 3
	v_sub_co_u32 v1, s7, v0, s24
	s_wait_alu 0xfffe
	s_add_nc_u64 s[26:27], s[8:9], s[2:3]
	s_load_b64 s[4:5], s[26:27], 0x0
	s_load_b128 s[0:3], s[0:1], 0x8
	v_sub_co_ci_u32_e64 v6, null, 0, 0, s7
	s_wait_kmcnt 0x0
	v_add_co_u32 v14, vcc_lo, s4, v1
	s_wait_alu 0xfffd
	s_delay_alu instid0(VALU_DEP_2) | instskip(SKIP_1) | instid1(VALU_DEP_3)
	v_add_co_ci_u32_e64 v15, null, s5, v6, vcc_lo
	v_mov_b32_e32 v1, 0
	v_add_co_u32 v16, vcc_lo, 0x300, v14
	s_wait_alu 0xfffd
	s_delay_alu instid0(VALU_DEP_3) | instskip(NEXT) | instid1(VALU_DEP_1)
	v_add_co_ci_u32_e64 v17, null, 0, v15, vcc_lo
	v_cmp_le_i64_e32 vcc_lo, s[0:1], v[16:17]
	s_and_saveexec_b32 s0, vcc_lo
	s_wait_alu 0xfffe
	s_xor_b32 s7, exec_lo, s0
	s_cbranch_execnz .LBB107_53
; %bb.51:
	s_wait_alu 0xfffe
	s_or_saveexec_b32 s1, s7
	v_lshlrev_b64_e32 v[6:7], 3, v[14:15]
	s_wait_alu 0xfffe
	s_xor_b32 exec_lo, exec_lo, s1
	s_cbranch_execnz .LBB107_57
.LBB107_52:
	s_or_b32 exec_lo, exec_lo, s1
	s_delay_alu instid0(SALU_CYCLE_1)
	s_mov_b32 s1, exec_lo
	v_cmpx_gt_i64_e64 s[2:3], v[0:1]
	s_cbranch_execnz .LBB107_58
	s_branch .LBB107_60
.LBB107_53:
	s_lshl_b64 s[0:1], s[18:19], 3
	s_mov_b32 s29, exec_lo
	s_wait_alu 0xfffe
	s_add_nc_u64 s[0:1], s[8:9], s[0:1]
	s_load_b64 s[0:1], s[0:1], 0x0
	s_wait_kmcnt 0x0
	s_sub_nc_u64 s[30:31], s[0:1], s[4:5]
	s_wait_alu 0xfffe
	v_cmpx_gt_i64_e64 s[30:31], v[0:1]
	s_cbranch_execz .LBB107_56
; %bb.54:
	v_mul_f64_e32 v[6:7], 0x80000000, v[4:5]
	v_mul_f64_e32 v[8:9], 0, v[2:3]
	v_lshlrev_b64_e32 v[10:11], 3, v[14:15]
	v_dual_mov_b32 v18, v28 :: v_dual_mov_b32 v13, v1
	v_mov_b32_e32 v12, v0
	s_mov_b32 s33, 0
	s_delay_alu instid0(VALU_DEP_3)
	v_add_co_u32 v10, s0, s12, v10
	s_wait_alu 0xf1ff
	v_add_co_ci_u32_e64 v11, null, s13, v11, s0
.LBB107_55:                             ; =>This Inner Loop Header: Depth=1
	global_load_b64 v[21:22], v[10:11], off
	v_add_co_u32 v12, s0, 0x100, v12
	s_wait_alu 0xf1ff
	v_add_co_ci_u32_e64 v13, null, 0, v13, s0
	v_add_co_u32 v10, s0, 0x800, v10
	s_wait_alu 0xf1ff
	v_add_co_ci_u32_e64 v11, null, 0, v11, s0
	s_delay_alu instid0(VALU_DEP_3)
	v_cmp_le_i64_e64 s1, s[30:31], v[12:13]
	s_or_b32 s33, s1, s33
	s_wait_loadcnt 0x0
	v_fma_f64 v[19:20], v[2:3], v[21:22], v[6:7]
	v_fma_f64 v[21:22], v[4:5], v[21:22], v[8:9]
	ds_store_b128 v18, v[19:22]
	v_add_nc_u32_e32 v18, 0x1000, v18
	s_and_not1_b32 exec_lo, exec_lo, s33
	s_cbranch_execnz .LBB107_55
.LBB107_56:
	s_or_b32 exec_lo, exec_lo, s29
                                        ; implicit-def: $vgpr4_vgpr5
	s_or_saveexec_b32 s1, s7
	v_lshlrev_b64_e32 v[6:7], 3, v[14:15]
	s_wait_alu 0xfffe
	s_xor_b32 exec_lo, exec_lo, s1
	s_cbranch_execz .LBB107_52
.LBB107_57:
	s_delay_alu instid0(VALU_DEP_1)
	v_add_co_u32 v8, s0, s12, v6
	s_wait_alu 0xf1ff
	v_add_co_ci_u32_e64 v9, null, s13, v7, s0
	v_mul_f64_e32 v[29:30], 0x80000000, v[4:5]
	v_mul_f64_e32 v[31:32], 0, v[2:3]
	s_clause 0x3
	global_load_b64 v[10:11], v[8:9], off
	global_load_b64 v[12:13], v[8:9], off offset:2048
	global_load_b64 v[24:25], v[8:9], off offset:4096
	;; [unrolled: 1-line block ×3, first 2 shown]
	s_wait_loadcnt 0x3
	v_fma_f64 v[8:9], v[2:3], v[10:11], v[29:30]
	v_fma_f64 v[10:11], v[4:5], v[10:11], v[31:32]
	s_wait_loadcnt 0x2
	v_fma_f64 v[18:19], v[2:3], v[12:13], v[29:30]
	v_fma_f64 v[20:21], v[4:5], v[12:13], v[31:32]
	;; [unrolled: 3-line block ×4, first 2 shown]
	ds_store_b128 v28, v[8:11]
	ds_store_b128 v28, v[18:21] offset:4096
	ds_store_b128 v28, v[22:25] offset:8192
	;; [unrolled: 1-line block ×3, first 2 shown]
	s_or_b32 exec_lo, exec_lo, s1
	s_delay_alu instid0(SALU_CYCLE_1)
	s_mov_b32 s1, exec_lo
	v_cmpx_gt_i64_e64 s[2:3], v[0:1]
	s_cbranch_execz .LBB107_60
.LBB107_58:
	s_mov_b32 s12, 0
	v_lshl_add_u32 v10, v0, 4, 0x4000
	s_wait_alu 0xfffe
	s_mov_b32 s13, s12
	s_mov_b32 s30, s12
	s_mov_b32 s31, s12
	s_wait_alu 0xfffe
	v_dual_mov_b32 v2, s12 :: v_dual_mov_b32 v3, s13
	v_dual_mov_b32 v4, s30 :: v_dual_mov_b32 v5, s31
	v_dual_mov_b32 v9, v1 :: v_dual_mov_b32 v8, v0
.LBB107_59:                             ; =>This Inner Loop Header: Depth=1
	s_delay_alu instid0(VALU_DEP_1) | instskip(SKIP_1) | instid1(VALU_DEP_2)
	v_add_co_u32 v8, s0, 0x100, v8
	s_wait_alu 0xf1ff
	v_add_co_ci_u32_e64 v9, null, 0, v9, s0
	ds_store_2addr_b64 v10, v[2:3], v[4:5] offset1:1
	v_add_nc_u32_e32 v10, 0x1000, v10
	v_cmp_le_i64_e64 s0, s[2:3], v[8:9]
	s_or_b32 s12, s0, s12
	s_wait_alu 0xfffe
	s_and_not1_b32 exec_lo, exec_lo, s12
	s_cbranch_execnz .LBB107_59
.LBB107_60:
	s_wait_alu 0xfffe
	s_or_b32 exec_lo, exec_lo, s1
	v_cmp_ge_i64_e64 s7, s[18:19], s[2:3]
	s_sub_nc_u64 s[0:1], s[18:19], s[2:3]
	s_wait_loadcnt_dscnt 0x0
	s_barrier_signal -1
	s_barrier_wait -1
	global_inv scope:SCOPE_SE
	s_and_b32 s7, s7, exec_lo
	s_wait_alu 0xfffe
	s_cselect_b32 s13, s1, 0
	s_cselect_b32 s12, s0, 0
	s_and_saveexec_b32 s0, vcc_lo
	s_wait_alu 0xfffe
	s_xor_b32 s7, exec_lo, s0
	s_cbranch_execz .LBB107_85
; %bb.61:
	s_lshl_b64 s[0:1], s[18:19], 3
	s_mov_b32 s29, exec_lo
	s_wait_alu 0xfffe
	s_add_nc_u64 s[0:1], s[8:9], s[0:1]
	s_load_b64 s[0:1], s[0:1], 0x0
	s_wait_kmcnt 0x0
	s_sub_nc_u64 s[30:31], s[0:1], s[4:5]
	s_wait_alu 0xfffe
	v_cmpx_gt_i64_e64 s[30:31], v[0:1]
	s_cbranch_execz .LBB107_84
; %bb.62:
	s_add_nc_u64 s[34:35], s[18:19], -2
	s_sub_nc_u64 s[36:37], s[0:1], s[24:25]
	s_wait_alu 0xfffe
	s_cmp_lg_u64 s[16:17], s[34:35]
	s_add_nc_u64 s[34:35], s[18:19], -1
	s_cselect_b32 s33, -1, 0
	s_mov_b64 s[38:39], 0
	s_mov_b32 s1, 0
	s_branch .LBB107_65
.LBB107_63:                             ;   in Loop: Header=BB107_65 Depth=1
	s_wait_alu 0xfffe
	s_or_b32 exec_lo, exec_lo, s0
.LBB107_64:                             ;   in Loop: Header=BB107_65 Depth=1
	s_delay_alu instid0(SALU_CYCLE_1) | instskip(SKIP_2) | instid1(VALU_DEP_1)
	s_or_b32 exec_lo, exec_lo, s40
	v_lshlrev_b64_e32 v[6:7], 4, v[16:17]
	s_add_nc_u64 s[38:39], s[38:39], 0x100
	v_add_co_u32 v6, vcc_lo, s14, v6
	s_wait_alu 0xfffd
	s_delay_alu instid0(VALU_DEP_2) | instskip(SKIP_4) | instid1(VALU_DEP_2)
	v_add_co_ci_u32_e64 v7, null, s15, v7, vcc_lo
	global_load_b128 v[6:9], v[6:7], off
	s_wait_loadcnt 0x0
	v_mul_f64_e32 v[10:11], v[8:9], v[18:19]
	v_mul_f64_e32 v[8:9], v[8:9], v[2:3]
	v_fma_f64 v[2:3], v[2:3], v[6:7], v[10:11]
	s_delay_alu instid0(VALU_DEP_2) | instskip(SKIP_4) | instid1(VALU_DEP_1)
	v_fma_f64 v[4:5], v[4:5], v[6:7], v[8:9]
	s_wait_alu 0xfffe
	v_add_co_u32 v6, s0, s38, v0
	s_wait_alu 0xf1ff
	v_add_co_ci_u32_e64 v7, null, s39, 0, s0
	v_cmp_le_i64_e32 vcc_lo, s[30:31], v[6:7]
	v_lshlrev_b32_e32 v6, 4, v24
	s_or_b32 s1, vcc_lo, s1
	ds_store_b128 v6, v[2:5]
	s_wait_alu 0xfffe
	s_and_not1_b32 exec_lo, exec_lo, s1
	s_cbranch_execz .LBB107_84
.LBB107_65:                             ; =>This Loop Header: Depth=1
                                        ;     Child Loop BB107_67 Depth 2
                                        ;     Child Loop BB107_74 Depth 2
	;; [unrolled: 1-line block ×5, first 2 shown]
	v_add_co_u32 v2, vcc_lo, s38, v14
	s_wait_alu 0xfffd
	v_add_co_ci_u32_e64 v3, null, s39, v15, vcc_lo
	v_dual_mov_b32 v4, s16 :: v_dual_mov_b32 v5, s17
	s_wait_alu 0xfffe
	v_dual_mov_b32 v6, s34 :: v_dual_mov_b32 v7, s35
	s_and_not1_b32 vcc_lo, exec_lo, s33
	s_wait_alu 0xfffe
	s_cbranch_vccnz .LBB107_69
; %bb.66:                               ;   in Loop: Header=BB107_65 Depth=1
	v_dual_mov_b32 v4, s16 :: v_dual_mov_b32 v5, s17
	v_dual_mov_b32 v6, s34 :: v_dual_mov_b32 v7, s35
	s_mov_b32 s40, 0
.LBB107_67:                             ;   Parent Loop BB107_65 Depth=1
                                        ; =>  This Inner Loop Header: Depth=2
	s_delay_alu instid0(VALU_DEP_1) | instskip(SKIP_1) | instid1(VALU_DEP_2)
	v_add_co_u32 v8, vcc_lo, v6, v4
	s_wait_alu 0xfffd
	v_add_co_ci_u32_e64 v9, null, v7, v5, vcc_lo
	s_delay_alu instid0(VALU_DEP_1) | instskip(NEXT) | instid1(VALU_DEP_1)
	v_lshrrev_b32_e32 v10, 31, v9
	v_add_co_u32 v8, vcc_lo, v8, v10
	s_wait_alu 0xfffd
	v_add_co_ci_u32_e64 v9, null, 0, v9, vcc_lo
	s_delay_alu instid0(VALU_DEP_1) | instskip(NEXT) | instid1(VALU_DEP_1)
	v_ashrrev_i64 v[8:9], 1, v[8:9]
	v_lshlrev_b64_e32 v[10:11], 3, v[8:9]
	s_delay_alu instid0(VALU_DEP_1) | instskip(SKIP_1) | instid1(VALU_DEP_2)
	v_add_co_u32 v10, vcc_lo, s8, v10
	s_wait_alu 0xfffd
	v_add_co_ci_u32_e64 v11, null, s9, v11, vcc_lo
	global_load_b64 v[10:11], v[10:11], off
	s_wait_loadcnt 0x0
	v_sub_co_u32 v10, vcc_lo, v10, s24
	s_wait_alu 0xfffd
	v_subrev_co_ci_u32_e64 v11, null, 0, v11, vcc_lo
	s_delay_alu instid0(VALU_DEP_1) | instskip(SKIP_3) | instid1(VALU_DEP_2)
	v_cmp_lt_i64_e32 vcc_lo, v[2:3], v[10:11]
	s_wait_alu 0xfffd
	v_dual_cndmask_b32 v7, v7, v9 :: v_dual_cndmask_b32 v6, v6, v8
	v_dual_cndmask_b32 v5, v9, v5 :: v_dual_cndmask_b32 v4, v8, v4
	v_add_co_u32 v8, vcc_lo, v6, -1
	s_wait_alu 0xfffd
	s_delay_alu instid0(VALU_DEP_3) | instskip(NEXT) | instid1(VALU_DEP_3)
	v_add_co_ci_u32_e64 v9, null, -1, v7, vcc_lo
	v_cmp_ge_i64_e32 vcc_lo, v[4:5], v[6:7]
	s_delay_alu instid0(VALU_DEP_2)
	v_cmp_eq_u64_e64 s0, v[4:5], v[8:9]
	s_or_b32 s0, vcc_lo, s0
	s_wait_alu 0xfffe
	s_and_b32 s0, exec_lo, s0
	s_wait_alu 0xfffe
	s_or_b32 s40, s0, s40
	s_delay_alu instid0(SALU_CYCLE_1)
	s_and_not1_b32 exec_lo, exec_lo, s40
	s_cbranch_execnz .LBB107_67
; %bb.68:                               ;   in Loop: Header=BB107_65 Depth=1
	s_or_b32 exec_lo, exec_lo, s40
.LBB107_69:                             ;   in Loop: Header=BB107_65 Depth=1
	s_delay_alu instid0(VALU_DEP_1) | instskip(SKIP_2) | instid1(VALU_DEP_3)
	v_lshlrev_b64_e32 v[8:9], 3, v[6:7]
	v_lshlrev_b64_e32 v[10:11], 3, v[2:3]
	v_add_co_u32 v24, null, s38, v0
                                        ; implicit-def: $vgpr18_vgpr19
	v_add_co_u32 v8, vcc_lo, s8, v8
	s_wait_alu 0xfffd
	s_delay_alu instid0(VALU_DEP_4) | instskip(NEXT) | instid1(VALU_DEP_4)
	v_add_co_ci_u32_e64 v9, null, s9, v9, vcc_lo
	v_add_co_u32 v10, vcc_lo, s10, v10
	s_wait_alu 0xfffd
	v_add_co_ci_u32_e64 v11, null, s11, v11, vcc_lo
	global_load_b64 v[8:9], v[8:9], off
	global_load_b64 v[10:11], v[10:11], off
	s_wait_loadcnt 0x1
	v_sub_co_u32 v8, vcc_lo, v8, s24
	s_wait_alu 0xfffd
	v_subrev_co_ci_u32_e64 v9, null, 0, v9, vcc_lo
	s_wait_loadcnt 0x0
	v_sub_co_u32 v16, s0, v10, s24
	s_wait_alu 0xf1ff
	v_subrev_co_ci_u32_e64 v17, null, 0, v11, s0
	v_cmp_lt_i64_e32 vcc_lo, v[2:3], v[8:9]
	v_cmp_le_i64_e64 s0, s[36:37], v[2:3]
	s_wait_alu 0xfffd
	v_dual_cndmask_b32 v7, v7, v5 :: v_dual_lshlrev_b32 v10, 4, v24
	v_cndmask_b32_e32 v6, v6, v4, vcc_lo
                                        ; implicit-def: $vgpr2_vgpr3
	s_delay_alu instid0(VALU_DEP_1) | instskip(SKIP_3) | instid1(SALU_CYCLE_1)
	v_cmp_eq_u64_e32 vcc_lo, v[16:17], v[6:7]
	s_or_b32 s0, vcc_lo, s0
	s_wait_alu 0xfffe
	s_and_saveexec_b32 s40, s0
	s_xor_b32 s0, exec_lo, s40
	s_cbranch_execz .LBB107_71
; %bb.70:                               ;   in Loop: Header=BB107_65 Depth=1
	ds_load_b128 v[2:5], v10
                                        ; implicit-def: $vgpr6_vgpr7
                                        ; implicit-def: $vgpr10
	s_wait_dscnt 0x0
	v_xor_b32_e32 v19, 0x80000000, v5
	v_mov_b32_e32 v18, v4
.LBB107_71:                             ;   in Loop: Header=BB107_65 Depth=1
	s_wait_alu 0xfffe
	s_and_not1_saveexec_b32 s40, s0
	s_cbranch_execz .LBB107_64
; %bb.72:                               ;   in Loop: Header=BB107_65 Depth=1
	v_cmp_gt_i64_e32 vcc_lo, s[12:13], v[16:17]
	v_cmp_le_i64_e64 s0, s[18:19], v[16:17]
	v_lshlrev_b64_e32 v[6:7], 4, v[6:7]
                                        ; implicit-def: $vgpr2_vgpr3
                                        ; implicit-def: $vgpr18_vgpr19
	s_or_b32 s0, vcc_lo, s0
	s_wait_alu 0xfffe
	s_and_saveexec_b32 s41, s0
	s_delay_alu instid0(SALU_CYCLE_1)
	s_xor_b32 s0, exec_lo, s41
	s_cbranch_execz .LBB107_78
; %bb.73:                               ;   in Loop: Header=BB107_65 Depth=1
	v_add_co_u32 v2, vcc_lo, s14, v6
	s_wait_alu 0xfffd
	v_add_co_ci_u32_e64 v3, null, s15, v7, vcc_lo
	s_mov_b32 s41, 0
	global_load_b128 v[6:9], v[2:3], off
	v_lshlrev_b64_e32 v[2:3], 4, v[16:17]
	s_delay_alu instid0(VALU_DEP_1) | instskip(SKIP_1) | instid1(VALU_DEP_2)
	v_add_co_u32 v20, vcc_lo, s20, v2
	s_wait_alu 0xfffd
	v_add_co_ci_u32_e64 v21, null, s21, v3, vcc_lo
	ds_load_b128 v[2:5], v10
	global_load_b64 v[12:13], v[20:21], off
	s_wait_dscnt 0x0
	v_xor_b32_e32 v19, 0x80000000, v5
	v_mov_b32_e32 v18, v4
	s_wait_loadcnt 0x1
	v_mul_f64_e64 v[10:11], v[8:9], -v[4:5]
	s_delay_alu instid0(VALU_DEP_1)
	v_fma_f64 v[22:23], v[2:3], v[6:7], v[10:11]
.LBB107_74:                             ;   Parent Loop BB107_65 Depth=1
                                        ; =>  This Inner Loop Header: Depth=2
	s_wait_loadcnt 0x0
	s_delay_alu instid0(VALU_DEP_1)
	v_add_f64_e32 v[10:11], v[12:13], v[22:23]
	global_atomic_cmpswap_b64 v[10:11], v[20:21], v[10:13], off th:TH_ATOMIC_RETURN scope:SCOPE_DEV
	s_wait_loadcnt 0x0
	v_cmp_eq_u64_e32 vcc_lo, v[10:11], v[12:13]
	v_dual_mov_b32 v13, v11 :: v_dual_mov_b32 v12, v10
	s_or_b32 s41, vcc_lo, s41
	s_delay_alu instid0(SALU_CYCLE_1)
	s_and_not1_b32 exec_lo, exec_lo, s41
	s_cbranch_execnz .LBB107_74
; %bb.75:                               ;   in Loop: Header=BB107_65 Depth=1
	s_or_b32 exec_lo, exec_lo, s41
	global_load_b64 v[10:11], v[20:21], off offset:8
	v_mul_f64_e32 v[8:9], v[8:9], v[2:3]
	s_mov_b32 s41, 0
	s_delay_alu instid0(VALU_DEP_1)
	v_fma_f64 v[6:7], v[4:5], v[6:7], v[8:9]
.LBB107_76:                             ;   Parent Loop BB107_65 Depth=1
                                        ; =>  This Inner Loop Header: Depth=2
	s_wait_loadcnt 0x0
	s_delay_alu instid0(VALU_DEP_1)
	v_add_f64_e32 v[8:9], v[10:11], v[6:7]
	global_atomic_cmpswap_b64 v[8:9], v[20:21], v[8:11], off offset:8 th:TH_ATOMIC_RETURN scope:SCOPE_DEV
	s_wait_loadcnt 0x0
	v_cmp_eq_u64_e32 vcc_lo, v[8:9], v[10:11]
	v_dual_mov_b32 v11, v9 :: v_dual_mov_b32 v10, v8
	s_or_b32 s41, vcc_lo, s41
	s_delay_alu instid0(SALU_CYCLE_1)
	s_and_not1_b32 exec_lo, exec_lo, s41
	s_cbranch_execnz .LBB107_76
; %bb.77:                               ;   in Loop: Header=BB107_65 Depth=1
	s_or_b32 exec_lo, exec_lo, s41
                                        ; implicit-def: $vgpr6_vgpr7
                                        ; implicit-def: $vgpr10
.LBB107_78:                             ;   in Loop: Header=BB107_65 Depth=1
	s_wait_alu 0xfffe
	s_and_not1_saveexec_b32 s0, s0
	s_cbranch_execz .LBB107_63
; %bb.79:                               ;   in Loop: Header=BB107_65 Depth=1
	v_add_co_u32 v2, vcc_lo, s14, v6
	s_wait_alu 0xfffd
	v_add_co_ci_u32_e64 v3, null, s15, v7, vcc_lo
	v_subrev_nc_u32_e32 v12, s12, v16
	s_mov_b32 s41, 0
	global_load_b128 v[6:9], v[2:3], off
	ds_load_b128 v[2:5], v10
	v_lshl_add_u32 v20, v12, 4, 0x4000
	ds_load_b64 v[12:13], v20
	s_wait_dscnt 0x1
	v_xor_b32_e32 v19, 0x80000000, v5
	v_mov_b32_e32 v18, v4
	s_wait_loadcnt 0x0
	v_mul_f64_e64 v[10:11], v[8:9], -v[4:5]
	s_delay_alu instid0(VALU_DEP_1)
	v_fma_f64 v[10:11], v[2:3], v[6:7], v[10:11]
.LBB107_80:                             ;   Parent Loop BB107_65 Depth=1
                                        ; =>  This Inner Loop Header: Depth=2
	s_wait_dscnt 0x0
	s_delay_alu instid0(VALU_DEP_1)
	v_add_f64_e32 v[21:22], v[12:13], v[10:11]
	ds_cmpstore_rtn_b64 v[21:22], v20, v[21:22], v[12:13]
	s_wait_dscnt 0x0
	v_cmp_eq_u64_e32 vcc_lo, v[21:22], v[12:13]
	v_dual_mov_b32 v12, v21 :: v_dual_mov_b32 v13, v22
	s_or_b32 s41, vcc_lo, s41
	s_delay_alu instid0(SALU_CYCLE_1)
	s_and_not1_b32 exec_lo, exec_lo, s41
	s_cbranch_execnz .LBB107_80
; %bb.81:                               ;   in Loop: Header=BB107_65 Depth=1
	s_or_b32 exec_lo, exec_lo, s41
	v_mul_f64_e32 v[8:9], v[8:9], v[2:3]
	s_mov_b32 s41, 0
	s_delay_alu instid0(VALU_DEP_1)
	v_fma_f64 v[6:7], v[4:5], v[6:7], v[8:9]
	ds_load_b64 v[8:9], v20 offset:8
.LBB107_82:                             ;   Parent Loop BB107_65 Depth=1
                                        ; =>  This Inner Loop Header: Depth=2
	s_wait_dscnt 0x0
	v_add_f64_e32 v[10:11], v[8:9], v[6:7]
	ds_cmpstore_rtn_b64 v[10:11], v20, v[10:11], v[8:9] offset:8
	s_wait_dscnt 0x0
	v_cmp_eq_u64_e32 vcc_lo, v[10:11], v[8:9]
	v_dual_mov_b32 v8, v10 :: v_dual_mov_b32 v9, v11
	s_or_b32 s41, vcc_lo, s41
	s_delay_alu instid0(SALU_CYCLE_1)
	s_and_not1_b32 exec_lo, exec_lo, s41
	s_cbranch_execnz .LBB107_82
; %bb.83:                               ;   in Loop: Header=BB107_65 Depth=1
	s_or_b32 exec_lo, exec_lo, s41
	s_branch .LBB107_63
.LBB107_84:
	s_or_b32 exec_lo, exec_lo, s29
                                        ; implicit-def: $vgpr16_vgpr17
                                        ; implicit-def: $vgpr14
                                        ; implicit-def: $vgpr6_vgpr7
.LBB107_85:
	s_wait_alu 0xfffe
	s_and_not1_saveexec_b32 s1, s7
	s_cbranch_execz .LBB107_159
; %bb.86:
	s_add_nc_u64 s[30:31], s[18:19], -1
	s_add_nc_u64 s[34:35], s[18:19], -2
	v_dual_mov_b32 v2, s16 :: v_dual_mov_b32 v3, s17
	s_wait_alu 0xfffe
	v_dual_mov_b32 v4, s30 :: v_dual_mov_b32 v5, s31
	s_cmp_lg_u64 s[16:17], s[34:35]
	s_cselect_b32 s7, -1, 0
	s_cmp_eq_u64 s[16:17], s[34:35]
	s_cbranch_scc1 .LBB107_90
; %bb.87:
	v_dual_mov_b32 v2, s16 :: v_dual_mov_b32 v3, s17
	v_dual_mov_b32 v4, s30 :: v_dual_mov_b32 v5, s31
	s_mov_b32 s29, 0
.LBB107_88:                             ; =>This Inner Loop Header: Depth=1
	s_delay_alu instid0(VALU_DEP_1) | instskip(SKIP_1) | instid1(VALU_DEP_2)
	v_add_co_u32 v8, vcc_lo, v4, v2
	s_wait_alu 0xfffd
	v_add_co_ci_u32_e64 v9, null, v5, v3, vcc_lo
	s_delay_alu instid0(VALU_DEP_1) | instskip(NEXT) | instid1(VALU_DEP_1)
	v_lshrrev_b32_e32 v10, 31, v9
	v_add_co_u32 v8, vcc_lo, v8, v10
	s_wait_alu 0xfffd
	v_add_co_ci_u32_e64 v9, null, 0, v9, vcc_lo
	s_delay_alu instid0(VALU_DEP_1) | instskip(NEXT) | instid1(VALU_DEP_1)
	v_ashrrev_i64 v[8:9], 1, v[8:9]
	v_lshlrev_b64_e32 v[10:11], 3, v[8:9]
	s_delay_alu instid0(VALU_DEP_1) | instskip(SKIP_1) | instid1(VALU_DEP_2)
	v_add_co_u32 v10, vcc_lo, s8, v10
	s_wait_alu 0xfffd
	v_add_co_ci_u32_e64 v11, null, s9, v11, vcc_lo
	global_load_b64 v[10:11], v[10:11], off
	s_wait_loadcnt 0x0
	v_sub_co_u32 v10, vcc_lo, v10, s24
	s_wait_alu 0xfffd
	v_subrev_co_ci_u32_e64 v11, null, 0, v11, vcc_lo
	s_delay_alu instid0(VALU_DEP_1) | instskip(SKIP_3) | instid1(VALU_DEP_2)
	v_cmp_lt_i64_e32 vcc_lo, v[14:15], v[10:11]
	s_wait_alu 0xfffd
	v_dual_cndmask_b32 v5, v5, v9 :: v_dual_cndmask_b32 v4, v4, v8
	v_dual_cndmask_b32 v3, v9, v3 :: v_dual_cndmask_b32 v2, v8, v2
	v_add_co_u32 v8, vcc_lo, v4, -1
	s_wait_alu 0xfffd
	s_delay_alu instid0(VALU_DEP_3) | instskip(NEXT) | instid1(VALU_DEP_3)
	v_add_co_ci_u32_e64 v9, null, -1, v5, vcc_lo
	v_cmp_ge_i64_e32 vcc_lo, v[2:3], v[4:5]
	s_delay_alu instid0(VALU_DEP_2)
	v_cmp_eq_u64_e64 s0, v[2:3], v[8:9]
	s_or_b32 s0, vcc_lo, s0
	s_wait_alu 0xfffe
	s_and_b32 s0, exec_lo, s0
	s_wait_alu 0xfffe
	s_or_b32 s29, s0, s29
	s_wait_alu 0xfffe
	s_and_not1_b32 exec_lo, exec_lo, s29
	s_cbranch_execnz .LBB107_88
; %bb.89:
	s_or_b32 exec_lo, exec_lo, s29
.LBB107_90:
	v_lshlrev_b64_e32 v[8:9], 3, v[4:5]
	s_mov_b32 s29, exec_lo
	s_delay_alu instid0(VALU_DEP_1) | instskip(SKIP_1) | instid1(VALU_DEP_2)
	v_add_co_u32 v8, vcc_lo, s8, v8
	s_wait_alu 0xfffd
	v_add_co_ci_u32_e64 v9, null, s9, v9, vcc_lo
	v_add_co_u32 v18, vcc_lo, s10, v6
	s_wait_alu 0xfffd
	v_add_co_ci_u32_e64 v19, null, s11, v7, vcc_lo
	global_load_b64 v[8:9], v[8:9], off
	s_lshl_b64 s[10:11], s[18:19], 3
	global_load_b64 v[6:7], v[18:19], off
	s_wait_alu 0xfffe
	s_add_nc_u64 s[10:11], s[8:9], s[10:11]
	s_wait_loadcnt 0x1
	v_sub_co_u32 v8, vcc_lo, v8, s24
	s_wait_alu 0xfffd
	v_subrev_co_ci_u32_e64 v9, null, 0, v9, vcc_lo
	s_delay_alu instid0(VALU_DEP_1)
	v_cmp_lt_i64_e32 vcc_lo, v[14:15], v[8:9]
	s_wait_alu 0xfffd
	v_dual_cndmask_b32 v3, v5, v3 :: v_dual_cndmask_b32 v2, v4, v2
	s_wait_loadcnt 0x0
	v_sub_co_u32 v20, vcc_lo, v6, s24
	s_wait_alu 0xfffd
	v_subrev_co_ci_u32_e64 v21, null, 0, v7, vcc_lo
	s_delay_alu instid0(VALU_DEP_1)
	v_cmpx_ne_u64_e64 v[20:21], v[2:3]
	s_cbranch_execz .LBB107_104
; %bb.91:
	s_load_b64 s[34:35], s[10:11], 0x0
	s_wait_kmcnt 0x0
	s_sub_nc_u64 s[34:35], s[34:35], s[24:25]
	s_wait_alu 0xfffe
	v_cmp_gt_i64_e32 vcc_lo, s[34:35], v[14:15]
	s_and_b32 exec_lo, exec_lo, vcc_lo
	s_cbranch_execz .LBB107_104
; %bb.92:
	v_cmp_gt_i64_e32 vcc_lo, s[12:13], v[20:21]
	v_cmp_le_i64_e64 s0, s[18:19], v[20:21]
	v_lshlrev_b64_e32 v[2:3], 4, v[2:3]
	s_or_b32 s0, vcc_lo, s0
	s_wait_alu 0xfffe
	s_and_saveexec_b32 s33, s0
	s_delay_alu instid0(SALU_CYCLE_1)
	s_xor_b32 s0, exec_lo, s33
	s_cbranch_execz .LBB107_98
; %bb.93:
	v_add_co_u32 v2, vcc_lo, s14, v2
	s_wait_alu 0xfffd
	v_add_co_ci_u32_e64 v3, null, s15, v3, vcc_lo
	v_lshlrev_b64_e32 v[6:7], 4, v[20:21]
	s_mov_b32 s33, 0
	global_load_b128 v[2:5], v[2:3], off
	v_add_co_u32 v22, vcc_lo, s20, v6
	s_wait_alu 0xfffd
	v_add_co_ci_u32_e64 v23, null, s21, v7, vcc_lo
	ds_load_b128 v[6:9], v28
	global_load_b64 v[12:13], v[22:23], off
	s_wait_loadcnt_dscnt 0x100
	v_mul_f64_e64 v[10:11], v[4:5], -v[8:9]
	s_delay_alu instid0(VALU_DEP_1)
	v_fma_f64 v[24:25], v[6:7], v[2:3], v[10:11]
.LBB107_94:                             ; =>This Inner Loop Header: Depth=1
	s_wait_loadcnt 0x0
	s_delay_alu instid0(VALU_DEP_1)
	v_add_f64_e32 v[10:11], v[12:13], v[24:25]
	global_atomic_cmpswap_b64 v[10:11], v[22:23], v[10:13], off th:TH_ATOMIC_RETURN scope:SCOPE_DEV
	s_wait_loadcnt 0x0
	v_cmp_eq_u64_e32 vcc_lo, v[10:11], v[12:13]
	v_dual_mov_b32 v13, v11 :: v_dual_mov_b32 v12, v10
	s_or_b32 s33, vcc_lo, s33
	s_delay_alu instid0(SALU_CYCLE_1)
	s_and_not1_b32 exec_lo, exec_lo, s33
	s_cbranch_execnz .LBB107_94
; %bb.95:
	s_or_b32 exec_lo, exec_lo, s33
	global_load_b64 v[10:11], v[22:23], off offset:8
	v_mul_f64_e32 v[4:5], v[4:5], v[6:7]
	s_mov_b32 s33, 0
	s_delay_alu instid0(VALU_DEP_1)
	v_fma_f64 v[2:3], v[8:9], v[2:3], v[4:5]
.LBB107_96:                             ; =>This Inner Loop Header: Depth=1
	s_wait_loadcnt 0x0
	s_delay_alu instid0(VALU_DEP_1)
	v_add_f64_e32 v[8:9], v[10:11], v[2:3]
	global_atomic_cmpswap_b64 v[4:5], v[22:23], v[8:11], off offset:8 th:TH_ATOMIC_RETURN scope:SCOPE_DEV
	s_wait_loadcnt 0x0
	v_cmp_eq_u64_e32 vcc_lo, v[4:5], v[10:11]
	v_dual_mov_b32 v11, v5 :: v_dual_mov_b32 v10, v4
	s_or_b32 s33, vcc_lo, s33
	s_delay_alu instid0(SALU_CYCLE_1)
	s_and_not1_b32 exec_lo, exec_lo, s33
	s_cbranch_execnz .LBB107_96
; %bb.97:
	s_or_b32 exec_lo, exec_lo, s33
                                        ; implicit-def: $vgpr2_vgpr3
.LBB107_98:
	s_wait_alu 0xfffe
	s_and_not1_saveexec_b32 s0, s0
	s_cbranch_execz .LBB107_104
; %bb.99:
	v_add_co_u32 v2, vcc_lo, s14, v2
	s_wait_alu 0xfffd
	v_add_co_ci_u32_e64 v3, null, s15, v3, vcc_lo
	ds_load_b128 v[6:9], v28
	v_subrev_nc_u32_e32 v12, s12, v20
	s_mov_b32 s0, 0
	global_load_b128 v[2:5], v[2:3], off
	v_lshl_add_u32 v22, v12, 4, 0x4000
	ds_load_b64 v[12:13], v22
	s_wait_loadcnt_dscnt 0x1
	v_mul_f64_e64 v[10:11], v[4:5], -v[8:9]
	s_delay_alu instid0(VALU_DEP_1)
	v_fma_f64 v[10:11], v[6:7], v[2:3], v[10:11]
.LBB107_100:                            ; =>This Inner Loop Header: Depth=1
	s_wait_dscnt 0x0
	s_delay_alu instid0(VALU_DEP_1)
	v_add_f64_e32 v[23:24], v[12:13], v[10:11]
	ds_cmpstore_rtn_b64 v[23:24], v22, v[23:24], v[12:13]
	s_wait_dscnt 0x0
	v_cmp_eq_u64_e32 vcc_lo, v[23:24], v[12:13]
	v_dual_mov_b32 v12, v23 :: v_dual_mov_b32 v13, v24
	s_wait_alu 0xfffe
	s_or_b32 s0, vcc_lo, s0
	s_wait_alu 0xfffe
	s_and_not1_b32 exec_lo, exec_lo, s0
	s_cbranch_execnz .LBB107_100
; %bb.101:
	s_or_b32 exec_lo, exec_lo, s0
	v_mul_f64_e32 v[4:5], v[4:5], v[6:7]
	s_mov_b32 s0, 0
	s_delay_alu instid0(VALU_DEP_1)
	v_fma_f64 v[2:3], v[8:9], v[2:3], v[4:5]
	ds_load_b64 v[4:5], v22 offset:8
.LBB107_102:                            ; =>This Inner Loop Header: Depth=1
	s_wait_dscnt 0x0
	v_add_f64_e32 v[6:7], v[4:5], v[2:3]
	ds_cmpstore_rtn_b64 v[6:7], v22, v[6:7], v[4:5] offset:8
	s_wait_dscnt 0x0
	v_cmp_eq_u64_e32 vcc_lo, v[6:7], v[4:5]
	v_dual_mov_b32 v4, v6 :: v_dual_mov_b32 v5, v7
	s_wait_alu 0xfffe
	s_or_b32 s0, vcc_lo, s0
	s_wait_alu 0xfffe
	s_and_not1_b32 exec_lo, exec_lo, s0
	s_cbranch_execnz .LBB107_102
; %bb.103:
	s_or_b32 exec_lo, exec_lo, s0
.LBB107_104:
	s_delay_alu instid0(SALU_CYCLE_1)
	s_or_b32 exec_lo, exec_lo, s29
	v_lshlrev_b64_e32 v[2:3], 4, v[20:21]
	ds_load_b128 v[6:9], v28
	v_cndmask_b32_e64 v26, 0, 1, s7
	v_add_co_u32 v2, vcc_lo, s14, v2
	s_wait_alu 0xfffd
	v_add_co_ci_u32_e64 v3, null, s15, v3, vcc_lo
	global_load_b128 v[2:5], v[2:3], off
	s_wait_loadcnt_dscnt 0x0
	v_mul_f64_e64 v[10:11], v[4:5], -v[8:9]
	v_mul_f64_e32 v[4:5], v[4:5], v[6:7]
	s_delay_alu instid0(VALU_DEP_2) | instskip(NEXT) | instid1(VALU_DEP_2)
	v_fma_f64 v[10:11], v[6:7], v[2:3], v[10:11]
	v_fma_f64 v[12:13], v[8:9], v[2:3], v[4:5]
	v_add_co_u32 v2, vcc_lo, 0x100, v14
	s_wait_alu 0xfffd
	v_add_co_ci_u32_e64 v3, null, 0, v15, vcc_lo
	v_dual_mov_b32 v4, s16 :: v_dual_mov_b32 v5, s17
	v_dual_mov_b32 v6, s30 :: v_dual_mov_b32 v7, s31
	s_and_not1_b32 vcc_lo, exec_lo, s7
	ds_store_b128 v28, v[10:13]
	s_wait_alu 0xfffe
	s_cbranch_vccnz .LBB107_108
; %bb.105:
	v_dual_mov_b32 v4, s16 :: v_dual_mov_b32 v5, s17
	v_dual_mov_b32 v6, s30 :: v_dual_mov_b32 v7, s31
	s_mov_b32 s7, 0
.LBB107_106:                            ; =>This Inner Loop Header: Depth=1
	s_delay_alu instid0(VALU_DEP_1) | instskip(SKIP_1) | instid1(VALU_DEP_2)
	v_add_co_u32 v8, vcc_lo, v6, v4
	s_wait_alu 0xfffd
	v_add_co_ci_u32_e64 v9, null, v7, v5, vcc_lo
	s_delay_alu instid0(VALU_DEP_1) | instskip(NEXT) | instid1(VALU_DEP_1)
	v_lshrrev_b32_e32 v10, 31, v9
	v_add_co_u32 v8, vcc_lo, v8, v10
	s_wait_alu 0xfffd
	v_add_co_ci_u32_e64 v9, null, 0, v9, vcc_lo
	s_delay_alu instid0(VALU_DEP_1) | instskip(NEXT) | instid1(VALU_DEP_1)
	v_ashrrev_i64 v[8:9], 1, v[8:9]
	v_lshlrev_b64_e32 v[10:11], 3, v[8:9]
	s_delay_alu instid0(VALU_DEP_1) | instskip(SKIP_1) | instid1(VALU_DEP_2)
	v_add_co_u32 v10, vcc_lo, s8, v10
	s_wait_alu 0xfffd
	v_add_co_ci_u32_e64 v11, null, s9, v11, vcc_lo
	global_load_b64 v[10:11], v[10:11], off
	s_wait_loadcnt 0x0
	v_sub_co_u32 v10, vcc_lo, v10, s24
	s_wait_alu 0xfffd
	v_subrev_co_ci_u32_e64 v11, null, 0, v11, vcc_lo
	s_delay_alu instid0(VALU_DEP_1) | instskip(SKIP_3) | instid1(VALU_DEP_2)
	v_cmp_lt_i64_e32 vcc_lo, v[2:3], v[10:11]
	s_wait_alu 0xfffd
	v_dual_cndmask_b32 v7, v7, v9 :: v_dual_cndmask_b32 v6, v6, v8
	v_dual_cndmask_b32 v5, v9, v5 :: v_dual_cndmask_b32 v4, v8, v4
	v_add_co_u32 v8, vcc_lo, v6, -1
	s_wait_alu 0xfffd
	s_delay_alu instid0(VALU_DEP_3) | instskip(NEXT) | instid1(VALU_DEP_3)
	v_add_co_ci_u32_e64 v9, null, -1, v7, vcc_lo
	v_cmp_ge_i64_e32 vcc_lo, v[4:5], v[6:7]
	s_delay_alu instid0(VALU_DEP_2)
	v_cmp_eq_u64_e64 s0, v[4:5], v[8:9]
	s_or_b32 s0, vcc_lo, s0
	s_wait_alu 0xfffe
	s_and_b32 s0, exec_lo, s0
	s_wait_alu 0xfffe
	s_or_b32 s7, s0, s7
	s_wait_alu 0xfffe
	s_and_not1_b32 exec_lo, exec_lo, s7
	s_cbranch_execnz .LBB107_106
; %bb.107:
	s_or_b32 exec_lo, exec_lo, s7
.LBB107_108:
	v_lshlrev_b64_e32 v[8:9], 3, v[6:7]
	s_mov_b32 s7, exec_lo
	s_delay_alu instid0(VALU_DEP_1) | instskip(SKIP_1) | instid1(VALU_DEP_2)
	v_add_co_u32 v8, vcc_lo, s8, v8
	s_wait_alu 0xfffd
	v_add_co_ci_u32_e64 v9, null, s9, v9, vcc_lo
	global_load_b64 v[8:9], v[8:9], off
	global_load_b64 v[10:11], v[18:19], off offset:2048
	s_wait_loadcnt 0x1
	v_sub_co_u32 v8, vcc_lo, v8, s24
	s_wait_alu 0xfffd
	v_subrev_co_ci_u32_e64 v9, null, 0, v9, vcc_lo
	s_delay_alu instid0(VALU_DEP_1)
	v_cmp_lt_i64_e32 vcc_lo, v[2:3], v[8:9]
	s_wait_alu 0xfffd
	v_dual_cndmask_b32 v5, v7, v5 :: v_dual_cndmask_b32 v4, v6, v4
	s_wait_loadcnt 0x0
	v_sub_co_u32 v20, vcc_lo, v10, s24
	s_wait_alu 0xfffd
	v_subrev_co_ci_u32_e64 v21, null, 0, v11, vcc_lo
	s_delay_alu instid0(VALU_DEP_1)
	v_cmpx_ne_u64_e64 v[20:21], v[4:5]
	s_cbranch_execz .LBB107_122
; %bb.109:
	s_load_b64 s[34:35], s[10:11], 0x0
	s_wait_kmcnt 0x0
	s_sub_nc_u64 s[34:35], s[34:35], s[24:25]
	s_wait_alu 0xfffe
	v_cmp_gt_i64_e32 vcc_lo, s[34:35], v[2:3]
	s_and_b32 exec_lo, exec_lo, vcc_lo
	s_cbranch_execz .LBB107_122
; %bb.110:
	v_cmp_gt_i64_e32 vcc_lo, s[12:13], v[20:21]
	v_cmp_le_i64_e64 s0, s[18:19], v[20:21]
	v_lshlrev_b64_e32 v[2:3], 4, v[4:5]
	s_or_b32 s0, vcc_lo, s0
	s_wait_alu 0xfffe
	s_and_saveexec_b32 s29, s0
	s_wait_alu 0xfffe
	s_xor_b32 s0, exec_lo, s29
	s_cbranch_execz .LBB107_116
; %bb.111:
	v_add_co_u32 v2, vcc_lo, s14, v2
	s_wait_alu 0xfffd
	v_add_co_ci_u32_e64 v3, null, s15, v3, vcc_lo
	v_lshlrev_b64_e32 v[6:7], 4, v[20:21]
	s_mov_b32 s29, 0
	global_load_b128 v[2:5], v[2:3], off
	v_add_co_u32 v22, vcc_lo, s20, v6
	s_wait_alu 0xfffd
	v_add_co_ci_u32_e64 v23, null, s21, v7, vcc_lo
	ds_load_b128 v[6:9], v28 offset:4096
	global_load_b64 v[12:13], v[22:23], off
	s_wait_loadcnt_dscnt 0x100
	v_mul_f64_e64 v[10:11], v[4:5], -v[8:9]
	s_delay_alu instid0(VALU_DEP_1)
	v_fma_f64 v[24:25], v[6:7], v[2:3], v[10:11]
.LBB107_112:                            ; =>This Inner Loop Header: Depth=1
	s_wait_loadcnt 0x0
	s_delay_alu instid0(VALU_DEP_1)
	v_add_f64_e32 v[10:11], v[12:13], v[24:25]
	global_atomic_cmpswap_b64 v[10:11], v[22:23], v[10:13], off th:TH_ATOMIC_RETURN scope:SCOPE_DEV
	s_wait_loadcnt 0x0
	v_cmp_eq_u64_e32 vcc_lo, v[10:11], v[12:13]
	v_dual_mov_b32 v13, v11 :: v_dual_mov_b32 v12, v10
	s_wait_alu 0xfffe
	s_or_b32 s29, vcc_lo, s29
	s_wait_alu 0xfffe
	s_and_not1_b32 exec_lo, exec_lo, s29
	s_cbranch_execnz .LBB107_112
; %bb.113:
	s_or_b32 exec_lo, exec_lo, s29
	global_load_b64 v[10:11], v[22:23], off offset:8
	v_mul_f64_e32 v[4:5], v[4:5], v[6:7]
	s_mov_b32 s29, 0
	s_delay_alu instid0(VALU_DEP_1)
	v_fma_f64 v[2:3], v[8:9], v[2:3], v[4:5]
.LBB107_114:                            ; =>This Inner Loop Header: Depth=1
	s_wait_loadcnt 0x0
	s_delay_alu instid0(VALU_DEP_1)
	v_add_f64_e32 v[8:9], v[10:11], v[2:3]
	global_atomic_cmpswap_b64 v[4:5], v[22:23], v[8:11], off offset:8 th:TH_ATOMIC_RETURN scope:SCOPE_DEV
	s_wait_loadcnt 0x0
	v_cmp_eq_u64_e32 vcc_lo, v[4:5], v[10:11]
	v_dual_mov_b32 v11, v5 :: v_dual_mov_b32 v10, v4
	s_wait_alu 0xfffe
	s_or_b32 s29, vcc_lo, s29
	s_wait_alu 0xfffe
	s_and_not1_b32 exec_lo, exec_lo, s29
	s_cbranch_execnz .LBB107_114
; %bb.115:
	s_or_b32 exec_lo, exec_lo, s29
                                        ; implicit-def: $vgpr2_vgpr3
.LBB107_116:
	s_wait_alu 0xfffe
	s_and_not1_saveexec_b32 s0, s0
	s_cbranch_execz .LBB107_122
; %bb.117:
	v_add_co_u32 v2, vcc_lo, s14, v2
	s_wait_alu 0xfffd
	v_add_co_ci_u32_e64 v3, null, s15, v3, vcc_lo
	ds_load_b128 v[6:9], v28 offset:4096
	v_subrev_nc_u32_e32 v12, s12, v20
	s_mov_b32 s0, 0
	global_load_b128 v[2:5], v[2:3], off
	v_lshl_add_u32 v22, v12, 4, 0x4000
	ds_load_b64 v[12:13], v22
	s_wait_loadcnt_dscnt 0x1
	v_mul_f64_e64 v[10:11], v[4:5], -v[8:9]
	s_delay_alu instid0(VALU_DEP_1)
	v_fma_f64 v[10:11], v[6:7], v[2:3], v[10:11]
.LBB107_118:                            ; =>This Inner Loop Header: Depth=1
	s_wait_dscnt 0x0
	s_delay_alu instid0(VALU_DEP_1)
	v_add_f64_e32 v[23:24], v[12:13], v[10:11]
	ds_cmpstore_rtn_b64 v[23:24], v22, v[23:24], v[12:13]
	s_wait_dscnt 0x0
	v_cmp_eq_u64_e32 vcc_lo, v[23:24], v[12:13]
	v_dual_mov_b32 v12, v23 :: v_dual_mov_b32 v13, v24
	s_wait_alu 0xfffe
	s_or_b32 s0, vcc_lo, s0
	s_wait_alu 0xfffe
	s_and_not1_b32 exec_lo, exec_lo, s0
	s_cbranch_execnz .LBB107_118
; %bb.119:
	s_or_b32 exec_lo, exec_lo, s0
	v_mul_f64_e32 v[4:5], v[4:5], v[6:7]
	s_mov_b32 s0, 0
	s_delay_alu instid0(VALU_DEP_1)
	v_fma_f64 v[2:3], v[8:9], v[2:3], v[4:5]
	ds_load_b64 v[4:5], v22 offset:8
.LBB107_120:                            ; =>This Inner Loop Header: Depth=1
	s_wait_dscnt 0x0
	v_add_f64_e32 v[6:7], v[4:5], v[2:3]
	ds_cmpstore_rtn_b64 v[6:7], v22, v[6:7], v[4:5] offset:8
	s_wait_dscnt 0x0
	v_cmp_eq_u64_e32 vcc_lo, v[6:7], v[4:5]
	v_dual_mov_b32 v4, v6 :: v_dual_mov_b32 v5, v7
	s_wait_alu 0xfffe
	s_or_b32 s0, vcc_lo, s0
	s_wait_alu 0xfffe
	s_and_not1_b32 exec_lo, exec_lo, s0
	s_cbranch_execnz .LBB107_120
; %bb.121:
	s_or_b32 exec_lo, exec_lo, s0
.LBB107_122:
	s_wait_alu 0xfffe
	s_or_b32 exec_lo, exec_lo, s7
	v_lshlrev_b64_e32 v[2:3], 4, v[20:21]
	ds_load_b128 v[6:9], v28 offset:4096
	v_add_co_u32 v2, vcc_lo, s14, v2
	s_wait_alu 0xfffd
	v_add_co_ci_u32_e64 v3, null, s15, v3, vcc_lo
	v_cmp_ne_u32_e32 vcc_lo, 1, v26
	global_load_b128 v[2:5], v[2:3], off
	s_and_b32 vcc_lo, exec_lo, vcc_lo
	s_wait_loadcnt_dscnt 0x0
	v_mul_f64_e64 v[10:11], v[4:5], -v[8:9]
	v_mul_f64_e32 v[4:5], v[4:5], v[6:7]
	s_delay_alu instid0(VALU_DEP_2) | instskip(NEXT) | instid1(VALU_DEP_2)
	v_fma_f64 v[10:11], v[6:7], v[2:3], v[10:11]
	v_fma_f64 v[12:13], v[8:9], v[2:3], v[4:5]
	v_add_co_u32 v2, s0, 0x200, v14
	s_wait_alu 0xf1ff
	v_add_co_ci_u32_e64 v3, null, 0, v15, s0
	v_dual_mov_b32 v4, s16 :: v_dual_mov_b32 v5, s17
	v_dual_mov_b32 v6, s30 :: v_dual_mov_b32 v7, s31
	ds_store_b128 v28, v[10:13] offset:4096
	s_wait_alu 0xfffe
	s_cbranch_vccnz .LBB107_126
; %bb.123:
	v_dual_mov_b32 v4, s16 :: v_dual_mov_b32 v5, s17
	v_dual_mov_b32 v6, s30 :: v_dual_mov_b32 v7, s31
	s_mov_b32 s7, 0
.LBB107_124:                            ; =>This Inner Loop Header: Depth=1
	s_delay_alu instid0(VALU_DEP_1) | instskip(SKIP_1) | instid1(VALU_DEP_2)
	v_add_co_u32 v8, vcc_lo, v6, v4
	s_wait_alu 0xfffd
	v_add_co_ci_u32_e64 v9, null, v7, v5, vcc_lo
	s_delay_alu instid0(VALU_DEP_1) | instskip(NEXT) | instid1(VALU_DEP_1)
	v_lshrrev_b32_e32 v10, 31, v9
	v_add_co_u32 v8, vcc_lo, v8, v10
	s_wait_alu 0xfffd
	v_add_co_ci_u32_e64 v9, null, 0, v9, vcc_lo
	s_delay_alu instid0(VALU_DEP_1) | instskip(NEXT) | instid1(VALU_DEP_1)
	v_ashrrev_i64 v[8:9], 1, v[8:9]
	v_lshlrev_b64_e32 v[10:11], 3, v[8:9]
	s_delay_alu instid0(VALU_DEP_1) | instskip(SKIP_1) | instid1(VALU_DEP_2)
	v_add_co_u32 v10, vcc_lo, s8, v10
	s_wait_alu 0xfffd
	v_add_co_ci_u32_e64 v11, null, s9, v11, vcc_lo
	global_load_b64 v[10:11], v[10:11], off
	s_wait_loadcnt 0x0
	v_sub_co_u32 v10, vcc_lo, v10, s24
	s_wait_alu 0xfffd
	v_subrev_co_ci_u32_e64 v11, null, 0, v11, vcc_lo
	s_delay_alu instid0(VALU_DEP_1) | instskip(SKIP_3) | instid1(VALU_DEP_2)
	v_cmp_lt_i64_e32 vcc_lo, v[2:3], v[10:11]
	s_wait_alu 0xfffd
	v_dual_cndmask_b32 v7, v7, v9 :: v_dual_cndmask_b32 v6, v6, v8
	v_dual_cndmask_b32 v5, v9, v5 :: v_dual_cndmask_b32 v4, v8, v4
	v_add_co_u32 v8, vcc_lo, v6, -1
	s_wait_alu 0xfffd
	s_delay_alu instid0(VALU_DEP_3) | instskip(NEXT) | instid1(VALU_DEP_3)
	v_add_co_ci_u32_e64 v9, null, -1, v7, vcc_lo
	v_cmp_ge_i64_e32 vcc_lo, v[4:5], v[6:7]
	s_delay_alu instid0(VALU_DEP_2)
	v_cmp_eq_u64_e64 s0, v[4:5], v[8:9]
	s_or_b32 s0, vcc_lo, s0
	s_wait_alu 0xfffe
	s_and_b32 s0, exec_lo, s0
	s_wait_alu 0xfffe
	s_or_b32 s7, s0, s7
	s_wait_alu 0xfffe
	s_and_not1_b32 exec_lo, exec_lo, s7
	s_cbranch_execnz .LBB107_124
; %bb.125:
	s_or_b32 exec_lo, exec_lo, s7
.LBB107_126:
	v_lshlrev_b64_e32 v[8:9], 3, v[6:7]
	s_mov_b32 s7, exec_lo
	s_delay_alu instid0(VALU_DEP_1) | instskip(SKIP_1) | instid1(VALU_DEP_2)
	v_add_co_u32 v8, vcc_lo, s8, v8
	s_wait_alu 0xfffd
	v_add_co_ci_u32_e64 v9, null, s9, v9, vcc_lo
	global_load_b64 v[8:9], v[8:9], off
	global_load_b64 v[10:11], v[18:19], off offset:4096
	s_wait_loadcnt 0x1
	v_sub_co_u32 v8, vcc_lo, v8, s24
	s_wait_alu 0xfffd
	v_subrev_co_ci_u32_e64 v9, null, 0, v9, vcc_lo
	s_delay_alu instid0(VALU_DEP_1)
	v_cmp_lt_i64_e32 vcc_lo, v[2:3], v[8:9]
	s_wait_alu 0xfffd
	v_dual_cndmask_b32 v5, v7, v5 :: v_dual_cndmask_b32 v4, v6, v4
	s_wait_loadcnt 0x0
	v_sub_co_u32 v14, vcc_lo, v10, s24
	s_wait_alu 0xfffd
	v_subrev_co_ci_u32_e64 v15, null, 0, v11, vcc_lo
	s_delay_alu instid0(VALU_DEP_1)
	v_cmpx_ne_u64_e64 v[14:15], v[4:5]
	s_cbranch_execz .LBB107_140
; %bb.127:
	s_load_b64 s[34:35], s[10:11], 0x0
	s_wait_kmcnt 0x0
	s_sub_nc_u64 s[34:35], s[34:35], s[24:25]
	s_wait_alu 0xfffe
	v_cmp_gt_i64_e32 vcc_lo, s[34:35], v[2:3]
	s_and_b32 exec_lo, exec_lo, vcc_lo
	s_cbranch_execz .LBB107_140
; %bb.128:
	v_cmp_gt_i64_e32 vcc_lo, s[12:13], v[14:15]
	v_cmp_le_i64_e64 s0, s[18:19], v[14:15]
	v_lshlrev_b64_e32 v[2:3], 4, v[4:5]
	s_or_b32 s0, vcc_lo, s0
	s_wait_alu 0xfffe
	s_and_saveexec_b32 s29, s0
	s_wait_alu 0xfffe
	s_xor_b32 s0, exec_lo, s29
	s_cbranch_execz .LBB107_134
; %bb.129:
	v_add_co_u32 v2, vcc_lo, s14, v2
	s_wait_alu 0xfffd
	v_add_co_ci_u32_e64 v3, null, s15, v3, vcc_lo
	v_lshlrev_b64_e32 v[6:7], 4, v[14:15]
	s_mov_b32 s29, 0
	global_load_b128 v[2:5], v[2:3], off
	v_add_co_u32 v20, vcc_lo, s20, v6
	s_wait_alu 0xfffd
	v_add_co_ci_u32_e64 v21, null, s21, v7, vcc_lo
	ds_load_b128 v[6:9], v28 offset:8192
	global_load_b64 v[12:13], v[20:21], off
	s_wait_loadcnt_dscnt 0x100
	v_mul_f64_e64 v[10:11], v[4:5], -v[8:9]
	s_delay_alu instid0(VALU_DEP_1)
	v_fma_f64 v[22:23], v[6:7], v[2:3], v[10:11]
.LBB107_130:                            ; =>This Inner Loop Header: Depth=1
	s_wait_loadcnt 0x0
	s_delay_alu instid0(VALU_DEP_1)
	v_add_f64_e32 v[10:11], v[12:13], v[22:23]
	global_atomic_cmpswap_b64 v[10:11], v[20:21], v[10:13], off th:TH_ATOMIC_RETURN scope:SCOPE_DEV
	s_wait_loadcnt 0x0
	v_cmp_eq_u64_e32 vcc_lo, v[10:11], v[12:13]
	v_dual_mov_b32 v13, v11 :: v_dual_mov_b32 v12, v10
	s_wait_alu 0xfffe
	s_or_b32 s29, vcc_lo, s29
	s_wait_alu 0xfffe
	s_and_not1_b32 exec_lo, exec_lo, s29
	s_cbranch_execnz .LBB107_130
; %bb.131:
	s_or_b32 exec_lo, exec_lo, s29
	global_load_b64 v[10:11], v[20:21], off offset:8
	v_mul_f64_e32 v[4:5], v[4:5], v[6:7]
	s_mov_b32 s29, 0
	s_delay_alu instid0(VALU_DEP_1)
	v_fma_f64 v[2:3], v[8:9], v[2:3], v[4:5]
.LBB107_132:                            ; =>This Inner Loop Header: Depth=1
	s_wait_loadcnt 0x0
	s_delay_alu instid0(VALU_DEP_1)
	v_add_f64_e32 v[8:9], v[10:11], v[2:3]
	global_atomic_cmpswap_b64 v[4:5], v[20:21], v[8:11], off offset:8 th:TH_ATOMIC_RETURN scope:SCOPE_DEV
	s_wait_loadcnt 0x0
	v_cmp_eq_u64_e32 vcc_lo, v[4:5], v[10:11]
	v_dual_mov_b32 v11, v5 :: v_dual_mov_b32 v10, v4
	s_wait_alu 0xfffe
	s_or_b32 s29, vcc_lo, s29
	s_wait_alu 0xfffe
	s_and_not1_b32 exec_lo, exec_lo, s29
	s_cbranch_execnz .LBB107_132
; %bb.133:
	s_or_b32 exec_lo, exec_lo, s29
                                        ; implicit-def: $vgpr2_vgpr3
.LBB107_134:
	s_wait_alu 0xfffe
	s_and_not1_saveexec_b32 s0, s0
	s_cbranch_execz .LBB107_140
; %bb.135:
	v_add_co_u32 v2, vcc_lo, s14, v2
	s_wait_alu 0xfffd
	v_add_co_ci_u32_e64 v3, null, s15, v3, vcc_lo
	ds_load_b128 v[6:9], v28 offset:8192
	v_subrev_nc_u32_e32 v12, s12, v14
	s_mov_b32 s0, 0
	global_load_b128 v[2:5], v[2:3], off
	v_lshl_add_u32 v20, v12, 4, 0x4000
	ds_load_b64 v[12:13], v20
	s_wait_loadcnt_dscnt 0x1
	v_mul_f64_e64 v[10:11], v[4:5], -v[8:9]
	s_delay_alu instid0(VALU_DEP_1)
	v_fma_f64 v[10:11], v[6:7], v[2:3], v[10:11]
.LBB107_136:                            ; =>This Inner Loop Header: Depth=1
	s_wait_dscnt 0x0
	s_delay_alu instid0(VALU_DEP_1)
	v_add_f64_e32 v[21:22], v[12:13], v[10:11]
	ds_cmpstore_rtn_b64 v[21:22], v20, v[21:22], v[12:13]
	s_wait_dscnt 0x0
	v_cmp_eq_u64_e32 vcc_lo, v[21:22], v[12:13]
	v_dual_mov_b32 v12, v21 :: v_dual_mov_b32 v13, v22
	s_wait_alu 0xfffe
	s_or_b32 s0, vcc_lo, s0
	s_wait_alu 0xfffe
	s_and_not1_b32 exec_lo, exec_lo, s0
	s_cbranch_execnz .LBB107_136
; %bb.137:
	s_or_b32 exec_lo, exec_lo, s0
	v_mul_f64_e32 v[4:5], v[4:5], v[6:7]
	s_mov_b32 s0, 0
	s_delay_alu instid0(VALU_DEP_1)
	v_fma_f64 v[2:3], v[8:9], v[2:3], v[4:5]
	ds_load_b64 v[4:5], v20 offset:8
.LBB107_138:                            ; =>This Inner Loop Header: Depth=1
	s_wait_dscnt 0x0
	v_add_f64_e32 v[6:7], v[4:5], v[2:3]
	ds_cmpstore_rtn_b64 v[6:7], v20, v[6:7], v[4:5] offset:8
	s_wait_dscnt 0x0
	v_cmp_eq_u64_e32 vcc_lo, v[6:7], v[4:5]
	v_dual_mov_b32 v4, v6 :: v_dual_mov_b32 v5, v7
	s_wait_alu 0xfffe
	s_or_b32 s0, vcc_lo, s0
	s_wait_alu 0xfffe
	s_and_not1_b32 exec_lo, exec_lo, s0
	s_cbranch_execnz .LBB107_138
; %bb.139:
	s_or_b32 exec_lo, exec_lo, s0
.LBB107_140:
	s_wait_alu 0xfffe
	s_or_b32 exec_lo, exec_lo, s7
	v_lshlrev_b64_e32 v[2:3], 4, v[14:15]
	ds_load_b128 v[6:9], v28 offset:8192
	v_add_co_u32 v2, vcc_lo, s14, v2
	s_wait_alu 0xfffd
	v_add_co_ci_u32_e64 v3, null, s15, v3, vcc_lo
	v_cmp_ne_u32_e32 vcc_lo, 1, v26
	global_load_b128 v[2:5], v[2:3], off
	s_and_b32 vcc_lo, exec_lo, vcc_lo
	s_wait_loadcnt_dscnt 0x0
	v_mul_f64_e64 v[10:11], v[4:5], -v[8:9]
	v_mul_f64_e32 v[4:5], v[4:5], v[6:7]
	s_delay_alu instid0(VALU_DEP_2) | instskip(NEXT) | instid1(VALU_DEP_2)
	v_fma_f64 v[6:7], v[6:7], v[2:3], v[10:11]
	v_fma_f64 v[8:9], v[8:9], v[2:3], v[4:5]
	v_dual_mov_b32 v2, s16 :: v_dual_mov_b32 v3, s17
	v_dual_mov_b32 v4, s30 :: v_dual_mov_b32 v5, s31
	ds_store_b128 v28, v[6:9] offset:8192
	s_wait_alu 0xfffe
	s_cbranch_vccnz .LBB107_144
; %bb.141:
	v_dual_mov_b32 v2, s16 :: v_dual_mov_b32 v3, s17
	v_dual_mov_b32 v4, s30 :: v_dual_mov_b32 v5, s31
	s_mov_b32 s7, 0
.LBB107_142:                            ; =>This Inner Loop Header: Depth=1
	s_delay_alu instid0(VALU_DEP_1) | instskip(SKIP_1) | instid1(VALU_DEP_2)
	v_add_co_u32 v6, vcc_lo, v4, v2
	s_wait_alu 0xfffd
	v_add_co_ci_u32_e64 v7, null, v5, v3, vcc_lo
	s_delay_alu instid0(VALU_DEP_1) | instskip(NEXT) | instid1(VALU_DEP_1)
	v_lshrrev_b32_e32 v8, 31, v7
	v_add_co_u32 v6, vcc_lo, v6, v8
	s_wait_alu 0xfffd
	v_add_co_ci_u32_e64 v7, null, 0, v7, vcc_lo
	s_delay_alu instid0(VALU_DEP_1) | instskip(NEXT) | instid1(VALU_DEP_1)
	v_ashrrev_i64 v[6:7], 1, v[6:7]
	v_lshlrev_b64_e32 v[8:9], 3, v[6:7]
	s_delay_alu instid0(VALU_DEP_1) | instskip(SKIP_1) | instid1(VALU_DEP_2)
	v_add_co_u32 v8, vcc_lo, s8, v8
	s_wait_alu 0xfffd
	v_add_co_ci_u32_e64 v9, null, s9, v9, vcc_lo
	global_load_b64 v[8:9], v[8:9], off
	s_wait_loadcnt 0x0
	v_sub_co_u32 v8, vcc_lo, v8, s24
	s_wait_alu 0xfffd
	v_subrev_co_ci_u32_e64 v9, null, 0, v9, vcc_lo
	s_delay_alu instid0(VALU_DEP_1) | instskip(SKIP_3) | instid1(VALU_DEP_2)
	v_cmp_lt_i64_e32 vcc_lo, v[16:17], v[8:9]
	s_wait_alu 0xfffd
	v_dual_cndmask_b32 v5, v5, v7 :: v_dual_cndmask_b32 v4, v4, v6
	v_dual_cndmask_b32 v3, v7, v3 :: v_dual_cndmask_b32 v2, v6, v2
	v_add_co_u32 v6, vcc_lo, v4, -1
	s_wait_alu 0xfffd
	s_delay_alu instid0(VALU_DEP_3) | instskip(NEXT) | instid1(VALU_DEP_3)
	v_add_co_ci_u32_e64 v7, null, -1, v5, vcc_lo
	v_cmp_ge_i64_e32 vcc_lo, v[2:3], v[4:5]
	s_delay_alu instid0(VALU_DEP_2)
	v_cmp_eq_u64_e64 s0, v[2:3], v[6:7]
	s_or_b32 s0, vcc_lo, s0
	s_wait_alu 0xfffe
	s_and_b32 s0, exec_lo, s0
	s_wait_alu 0xfffe
	s_or_b32 s7, s0, s7
	s_wait_alu 0xfffe
	s_and_not1_b32 exec_lo, exec_lo, s7
	s_cbranch_execnz .LBB107_142
; %bb.143:
	s_or_b32 exec_lo, exec_lo, s7
.LBB107_144:
	v_lshlrev_b64_e32 v[6:7], 3, v[4:5]
	s_mov_b32 s7, exec_lo
	s_delay_alu instid0(VALU_DEP_1) | instskip(SKIP_1) | instid1(VALU_DEP_2)
	v_add_co_u32 v6, vcc_lo, s8, v6
	s_wait_alu 0xfffd
	v_add_co_ci_u32_e64 v7, null, s9, v7, vcc_lo
	global_load_b64 v[6:7], v[6:7], off
	global_load_b64 v[8:9], v[18:19], off offset:6144
	s_wait_loadcnt 0x1
	v_sub_co_u32 v6, vcc_lo, v6, s24
	s_wait_alu 0xfffd
	v_subrev_co_ci_u32_e64 v7, null, 0, v7, vcc_lo
	s_delay_alu instid0(VALU_DEP_1)
	v_cmp_lt_i64_e32 vcc_lo, v[16:17], v[6:7]
	s_wait_alu 0xfffd
	v_dual_cndmask_b32 v3, v5, v3 :: v_dual_cndmask_b32 v2, v4, v2
	s_wait_loadcnt 0x0
	v_sub_co_u32 v14, vcc_lo, v8, s24
	s_wait_alu 0xfffd
	v_subrev_co_ci_u32_e64 v15, null, 0, v9, vcc_lo
	s_delay_alu instid0(VALU_DEP_1)
	v_cmpx_ne_u64_e64 v[14:15], v[2:3]
	s_cbranch_execz .LBB107_158
; %bb.145:
	s_load_b64 s[10:11], s[10:11], 0x0
	s_wait_kmcnt 0x0
	s_sub_nc_u64 s[10:11], s[10:11], s[24:25]
	s_wait_alu 0xfffe
	v_cmp_gt_i64_e32 vcc_lo, s[10:11], v[16:17]
	s_and_b32 exec_lo, exec_lo, vcc_lo
	s_cbranch_execz .LBB107_158
; %bb.146:
	v_cmp_gt_i64_e32 vcc_lo, s[12:13], v[14:15]
	v_cmp_le_i64_e64 s0, s[18:19], v[14:15]
	v_lshlrev_b64_e32 v[2:3], 4, v[2:3]
	s_or_b32 s0, vcc_lo, s0
	s_wait_alu 0xfffe
	s_and_saveexec_b32 s10, s0
	s_wait_alu 0xfffe
	s_xor_b32 s0, exec_lo, s10
	s_cbranch_execz .LBB107_152
; %bb.147:
	v_add_co_u32 v2, vcc_lo, s14, v2
	s_wait_alu 0xfffd
	v_add_co_ci_u32_e64 v3, null, s15, v3, vcc_lo
	v_lshlrev_b64_e32 v[6:7], 4, v[14:15]
	s_mov_b32 s10, 0
	global_load_b128 v[2:5], v[2:3], off
	v_add_co_u32 v16, vcc_lo, s20, v6
	s_wait_alu 0xfffd
	v_add_co_ci_u32_e64 v17, null, s21, v7, vcc_lo
	ds_load_b128 v[6:9], v28 offset:12288
	global_load_b64 v[12:13], v[16:17], off
	s_wait_loadcnt_dscnt 0x100
	v_mul_f64_e64 v[10:11], v[4:5], -v[8:9]
	s_delay_alu instid0(VALU_DEP_1)
	v_fma_f64 v[18:19], v[6:7], v[2:3], v[10:11]
.LBB107_148:                            ; =>This Inner Loop Header: Depth=1
	s_wait_loadcnt 0x0
	s_delay_alu instid0(VALU_DEP_1)
	v_add_f64_e32 v[10:11], v[12:13], v[18:19]
	global_atomic_cmpswap_b64 v[10:11], v[16:17], v[10:13], off th:TH_ATOMIC_RETURN scope:SCOPE_DEV
	s_wait_loadcnt 0x0
	v_cmp_eq_u64_e32 vcc_lo, v[10:11], v[12:13]
	v_dual_mov_b32 v13, v11 :: v_dual_mov_b32 v12, v10
	s_wait_alu 0xfffe
	s_or_b32 s10, vcc_lo, s10
	s_wait_alu 0xfffe
	s_and_not1_b32 exec_lo, exec_lo, s10
	s_cbranch_execnz .LBB107_148
; %bb.149:
	s_or_b32 exec_lo, exec_lo, s10
	global_load_b64 v[10:11], v[16:17], off offset:8
	v_mul_f64_e32 v[4:5], v[4:5], v[6:7]
	s_mov_b32 s10, 0
	s_delay_alu instid0(VALU_DEP_1)
	v_fma_f64 v[2:3], v[8:9], v[2:3], v[4:5]
.LBB107_150:                            ; =>This Inner Loop Header: Depth=1
	s_wait_loadcnt 0x0
	s_delay_alu instid0(VALU_DEP_1)
	v_add_f64_e32 v[8:9], v[10:11], v[2:3]
	global_atomic_cmpswap_b64 v[4:5], v[16:17], v[8:11], off offset:8 th:TH_ATOMIC_RETURN scope:SCOPE_DEV
	s_wait_loadcnt 0x0
	v_cmp_eq_u64_e32 vcc_lo, v[4:5], v[10:11]
	v_dual_mov_b32 v11, v5 :: v_dual_mov_b32 v10, v4
	s_wait_alu 0xfffe
	s_or_b32 s10, vcc_lo, s10
	s_wait_alu 0xfffe
	s_and_not1_b32 exec_lo, exec_lo, s10
	s_cbranch_execnz .LBB107_150
; %bb.151:
	s_or_b32 exec_lo, exec_lo, s10
                                        ; implicit-def: $vgpr2_vgpr3
.LBB107_152:
	s_wait_alu 0xfffe
	s_and_not1_saveexec_b32 s0, s0
	s_cbranch_execz .LBB107_158
; %bb.153:
	v_add_co_u32 v2, vcc_lo, s14, v2
	s_wait_alu 0xfffd
	v_add_co_ci_u32_e64 v3, null, s15, v3, vcc_lo
	ds_load_b128 v[6:9], v28 offset:12288
	v_subrev_nc_u32_e32 v12, s12, v14
	s_mov_b32 s0, 0
	global_load_b128 v[2:5], v[2:3], off
	v_lshl_add_u32 v16, v12, 4, 0x4000
	ds_load_b64 v[12:13], v16
	s_wait_loadcnt_dscnt 0x1
	v_mul_f64_e64 v[10:11], v[4:5], -v[8:9]
	s_delay_alu instid0(VALU_DEP_1)
	v_fma_f64 v[10:11], v[6:7], v[2:3], v[10:11]
.LBB107_154:                            ; =>This Inner Loop Header: Depth=1
	s_wait_dscnt 0x0
	s_delay_alu instid0(VALU_DEP_1)
	v_add_f64_e32 v[17:18], v[12:13], v[10:11]
	ds_cmpstore_rtn_b64 v[17:18], v16, v[17:18], v[12:13]
	s_wait_dscnt 0x0
	v_cmp_eq_u64_e32 vcc_lo, v[17:18], v[12:13]
	v_dual_mov_b32 v12, v17 :: v_dual_mov_b32 v13, v18
	s_wait_alu 0xfffe
	s_or_b32 s0, vcc_lo, s0
	s_wait_alu 0xfffe
	s_and_not1_b32 exec_lo, exec_lo, s0
	s_cbranch_execnz .LBB107_154
; %bb.155:
	s_or_b32 exec_lo, exec_lo, s0
	v_mul_f64_e32 v[4:5], v[4:5], v[6:7]
	s_mov_b32 s0, 0
	s_delay_alu instid0(VALU_DEP_1)
	v_fma_f64 v[2:3], v[8:9], v[2:3], v[4:5]
	ds_load_b64 v[4:5], v16 offset:8
.LBB107_156:                            ; =>This Inner Loop Header: Depth=1
	s_wait_dscnt 0x0
	v_add_f64_e32 v[6:7], v[4:5], v[2:3]
	ds_cmpstore_rtn_b64 v[6:7], v16, v[6:7], v[4:5] offset:8
	s_wait_dscnt 0x0
	v_cmp_eq_u64_e32 vcc_lo, v[6:7], v[4:5]
	v_dual_mov_b32 v4, v6 :: v_dual_mov_b32 v5, v7
	s_wait_alu 0xfffe
	s_or_b32 s0, vcc_lo, s0
	s_wait_alu 0xfffe
	s_and_not1_b32 exec_lo, exec_lo, s0
	s_cbranch_execnz .LBB107_156
; %bb.157:
	s_or_b32 exec_lo, exec_lo, s0
.LBB107_158:
	s_wait_alu 0xfffe
	s_or_b32 exec_lo, exec_lo, s7
	v_lshlrev_b64_e32 v[2:3], 4, v[14:15]
	ds_load_b128 v[6:9], v28 offset:12288
	v_add_co_u32 v2, vcc_lo, s14, v2
	s_wait_alu 0xfffd
	v_add_co_ci_u32_e64 v3, null, s15, v3, vcc_lo
	global_load_b128 v[2:5], v[2:3], off
	s_wait_loadcnt_dscnt 0x0
	v_mul_f64_e64 v[10:11], v[4:5], -v[8:9]
	v_mul_f64_e32 v[12:13], v[4:5], v[6:7]
	s_delay_alu instid0(VALU_DEP_2) | instskip(NEXT) | instid1(VALU_DEP_2)
	v_fma_f64 v[4:5], v[6:7], v[2:3], v[10:11]
	v_fma_f64 v[6:7], v[8:9], v[2:3], v[12:13]
	ds_store_b128 v28, v[4:7] offset:12288
.LBB107_159:
	s_wait_alu 0xfffe
	s_or_b32 exec_lo, exec_lo, s1
	v_cmp_lt_i64_e64 s0, s[18:19], s[2:3]
	s_wait_loadcnt_dscnt 0x0
	s_barrier_signal -1
	s_barrier_wait -1
	global_inv scope:SCOPE_SE
	s_and_b32 s0, s0, exec_lo
	s_cselect_b32 s1, s19, s3
	s_cselect_b32 s0, s18, s2
	s_wait_alu 0xfffe
	s_sub_nc_u64 s[2:3], s[0:1], s[22:23]
	s_mov_b32 s1, exec_lo
	s_wait_alu 0xfffe
	v_cmpx_gt_i64_e64 s[2:3], v[0:1]
	s_cbranch_execz .LBB107_166
; %bb.160:
	v_dual_mov_b32 v11, v1 :: v_dual_mov_b32 v10, v0
	s_lshl_b64 s[10:11], s[12:13], 4
	s_mov_b32 s7, 0
	s_wait_alu 0xfffe
	s_add_nc_u64 s[10:11], s[20:21], s[10:11]
.LBB107_161:                            ; =>This Loop Header: Depth=1
                                        ;     Child Loop BB107_162 Depth 2
                                        ;     Child Loop BB107_164 Depth 2
	v_lshlrev_b64_e32 v[2:3], 4, v[10:11]
	s_mov_b32 s12, 0
	s_wait_alu 0xfffe
	s_delay_alu instid0(VALU_DEP_1) | instskip(SKIP_1) | instid1(VALU_DEP_2)
	v_add_co_u32 v12, vcc_lo, s10, v2
	s_wait_alu 0xfffd
	v_add_co_ci_u32_e64 v13, null, s11, v3, vcc_lo
	v_lshl_add_u32 v2, v10, 4, 0x4000
	global_load_b64 v[8:9], v[12:13], off
	ds_load_2addr_b64 v[2:5], v2 offset1:1
.LBB107_162:                            ;   Parent Loop BB107_161 Depth=1
                                        ; =>  This Inner Loop Header: Depth=2
	s_wait_loadcnt_dscnt 0x0
	v_add_f64_e32 v[6:7], v[8:9], v[2:3]
	global_atomic_cmpswap_b64 v[6:7], v[12:13], v[6:9], off th:TH_ATOMIC_RETURN scope:SCOPE_DEV
	s_wait_loadcnt 0x0
	v_cmp_eq_u64_e32 vcc_lo, v[6:7], v[8:9]
	v_dual_mov_b32 v9, v7 :: v_dual_mov_b32 v8, v6
	s_or_b32 s12, vcc_lo, s12
	s_wait_alu 0xfffe
	s_and_not1_b32 exec_lo, exec_lo, s12
	s_cbranch_execnz .LBB107_162
; %bb.163:                              ;   in Loop: Header=BB107_161 Depth=1
	s_or_b32 exec_lo, exec_lo, s12
	global_load_b64 v[8:9], v[12:13], off offset:8
	s_mov_b32 s12, 0
.LBB107_164:                            ;   Parent Loop BB107_161 Depth=1
                                        ; =>  This Inner Loop Header: Depth=2
	s_wait_loadcnt 0x0
	v_add_f64_e32 v[6:7], v[8:9], v[4:5]
	global_atomic_cmpswap_b64 v[2:3], v[12:13], v[6:9], off offset:8 th:TH_ATOMIC_RETURN scope:SCOPE_DEV
	s_wait_loadcnt 0x0
	v_cmp_eq_u64_e32 vcc_lo, v[2:3], v[8:9]
	v_dual_mov_b32 v9, v3 :: v_dual_mov_b32 v8, v2
	s_wait_alu 0xfffe
	s_or_b32 s12, vcc_lo, s12
	s_wait_alu 0xfffe
	s_and_not1_b32 exec_lo, exec_lo, s12
	s_cbranch_execnz .LBB107_164
; %bb.165:                              ;   in Loop: Header=BB107_161 Depth=1
	s_or_b32 exec_lo, exec_lo, s12
	v_add_co_u32 v10, vcc_lo, 0x100, v10
	s_wait_alu 0xfffd
	v_add_co_ci_u32_e64 v11, null, 0, v11, vcc_lo
	s_delay_alu instid0(VALU_DEP_1)
	v_cmp_le_i64_e32 vcc_lo, s[2:3], v[10:11]
	s_or_b32 s7, vcc_lo, s7
	s_wait_alu 0xfffe
	s_and_not1_b32 exec_lo, exec_lo, s7
	s_cbranch_execnz .LBB107_161
.LBB107_166:
	s_or_b32 exec_lo, exec_lo, s1
	s_add_co_i32 s1, s28, -1
	v_add_co_u32 v10, s7, s16, v0
	s_wait_alu 0xfffe
	s_ashr_i32 s3, s1, 1
	v_add_co_ci_u32_e64 v11, null, s17, 0, s7
	s_wait_alu 0xfffe
	s_or_b32 s1, s3, s1
	s_wait_loadcnt 0x0
	s_wait_alu 0xfffe
	s_ashr_i32 s3, s1, 2
	s_barrier_signal -1
	s_wait_alu 0xfffe
	s_or_b32 s1, s3, s1
	s_barrier_wait -1
	s_wait_alu 0xfffe
	s_ashr_i32 s3, s1, 4
	global_inv scope:SCOPE_SE
	s_wait_alu 0xfffe
	s_or_b32 s1, s3, s1
	s_wait_alu 0xfffe
	s_ashr_i32 s3, s1, 8
	s_wait_alu 0xfffe
	s_or_b32 s1, s3, s1
	s_wait_alu 0xfffe
	s_ashr_i32 s3, s1, 16
	s_wait_alu 0xfffe
	s_or_b32 s3, s3, s1
	s_mov_b32 s1, -1
	s_wait_alu 0xfffe
	s_add_co_i32 s3, s3, 1
	s_wait_alu 0xfffe
	s_ashr_i32 s10, s3, 1
	s_wait_alu 0xfffe
	s_cmp_gt_i32 s10, 1
	s_cbranch_scc1 .LBB107_179
; %bb.167:
	s_mov_b32 s1, exec_lo
	v_cmpx_gt_i64_e64 s[18:19], v[10:11]
	s_cbranch_execz .LBB107_178
; %bb.168:
	s_sub_co_i32 s0, s0, s18
	v_dual_mov_b32 v13, v11 :: v_dual_mov_b32 v12, v10
	s_lshl_b32 s7, s4, 4
	s_wait_alu 0xfffe
	s_lshl_b32 s0, s0, 4
	s_mov_b32 s3, 0
	s_wait_alu 0xfffe
	s_addk_co_i32 s0, 0x4000
	s_sub_co_i32 s7, 0, s7
.LBB107_169:                            ; =>This Loop Header: Depth=1
                                        ;     Child Loop BB107_171 Depth 2
                                        ;     Child Loop BB107_174 Depth 2
	;; [unrolled: 1-line block ×3, first 2 shown]
	v_lshlrev_b64_e32 v[2:3], 3, v[12:13]
	v_mov_b32_e32 v14, 0
	v_dual_mov_b32 v15, 0 :: v_dual_mov_b32 v6, 0
	v_mov_b32_e32 v7, 0
	s_mov_b32 s11, exec_lo
	s_delay_alu instid0(VALU_DEP_4)
	v_add_co_u32 v2, vcc_lo, s8, v2
	s_wait_alu 0xfffd
	v_add_co_ci_u32_e64 v3, null, s9, v3, vcc_lo
	global_load_b128 v[2:5], v[2:3], off
	s_wait_loadcnt 0x0
	v_cmpx_lt_i64_e64 v[2:3], v[4:5]
	s_cbranch_execz .LBB107_173
; %bb.170:                              ;   in Loop: Header=BB107_169 Depth=1
	v_sub_co_u32 v4, vcc_lo, v4, s4
	s_wait_alu 0xfffd
	v_subrev_co_ci_u32_e64 v5, null, s5, v5, vcc_lo
	v_sub_co_u32 v8, vcc_lo, v2, s4
	v_mov_b32_e32 v14, 0
	v_dual_mov_b32 v15, 0 :: v_dual_mov_b32 v6, 0
	s_wait_alu 0xfffd
	v_subrev_co_ci_u32_e64 v9, null, s5, v3, vcc_lo
	v_mov_b32_e32 v7, 0
	s_wait_alu 0xfffe
	v_lshl_add_u32 v2, v2, 4, s7
	s_mov_b32 s12, 0
.LBB107_171:                            ;   Parent Loop BB107_169 Depth=1
                                        ; =>  This Inner Loop Header: Depth=2
	ds_load_b128 v[16:19], v2
	v_add_co_u32 v8, vcc_lo, v8, 1
	s_wait_alu 0xfffd
	v_add_co_ci_u32_e64 v9, null, 0, v9, vcc_lo
	v_add_nc_u32_e32 v2, 16, v2
	s_delay_alu instid0(VALU_DEP_2)
	v_cmp_ge_i64_e32 vcc_lo, v[8:9], v[4:5]
	s_wait_alu 0xfffe
	s_or_b32 s12, vcc_lo, s12
	s_wait_dscnt 0x0
	v_add_f64_e32 v[6:7], v[6:7], v[16:17]
	v_add_f64_e32 v[14:15], v[14:15], v[18:19]
	s_wait_alu 0xfffe
	s_and_not1_b32 exec_lo, exec_lo, s12
	s_cbranch_execnz .LBB107_171
; %bb.172:                              ;   in Loop: Header=BB107_169 Depth=1
	s_or_b32 exec_lo, exec_lo, s12
.LBB107_173:                            ;   in Loop: Header=BB107_169 Depth=1
	s_wait_alu 0xfffe
	s_or_b32 exec_lo, exec_lo, s11
	v_lshlrev_b64_e32 v[2:3], 4, v[12:13]
	s_mov_b32 s11, 0
	s_delay_alu instid0(VALU_DEP_1) | instskip(SKIP_1) | instid1(VALU_DEP_2)
	v_add_co_u32 v16, vcc_lo, s20, v2
	s_wait_alu 0xfffd
	v_add_co_ci_u32_e64 v17, null, s21, v3, vcc_lo
	v_lshl_add_u32 v2, v12, 4, s0
	global_load_b64 v[8:9], v[16:17], off
	ds_load_2addr_b64 v[2:5], v2 offset1:1
	s_wait_dscnt 0x0
	v_add_f64_e32 v[2:3], v[6:7], v[2:3]
.LBB107_174:                            ;   Parent Loop BB107_169 Depth=1
                                        ; =>  This Inner Loop Header: Depth=2
	s_wait_loadcnt 0x0
	s_delay_alu instid0(VALU_DEP_1)
	v_add_f64_e32 v[6:7], v[8:9], v[2:3]
	global_atomic_cmpswap_b64 v[6:7], v[16:17], v[6:9], off th:TH_ATOMIC_RETURN scope:SCOPE_DEV
	s_wait_loadcnt 0x0
	v_cmp_eq_u64_e32 vcc_lo, v[6:7], v[8:9]
	v_dual_mov_b32 v9, v7 :: v_dual_mov_b32 v8, v6
	s_wait_alu 0xfffe
	s_or_b32 s11, vcc_lo, s11
	s_wait_alu 0xfffe
	s_and_not1_b32 exec_lo, exec_lo, s11
	s_cbranch_execnz .LBB107_174
; %bb.175:                              ;   in Loop: Header=BB107_169 Depth=1
	s_or_b32 exec_lo, exec_lo, s11
	global_load_b64 v[6:7], v[16:17], off offset:8
	v_add_f64_e32 v[2:3], v[14:15], v[4:5]
	s_mov_b32 s11, 0
.LBB107_176:                            ;   Parent Loop BB107_169 Depth=1
                                        ; =>  This Inner Loop Header: Depth=2
	s_wait_loadcnt 0x0
	s_delay_alu instid0(VALU_DEP_1)
	v_add_f64_e32 v[4:5], v[6:7], v[2:3]
	global_atomic_cmpswap_b64 v[4:5], v[16:17], v[4:7], off offset:8 th:TH_ATOMIC_RETURN scope:SCOPE_DEV
	s_wait_loadcnt 0x0
	v_cmp_eq_u64_e32 vcc_lo, v[4:5], v[6:7]
	v_dual_mov_b32 v7, v5 :: v_dual_mov_b32 v6, v4
	s_wait_alu 0xfffe
	s_or_b32 s11, vcc_lo, s11
	s_wait_alu 0xfffe
	s_and_not1_b32 exec_lo, exec_lo, s11
	s_cbranch_execnz .LBB107_176
; %bb.177:                              ;   in Loop: Header=BB107_169 Depth=1
	s_or_b32 exec_lo, exec_lo, s11
	v_add_co_u32 v12, vcc_lo, v12, s6
	s_wait_alu 0xfffd
	v_add_co_ci_u32_e64 v13, null, 0, v13, vcc_lo
	s_delay_alu instid0(VALU_DEP_1)
	v_cmp_le_i64_e32 vcc_lo, s[18:19], v[12:13]
	s_or_b32 s3, vcc_lo, s3
	s_wait_alu 0xfffe
	s_and_not1_b32 exec_lo, exec_lo, s3
	s_cbranch_execnz .LBB107_169
.LBB107_178:
	s_wait_alu 0xfffe
	s_or_b32 exec_lo, exec_lo, s1
	s_mov_b32 s1, 0
.LBB107_179:
	s_wait_alu 0xfffe
	s_and_not1_b32 vcc_lo, exec_lo, s1
	s_wait_alu 0xfffe
	s_cbranch_vccnz .LBB107_199
; %bb.180:
	s_cvt_f32_u32 s0, s10
	s_sub_co_i32 s1, 0, s10
	s_mov_b32 s11, 0
	s_wait_alu 0xfffe
	v_rcp_iflag_f32_e32 v2, s0
	s_delay_alu instid0(TRANS32_DEP_1) | instskip(SKIP_2) | instid1(SALU_CYCLE_2)
	v_readfirstlane_b32 s0, v2
	s_mul_f32 s0, s0, 0x4f7ffffe
	s_wait_alu 0xfffe
	s_cvt_u32_f32 s0, s0
	s_wait_alu 0xfffe
	s_delay_alu instid0(SALU_CYCLE_2)
	s_mul_i32 s3, s1, s0
	s_wait_alu 0xfffe
	s_mul_hi_u32 s3, s0, s3
	s_wait_alu 0xfffe
	s_add_co_i32 s0, s0, s3
	s_wait_alu 0xfffe
	v_mul_hi_u32 v2, v0, s0
	s_mov_b32 s0, exec_lo
	s_delay_alu instid0(VALU_DEP_1) | instskip(SKIP_1) | instid1(VALU_DEP_2)
	v_mul_lo_u32 v3, v2, s10
	v_add_nc_u32_e32 v4, 1, v2
	v_sub_nc_u32_e32 v3, v0, v3
	s_delay_alu instid0(VALU_DEP_1) | instskip(SKIP_3) | instid1(VALU_DEP_3)
	v_subrev_nc_u32_e32 v5, s10, v3
	v_cmp_le_u32_e32 vcc_lo, s10, v3
	s_wait_alu 0xfffd
	v_cndmask_b32_e32 v2, v2, v4, vcc_lo
	v_dual_cndmask_b32 v4, v3, v5 :: v_dual_mov_b32 v3, 0
	s_delay_alu instid0(VALU_DEP_2) | instskip(NEXT) | instid1(VALU_DEP_2)
	v_add_nc_u32_e32 v5, 1, v2
	v_cmp_le_u32_e32 vcc_lo, s10, v4
	s_wait_alu 0xfffd
	s_delay_alu instid0(VALU_DEP_2) | instskip(NEXT) | instid1(VALU_DEP_1)
	v_cndmask_b32_e32 v2, v2, v5, vcc_lo
	v_lshlrev_b64_e32 v[4:5], 3, v[2:3]
	s_delay_alu instid0(VALU_DEP_1) | instskip(SKIP_1) | instid1(VALU_DEP_2)
	v_add_co_u32 v4, vcc_lo, s26, v4
	s_wait_alu 0xfffd
	v_add_co_ci_u32_e64 v5, null, s27, v5, vcc_lo
	global_load_b128 v[6:9], v[4:5], off
	v_mov_b32_e32 v4, v3
	s_wait_loadcnt 0x0
	v_sub_co_u32 v6, vcc_lo, v6, s4
	s_wait_alu 0xfffd
	v_subrev_co_ci_u32_e64 v7, null, s5, v7, vcc_lo
	v_sub_co_u32 v15, vcc_lo, v8, s4
	s_wait_alu 0xfffd
	v_subrev_co_ci_u32_e64 v16, null, s5, v9, vcc_lo
                                        ; implicit-def: $vgpr8_vgpr9
	s_delay_alu instid0(VALU_DEP_2) | instskip(SKIP_1) | instid1(VALU_DEP_2)
	v_sub_co_u32 v12, vcc_lo, v15, v6
	s_wait_alu 0xfffd
	v_sub_co_ci_u32_e64 v5, null, v16, v7, vcc_lo
	s_delay_alu instid0(VALU_DEP_1)
	v_cmpx_ne_u64_e32 0, v[4:5]
	s_wait_alu 0xfffe
	s_xor_b32 s3, exec_lo, s0
	s_cbranch_execz .LBB107_182
; %bb.181:
	s_add_nc_u64 s[4:5], s[10:11], 0
	s_mov_b32 s13, s11
	s_wait_alu 0xfffe
	s_xor_b64 s[4:5], s[4:5], 0
	s_mov_b32 s17, s11
	s_wait_alu 0xfffe
	s_cvt_f32_u32 s0, s4
	s_cvt_f32_u32 s6, s5
	s_sub_nc_u64 s[8:9], 0, s[4:5]
	v_ashrrev_i32_e32 v14, 31, v5
	s_wait_alu 0xfffe
	s_fmamk_f32 s0, s6, 0x4f800000, s0
	s_delay_alu instid0(VALU_DEP_1) | instskip(SKIP_1) | instid1(SALU_CYCLE_1)
	v_add_co_u32 v4, vcc_lo, v12, v14
	s_wait_alu 0xfffe
	v_s_rcp_f32 s0, s0
	s_wait_alu 0xfffd
	v_add_co_ci_u32_e64 v5, null, v5, v14, vcc_lo
	v_xor_b32_e32 v17, v4, v14
	s_delay_alu instid0(VALU_DEP_2) | instskip(NEXT) | instid1(TRANS32_DEP_1)
	v_xor_b32_e32 v18, v5, v14
	s_mul_f32 s0, s0, 0x5f7ffffc
	s_wait_alu 0xfffe
	s_delay_alu instid0(SALU_CYCLE_2) | instskip(SKIP_1) | instid1(SALU_CYCLE_2)
	s_mul_f32 s6, s0, 0x2f800000
	s_wait_alu 0xfffe
	s_trunc_f32 s6, s6
	s_wait_alu 0xfffe
	s_delay_alu instid0(SALU_CYCLE_2) | instskip(SKIP_2) | instid1(SALU_CYCLE_1)
	s_fmamk_f32 s0, s6, 0xcf800000, s0
	s_cvt_u32_f32 s7, s6
	s_wait_alu 0xfffe
	s_cvt_u32_f32 s6, s0
	s_wait_alu 0xfffe
	s_delay_alu instid0(SALU_CYCLE_2)
	s_mul_u64 s[14:15], s[8:9], s[6:7]
	s_wait_alu 0xfffe
	s_mul_hi_u32 s19, s6, s15
	s_mul_i32 s18, s6, s15
	s_mul_hi_u32 s12, s6, s14
	s_mul_i32 s16, s7, s14
	s_wait_alu 0xfffe
	s_add_nc_u64 s[12:13], s[12:13], s[18:19]
	s_mul_hi_u32 s0, s7, s14
	s_mul_hi_u32 s24, s7, s15
	s_wait_alu 0xfffe
	s_add_co_u32 s12, s12, s16
	s_add_co_ci_u32 s16, s13, s0
	s_mul_i32 s14, s7, s15
	s_add_co_ci_u32 s15, s24, 0
	s_wait_alu 0xfffe
	s_add_nc_u64 s[12:13], s[16:17], s[14:15]
	s_mov_b32 s15, s11
	s_wait_alu 0xfffe
	s_add_co_u32 s6, s6, s12
	s_cselect_b32 s0, -1, 0
	s_wait_alu 0xfffe
	s_cmp_lg_u32 s0, 0
	s_add_co_ci_u32 s7, s7, s13
	s_mov_b32 s13, s11
	s_wait_alu 0xfffe
	s_mul_u64 s[8:9], s[8:9], s[6:7]
	s_wait_alu 0xfffe
	s_mul_hi_u32 s17, s6, s9
	s_mul_i32 s16, s6, s9
	s_mul_hi_u32 s14, s6, s8
	s_mul_i32 s11, s7, s8
	s_wait_alu 0xfffe
	s_add_nc_u64 s[14:15], s[14:15], s[16:17]
	s_mul_hi_u32 s0, s7, s8
	s_mul_hi_u32 s18, s7, s9
	s_mul_i32 s8, s7, s9
	s_wait_alu 0xfffe
	s_add_co_u32 s9, s14, s11
	s_add_co_ci_u32 s12, s15, s0
	s_add_co_ci_u32 s9, s18, 0
	s_wait_alu 0xfffe
	s_add_nc_u64 s[8:9], s[12:13], s[8:9]
	s_wait_alu 0xfffe
	s_add_co_u32 s0, s6, s8
	s_cselect_b32 s6, -1, 0
	s_wait_alu 0xfffe
	v_mul_hi_u32 v19, v17, s0
	s_cmp_lg_u32 s6, 0
	v_mad_co_u64_u32 v[8:9], null, v18, s0, 0
	s_add_co_ci_u32 s6, s7, s9
	s_wait_alu 0xfffe
	v_mad_co_u64_u32 v[4:5], null, v17, s6, 0
	v_mad_co_u64_u32 v[12:13], null, v18, s6, 0
	s_delay_alu instid0(VALU_DEP_2) | instskip(SKIP_1) | instid1(VALU_DEP_3)
	v_add_co_u32 v4, vcc_lo, v19, v4
	s_wait_alu 0xfffd
	v_add_co_ci_u32_e64 v5, null, 0, v5, vcc_lo
	s_delay_alu instid0(VALU_DEP_2) | instskip(SKIP_1) | instid1(VALU_DEP_2)
	v_add_co_u32 v4, vcc_lo, v4, v8
	s_wait_alu 0xfffd
	v_add_co_ci_u32_e32 v4, vcc_lo, v5, v9, vcc_lo
	s_wait_alu 0xfffd
	v_add_co_ci_u32_e32 v5, vcc_lo, 0, v13, vcc_lo
	s_delay_alu instid0(VALU_DEP_2) | instskip(SKIP_1) | instid1(VALU_DEP_2)
	v_add_co_u32 v8, vcc_lo, v4, v12
	s_wait_alu 0xfffd
	v_add_co_ci_u32_e64 v9, null, 0, v5, vcc_lo
	s_delay_alu instid0(VALU_DEP_2) | instskip(SKIP_1) | instid1(VALU_DEP_3)
	v_mul_lo_u32 v12, s5, v8
	v_mad_co_u64_u32 v[4:5], null, s4, v8, 0
	v_mul_lo_u32 v13, s4, v9
	s_delay_alu instid0(VALU_DEP_2) | instskip(NEXT) | instid1(VALU_DEP_2)
	v_sub_co_u32 v4, vcc_lo, v17, v4
	v_add3_u32 v5, v5, v13, v12
	v_add_co_u32 v13, s0, v8, 2
	s_wait_alu 0xf1ff
	v_add_co_ci_u32_e64 v17, null, 0, v9, s0
	s_delay_alu instid0(VALU_DEP_3) | instskip(SKIP_3) | instid1(VALU_DEP_3)
	v_sub_nc_u32_e32 v12, v18, v5
	v_sub_co_u32 v19, s0, v4, s4
	s_wait_alu 0xfffd
	v_sub_co_ci_u32_e64 v5, null, v18, v5, vcc_lo
	v_subrev_co_ci_u32_e64 v12, null, s5, v12, vcc_lo
	s_delay_alu instid0(VALU_DEP_3) | instskip(SKIP_1) | instid1(VALU_DEP_2)
	v_cmp_le_u32_e32 vcc_lo, s4, v19
	s_wait_alu 0xf1ff
	v_subrev_co_ci_u32_e64 v12, null, 0, v12, s0
	s_wait_alu 0xfffd
	v_cndmask_b32_e64 v18, 0, -1, vcc_lo
	v_cmp_eq_u32_e64 s0, s5, v5
	s_delay_alu instid0(VALU_DEP_3)
	v_cmp_le_u32_e32 vcc_lo, s5, v12
	s_wait_alu 0xfffd
	v_cndmask_b32_e64 v19, 0, -1, vcc_lo
	v_cmp_le_u32_e32 vcc_lo, s4, v4
	s_wait_alu 0xfffd
	v_cndmask_b32_e64 v4, 0, -1, vcc_lo
	;; [unrolled: 3-line block ×3, first 2 shown]
	v_cmp_eq_u32_e32 vcc_lo, s5, v12
	s_wait_alu 0xf1ff
	s_delay_alu instid0(VALU_DEP_2)
	v_cndmask_b32_e64 v4, v20, v4, s0
	s_wait_alu 0xfffd
	v_cndmask_b32_e32 v12, v19, v18, vcc_lo
	v_add_co_u32 v18, vcc_lo, v8, 1
	s_wait_alu 0xfffd
	v_add_co_ci_u32_e64 v19, null, 0, v9, vcc_lo
	s_delay_alu instid0(VALU_DEP_3) | instskip(SKIP_1) | instid1(VALU_DEP_2)
	v_cmp_ne_u32_e32 vcc_lo, 0, v12
	s_wait_alu 0xfffd
	v_cndmask_b32_e32 v5, v19, v17, vcc_lo
	v_cndmask_b32_e32 v12, v18, v13, vcc_lo
	v_cmp_ne_u32_e32 vcc_lo, 0, v4
	s_wait_alu 0xfffd
	s_delay_alu instid0(VALU_DEP_2) | instskip(NEXT) | instid1(VALU_DEP_1)
	v_dual_cndmask_b32 v4, v9, v5 :: v_dual_cndmask_b32 v5, v8, v12
                                        ; implicit-def: $vgpr12
	v_xor_b32_e32 v4, v4, v14
	s_delay_alu instid0(VALU_DEP_2) | instskip(NEXT) | instid1(VALU_DEP_1)
	v_xor_b32_e32 v5, v5, v14
	v_sub_co_u32 v8, vcc_lo, v5, v14
	s_wait_alu 0xfffd
	s_delay_alu instid0(VALU_DEP_3)
	v_sub_co_ci_u32_e64 v9, null, v4, v14, vcc_lo
.LBB107_182:
	s_wait_alu 0xfffe
	s_and_not1_saveexec_b32 s0, s3
	s_cbranch_execz .LBB107_184
; %bb.183:
	v_cvt_f32_u32_e32 v4, s10
	s_delay_alu instid0(VALU_DEP_1) | instskip(NEXT) | instid1(TRANS32_DEP_1)
	v_rcp_iflag_f32_e32 v4, v4
	v_mul_f32_e32 v4, 0x4f7ffffe, v4
	s_delay_alu instid0(VALU_DEP_1) | instskip(NEXT) | instid1(VALU_DEP_1)
	v_cvt_u32_f32_e32 v4, v4
	v_mul_lo_u32 v5, s1, v4
	s_delay_alu instid0(VALU_DEP_1) | instskip(NEXT) | instid1(VALU_DEP_1)
	v_mul_hi_u32 v5, v4, v5
	v_add_nc_u32_e32 v4, v4, v5
	s_delay_alu instid0(VALU_DEP_1) | instskip(NEXT) | instid1(VALU_DEP_1)
	v_mul_hi_u32 v4, v12, v4
	v_mul_lo_u32 v5, v4, s10
	v_add_nc_u32_e32 v8, 1, v4
	s_delay_alu instid0(VALU_DEP_2) | instskip(NEXT) | instid1(VALU_DEP_1)
	v_sub_nc_u32_e32 v5, v12, v5
	v_subrev_nc_u32_e32 v9, s10, v5
	v_cmp_le_u32_e32 vcc_lo, s10, v5
	s_wait_alu 0xfffd
	s_delay_alu instid0(VALU_DEP_2) | instskip(SKIP_1) | instid1(VALU_DEP_2)
	v_dual_cndmask_b32 v5, v5, v9 :: v_dual_cndmask_b32 v4, v4, v8
	v_mov_b32_e32 v9, 0
	v_cmp_le_u32_e32 vcc_lo, s10, v5
	s_delay_alu instid0(VALU_DEP_3) | instskip(SKIP_1) | instid1(VALU_DEP_1)
	v_add_nc_u32_e32 v8, 1, v4
	s_wait_alu 0xfffd
	v_cndmask_b32_e32 v8, v4, v8, vcc_lo
.LBB107_184:
	s_wait_alu 0xfffe
	s_or_b32 exec_lo, exec_lo, s0
	v_mov_b32_e32 v4, 0
	v_cmp_gt_i64_e32 vcc_lo, s[22:23], v[2:3]
	v_dual_mov_b32 v5, 0 :: v_dual_mov_b32 v2, 0
	v_mov_b32_e32 v3, 0
	s_and_saveexec_b32 s0, vcc_lo
	s_cbranch_execz .LBB107_192
; %bb.185:
	s_add_co_i32 s1, s10, -1
	v_mov_b32_e32 v4, 0
	s_wait_alu 0xfffe
	v_dual_mov_b32 v5, 0 :: v_dual_and_b32 v12, s1, v0
	v_mov_b32_e32 v2, 0
	v_mov_b32_e32 v3, 0
	s_mov_b32 s1, exec_lo
	s_delay_alu instid0(VALU_DEP_3)
	v_lshlrev_b32_e32 v17, 4, v12
	v_cmpx_lt_i64_e32 0, v[8:9]
	s_cbranch_execz .LBB107_189
; %bb.186:
	v_mov_b32_e32 v4, 0
	v_dual_mov_b32 v5, 0 :: v_dual_mov_b32 v14, v9
	v_lshl_add_u32 v18, v6, 4, v17
	s_delay_alu instid0(VALU_DEP_3) | instskip(NEXT) | instid1(VALU_DEP_3)
	v_dual_mov_b32 v13, v8 :: v_dual_mov_b32 v2, v4
	v_mov_b32_e32 v3, v5
	s_lshl_b32 s4, s10, 4
	s_mov_b32 s3, 0
.LBB107_187:                            ; =>This Inner Loop Header: Depth=1
	ds_load_b128 v[19:22], v18
	v_add_co_u32 v13, vcc_lo, v13, -1
	s_wait_alu 0xfffd
	v_add_co_ci_u32_e64 v14, null, -1, v14, vcc_lo
	s_wait_alu 0xfffe
	v_add_nc_u32_e32 v18, s4, v18
	s_delay_alu instid0(VALU_DEP_2)
	v_cmp_eq_u64_e32 vcc_lo, 0, v[13:14]
	s_or_b32 s3, vcc_lo, s3
	s_wait_dscnt 0x0
	v_add_f64_e32 v[2:3], v[2:3], v[19:20]
	v_add_f64_e32 v[4:5], v[4:5], v[21:22]
	s_wait_alu 0xfffe
	s_and_not1_b32 exec_lo, exec_lo, s3
	s_cbranch_execnz .LBB107_187
; %bb.188:
	s_or_b32 exec_lo, exec_lo, s3
.LBB107_189:
	s_wait_alu 0xfffe
	s_or_b32 exec_lo, exec_lo, s1
	v_mad_co_u64_u32 v[6:7], null, v8, s10, v[6:7]
	v_mov_b32_e32 v13, 0
	s_mov_b32 s1, exec_lo
	s_delay_alu instid0(VALU_DEP_2) | instskip(NEXT) | instid1(VALU_DEP_3)
	v_mad_co_u64_u32 v[7:8], null, v9, s10, v[7:8]
	v_sub_co_u32 v8, vcc_lo, v15, v6
	s_wait_alu 0xfffd
	s_delay_alu instid0(VALU_DEP_2) | instskip(NEXT) | instid1(VALU_DEP_1)
	v_sub_co_ci_u32_e64 v9, null, v16, v7, vcc_lo
	v_cmpx_gt_i64_e64 v[8:9], v[12:13]
	s_cbranch_execz .LBB107_191
; %bb.190:
	v_lshl_add_u32 v6, v6, 4, v17
	ds_load_b128 v[6:9], v6
	s_wait_dscnt 0x0
	v_add_f64_e32 v[2:3], v[2:3], v[6:7]
	v_add_f64_e32 v[4:5], v[4:5], v[8:9]
.LBB107_191:
	s_wait_alu 0xfffe
	s_or_b32 exec_lo, exec_lo, s1
.LBB107_192:
	s_wait_alu 0xfffe
	s_or_b32 exec_lo, exec_lo, s0
	v_cmp_gt_i64_e32 vcc_lo, s[22:23], v[0:1]
	s_barrier_signal -1
	s_barrier_wait -1
	global_inv scope:SCOPE_SE
	ds_store_b128 v28, v[2:5]
	s_wait_loadcnt_dscnt 0x0
	s_barrier_signal -1
	s_barrier_wait -1
	global_inv scope:SCOPE_SE
	s_and_b32 exec_lo, exec_lo, vcc_lo
	s_cbranch_execz .LBB107_199
; %bb.193:
	v_mul_lo_u32 v1, s10, v0
	v_mov_b32_e32 v8, 0
	v_dual_mov_b32 v9, 0 :: v_dual_mov_b32 v4, 0
	v_mov_b32_e32 v5, 0
	s_delay_alu instid0(VALU_DEP_4)
	v_lshlrev_b32_e32 v1, 4, v1
.LBB107_194:                            ; =>This Inner Loop Header: Depth=1
	ds_load_b128 v[12:15], v1
	v_add_nc_u32_e32 v1, 16, v1
	s_add_co_i32 s10, s10, -1
	s_wait_alu 0xfffe
	s_cmp_eq_u32 s10, 0
	s_wait_dscnt 0x0
	v_add_f64_e32 v[4:5], v[4:5], v[12:13]
	v_add_f64_e32 v[8:9], v[8:9], v[14:15]
	s_cbranch_scc0 .LBB107_194
; %bb.195:
	v_lshlrev_b64_e32 v[1:2], 4, v[10:11]
	v_lshlrev_b32_e32 v0, 4, v0
	s_lshl_b32 s0, s2, 4
	s_wait_alu 0xfffe
	s_delay_alu instid0(VALU_DEP_1) | instskip(NEXT) | instid1(VALU_DEP_3)
	v_add3_u32 v0, 0x4000, s0, v0
	v_add_co_u32 v10, vcc_lo, s20, v1
	s_wait_alu 0xfffd
	v_add_co_ci_u32_e64 v11, null, s21, v2, vcc_lo
	ds_load_2addr_b64 v[0:3], v0 offset1:1
	s_mov_b32 s0, 0
	global_load_b64 v[6:7], v[10:11], off
	s_wait_dscnt 0x0
	v_add_f64_e32 v[0:1], v[4:5], v[0:1]
.LBB107_196:                            ; =>This Inner Loop Header: Depth=1
	s_wait_loadcnt 0x0
	s_delay_alu instid0(VALU_DEP_1)
	v_add_f64_e32 v[4:5], v[6:7], v[0:1]
	global_atomic_cmpswap_b64 v[4:5], v[10:11], v[4:7], off th:TH_ATOMIC_RETURN scope:SCOPE_DEV
	s_wait_loadcnt 0x0
	v_cmp_eq_u64_e32 vcc_lo, v[4:5], v[6:7]
	v_dual_mov_b32 v7, v5 :: v_dual_mov_b32 v6, v4
	s_wait_alu 0xfffe
	s_or_b32 s0, vcc_lo, s0
	s_wait_alu 0xfffe
	s_and_not1_b32 exec_lo, exec_lo, s0
	s_cbranch_execnz .LBB107_196
; %bb.197:
	s_or_b32 exec_lo, exec_lo, s0
	global_load_b64 v[4:5], v[10:11], off offset:8
	v_add_f64_e32 v[0:1], v[8:9], v[2:3]
	s_mov_b32 s0, 0
.LBB107_198:                            ; =>This Inner Loop Header: Depth=1
	s_wait_loadcnt 0x0
	s_delay_alu instid0(VALU_DEP_1)
	v_add_f64_e32 v[2:3], v[4:5], v[0:1]
	global_atomic_cmpswap_b64 v[2:3], v[10:11], v[2:5], off offset:8 th:TH_ATOMIC_RETURN scope:SCOPE_DEV
	s_wait_loadcnt 0x0
	v_cmp_eq_u64_e32 vcc_lo, v[2:3], v[4:5]
	v_dual_mov_b32 v5, v3 :: v_dual_mov_b32 v4, v2
	s_wait_alu 0xfffe
	s_or_b32 s0, vcc_lo, s0
	s_wait_alu 0xfffe
	s_and_not1_b32 exec_lo, exec_lo, s0
	s_cbranch_execnz .LBB107_198
.LBB107_199:
	s_endpgm
	.section	.rodata,"a",@progbits
	.p2align	6, 0x0
	.amdhsa_kernel _ZN9rocsparseL27csrmvn_symm_adaptive_kernelIlld21rocsparse_complex_numIdES2_S2_EEvbT_S3_PKS3_NS_24const_host_device_scalarIT4_EES5_PKT0_PKT1_PKT2_S8_PT3_21rocsparse_index_base_b
		.amdhsa_group_segment_fixed_size 16384
		.amdhsa_private_segment_fixed_size 0
		.amdhsa_kernarg_size 368
		.amdhsa_user_sgpr_count 2
		.amdhsa_user_sgpr_dispatch_ptr 0
		.amdhsa_user_sgpr_queue_ptr 0
		.amdhsa_user_sgpr_kernarg_segment_ptr 1
		.amdhsa_user_sgpr_dispatch_id 0
		.amdhsa_user_sgpr_private_segment_size 0
		.amdhsa_wavefront_size32 1
		.amdhsa_uses_dynamic_stack 0
		.amdhsa_enable_private_segment 0
		.amdhsa_system_sgpr_workgroup_id_x 1
		.amdhsa_system_sgpr_workgroup_id_y 0
		.amdhsa_system_sgpr_workgroup_id_z 0
		.amdhsa_system_sgpr_workgroup_info 0
		.amdhsa_system_vgpr_workitem_id 0
		.amdhsa_next_free_vgpr 33
		.amdhsa_next_free_sgpr 42
		.amdhsa_reserve_vcc 1
		.amdhsa_float_round_mode_32 0
		.amdhsa_float_round_mode_16_64 0
		.amdhsa_float_denorm_mode_32 3
		.amdhsa_float_denorm_mode_16_64 3
		.amdhsa_fp16_overflow 0
		.amdhsa_workgroup_processor_mode 1
		.amdhsa_memory_ordered 1
		.amdhsa_forward_progress 1
		.amdhsa_inst_pref_size 101
		.amdhsa_round_robin_scheduling 0
		.amdhsa_exception_fp_ieee_invalid_op 0
		.amdhsa_exception_fp_denorm_src 0
		.amdhsa_exception_fp_ieee_div_zero 0
		.amdhsa_exception_fp_ieee_overflow 0
		.amdhsa_exception_fp_ieee_underflow 0
		.amdhsa_exception_fp_ieee_inexact 0
		.amdhsa_exception_int_div_zero 0
	.end_amdhsa_kernel
	.section	.text._ZN9rocsparseL27csrmvn_symm_adaptive_kernelIlld21rocsparse_complex_numIdES2_S2_EEvbT_S3_PKS3_NS_24const_host_device_scalarIT4_EES5_PKT0_PKT1_PKT2_S8_PT3_21rocsparse_index_base_b,"axG",@progbits,_ZN9rocsparseL27csrmvn_symm_adaptive_kernelIlld21rocsparse_complex_numIdES2_S2_EEvbT_S3_PKS3_NS_24const_host_device_scalarIT4_EES5_PKT0_PKT1_PKT2_S8_PT3_21rocsparse_index_base_b,comdat
.Lfunc_end107:
	.size	_ZN9rocsparseL27csrmvn_symm_adaptive_kernelIlld21rocsparse_complex_numIdES2_S2_EEvbT_S3_PKS3_NS_24const_host_device_scalarIT4_EES5_PKT0_PKT1_PKT2_S8_PT3_21rocsparse_index_base_b, .Lfunc_end107-_ZN9rocsparseL27csrmvn_symm_adaptive_kernelIlld21rocsparse_complex_numIdES2_S2_EEvbT_S3_PKS3_NS_24const_host_device_scalarIT4_EES5_PKT0_PKT1_PKT2_S8_PT3_21rocsparse_index_base_b
                                        ; -- End function
	.set _ZN9rocsparseL27csrmvn_symm_adaptive_kernelIlld21rocsparse_complex_numIdES2_S2_EEvbT_S3_PKS3_NS_24const_host_device_scalarIT4_EES5_PKT0_PKT1_PKT2_S8_PT3_21rocsparse_index_base_b.num_vgpr, 33
	.set _ZN9rocsparseL27csrmvn_symm_adaptive_kernelIlld21rocsparse_complex_numIdES2_S2_EEvbT_S3_PKS3_NS_24const_host_device_scalarIT4_EES5_PKT0_PKT1_PKT2_S8_PT3_21rocsparse_index_base_b.num_agpr, 0
	.set _ZN9rocsparseL27csrmvn_symm_adaptive_kernelIlld21rocsparse_complex_numIdES2_S2_EEvbT_S3_PKS3_NS_24const_host_device_scalarIT4_EES5_PKT0_PKT1_PKT2_S8_PT3_21rocsparse_index_base_b.numbered_sgpr, 42
	.set _ZN9rocsparseL27csrmvn_symm_adaptive_kernelIlld21rocsparse_complex_numIdES2_S2_EEvbT_S3_PKS3_NS_24const_host_device_scalarIT4_EES5_PKT0_PKT1_PKT2_S8_PT3_21rocsparse_index_base_b.num_named_barrier, 0
	.set _ZN9rocsparseL27csrmvn_symm_adaptive_kernelIlld21rocsparse_complex_numIdES2_S2_EEvbT_S3_PKS3_NS_24const_host_device_scalarIT4_EES5_PKT0_PKT1_PKT2_S8_PT3_21rocsparse_index_base_b.private_seg_size, 0
	.set _ZN9rocsparseL27csrmvn_symm_adaptive_kernelIlld21rocsparse_complex_numIdES2_S2_EEvbT_S3_PKS3_NS_24const_host_device_scalarIT4_EES5_PKT0_PKT1_PKT2_S8_PT3_21rocsparse_index_base_b.uses_vcc, 1
	.set _ZN9rocsparseL27csrmvn_symm_adaptive_kernelIlld21rocsparse_complex_numIdES2_S2_EEvbT_S3_PKS3_NS_24const_host_device_scalarIT4_EES5_PKT0_PKT1_PKT2_S8_PT3_21rocsparse_index_base_b.uses_flat_scratch, 0
	.set _ZN9rocsparseL27csrmvn_symm_adaptive_kernelIlld21rocsparse_complex_numIdES2_S2_EEvbT_S3_PKS3_NS_24const_host_device_scalarIT4_EES5_PKT0_PKT1_PKT2_S8_PT3_21rocsparse_index_base_b.has_dyn_sized_stack, 0
	.set _ZN9rocsparseL27csrmvn_symm_adaptive_kernelIlld21rocsparse_complex_numIdES2_S2_EEvbT_S3_PKS3_NS_24const_host_device_scalarIT4_EES5_PKT0_PKT1_PKT2_S8_PT3_21rocsparse_index_base_b.has_recursion, 0
	.set _ZN9rocsparseL27csrmvn_symm_adaptive_kernelIlld21rocsparse_complex_numIdES2_S2_EEvbT_S3_PKS3_NS_24const_host_device_scalarIT4_EES5_PKT0_PKT1_PKT2_S8_PT3_21rocsparse_index_base_b.has_indirect_call, 0
	.section	.AMDGPU.csdata,"",@progbits
; Kernel info:
; codeLenInByte = 12916
; TotalNumSgprs: 44
; NumVgprs: 33
; ScratchSize: 0
; MemoryBound: 0
; FloatMode: 240
; IeeeMode: 1
; LDSByteSize: 16384 bytes/workgroup (compile time only)
; SGPRBlocks: 0
; VGPRBlocks: 4
; NumSGPRsForWavesPerEU: 44
; NumVGPRsForWavesPerEU: 33
; Occupancy: 16
; WaveLimiterHint : 1
; COMPUTE_PGM_RSRC2:SCRATCH_EN: 0
; COMPUTE_PGM_RSRC2:USER_SGPR: 2
; COMPUTE_PGM_RSRC2:TRAP_HANDLER: 0
; COMPUTE_PGM_RSRC2:TGID_X_EN: 1
; COMPUTE_PGM_RSRC2:TGID_Y_EN: 0
; COMPUTE_PGM_RSRC2:TGID_Z_EN: 0
; COMPUTE_PGM_RSRC2:TIDIG_COMP_CNT: 0
	.section	.text._ZL33csrmvn_symm_large_adaptive_kernelIlld21rocsparse_complex_numIdES1_S1_EvbT_PKS2_N9rocsparse24const_host_device_scalarIT4_EES4_PKT0_PKT1_PKT2_S8_PT3_21rocsparse_index_base_b,"axG",@progbits,_ZL33csrmvn_symm_large_adaptive_kernelIlld21rocsparse_complex_numIdES1_S1_EvbT_PKS2_N9rocsparse24const_host_device_scalarIT4_EES4_PKT0_PKT1_PKT2_S8_PT3_21rocsparse_index_base_b,comdat
	.globl	_ZL33csrmvn_symm_large_adaptive_kernelIlld21rocsparse_complex_numIdES1_S1_EvbT_PKS2_N9rocsparse24const_host_device_scalarIT4_EES4_PKT0_PKT1_PKT2_S8_PT3_21rocsparse_index_base_b ; -- Begin function _ZL33csrmvn_symm_large_adaptive_kernelIlld21rocsparse_complex_numIdES1_S1_EvbT_PKS2_N9rocsparse24const_host_device_scalarIT4_EES4_PKT0_PKT1_PKT2_S8_PT3_21rocsparse_index_base_b
	.p2align	8
	.type	_ZL33csrmvn_symm_large_adaptive_kernelIlld21rocsparse_complex_numIdES1_S1_EvbT_PKS2_N9rocsparse24const_host_device_scalarIT4_EES4_PKT0_PKT1_PKT2_S8_PT3_21rocsparse_index_base_b,@function
_ZL33csrmvn_symm_large_adaptive_kernelIlld21rocsparse_complex_numIdES1_S1_EvbT_PKS2_N9rocsparse24const_host_device_scalarIT4_EES4_PKT0_PKT1_PKT2_S8_PT3_21rocsparse_index_base_b: ; @_ZL33csrmvn_symm_large_adaptive_kernelIlld21rocsparse_complex_numIdES1_S1_EvbT_PKS2_N9rocsparse24const_host_device_scalarIT4_EES4_PKT0_PKT1_PKT2_S8_PT3_21rocsparse_index_base_b
; %bb.0:
	s_clause 0x1
	s_load_b64 s[6:7], s[0:1], 0x60
	s_load_b64 s[4:5], s[0:1], 0x18
	s_add_nc_u64 s[8:9], s[0:1], 24
	s_wait_kmcnt 0x0
	s_bitcmp1_b32 s7, 0
	s_cselect_b32 s3, -1, 0
	s_delay_alu instid0(SALU_CYCLE_1) | instskip(SKIP_2) | instid1(SALU_CYCLE_1)
	s_and_b32 s2, s3, exec_lo
	s_cselect_b32 s2, s8, s4
	s_cselect_b32 s4, s9, s5
	v_dual_mov_b32 v1, s2 :: v_dual_mov_b32 v2, s4
	flat_load_b128 v[1:4], v[1:2]
	s_wait_loadcnt_dscnt 0x0
	v_cmp_eq_f64_e32 vcc_lo, 0, v[1:2]
	v_cmp_eq_f64_e64 s2, 0, v[3:4]
	s_and_b32 s5, vcc_lo, s2
	s_mov_b32 s2, -1
	s_wait_alu 0xfffe
	s_and_saveexec_b32 s4, s5
	s_cbranch_execz .LBB108_2
; %bb.1:
	s_load_b64 s[8:9], s[0:1], 0x48
	s_add_nc_u64 s[10:11], s[0:1], 0x48
	s_and_b32 s2, s3, exec_lo
	s_wait_kmcnt 0x0
	s_cselect_b32 s2, s10, s8
	s_cselect_b32 s3, s11, s9
	s_wait_alu 0xfffe
	v_dual_mov_b32 v5, s2 :: v_dual_mov_b32 v6, s3
	flat_load_b128 v[5:8], v[5:6]
	s_wait_loadcnt_dscnt 0x0
	v_cmp_neq_f64_e32 vcc_lo, 1.0, v[5:6]
	v_cmp_neq_f64_e64 s2, 0, v[7:8]
	s_or_b32 s2, vcc_lo, s2
	s_wait_alu 0xfffe
	s_or_not1_b32 s2, s2, exec_lo
.LBB108_2:
	s_wait_alu 0xfffe
	s_or_b32 exec_lo, exec_lo, s4
	s_and_saveexec_b32 s3, s2
	s_cbranch_execz .LBB108_45
; %bb.3:
	s_load_b64 s[4:5], s[0:1], 0x10
	s_mov_b32 s24, 0
	s_mov_b32 s2, ttmp9
	s_mov_b32 s25, s24
	s_mov_b32 s26, s24
	s_mov_b32 s27, s24
	s_delay_alu instid0(SALU_CYCLE_1)
	v_dual_mov_b32 v5, s24 :: v_dual_mov_b32 v8, s27
	s_ashr_i32 s3, ttmp9, 31
	v_dual_mov_b32 v6, s25 :: v_dual_lshlrev_b32 v15, 4, v0
	v_dual_mov_b32 v7, s26 :: v_dual_mov_b32 v18, 0
	s_wait_alu 0xfffe
	s_lshl_b64 s[2:3], s[2:3], 3
	ds_store_b128 v15, v[5:8]
	ds_store_b128 v15, v[5:8] offset:4096
	ds_store_b128 v15, v[5:8] offset:8192
	;; [unrolled: 1-line block ×3, first 2 shown]
	s_wait_dscnt 0x0
	s_barrier_signal -1
	s_barrier_wait -1
	s_wait_kmcnt 0x0
	s_wait_alu 0xfffe
	s_add_nc_u64 s[2:3], s[4:5], s[2:3]
	global_inv scope:SCOPE_SE
	s_load_b128 s[16:19], s[2:3], 0x0
	s_clause 0x1
	s_load_b64 s[20:21], s[0:1], 0x58
	s_load_b256 s[8:15], s[0:1], 0x28
	v_sub_co_u32 v16, s1, v0, s6
	s_delay_alu instid0(VALU_DEP_1)
	v_sub_co_ci_u32_e64 v17, null, 0, 0, s1
	s_mov_b32 s7, s24
	s_wait_kmcnt 0x0
	v_cmp_ge_i64_e64 s0, s[16:17], s[18:19]
	s_and_b32 vcc_lo, exec_lo, s0
	s_cbranch_vccnz .LBB108_33
; %bb.4:
	v_cmp_gt_u32_e64 s0, 0x100, v0
	v_cmp_gt_u32_e64 s1, 64, v0
	;; [unrolled: 1-line block ×4, first 2 shown]
	v_cmp_eq_u32_e64 s4, 0, v0
	s_mov_b64 s[22:23], s[16:17]
	s_branch .LBB108_6
.LBB108_5:                              ;   in Loop: Header=BB108_6 Depth=1
	s_wait_alu 0xfffe
	s_or_b32 exec_lo, exec_lo, s5
	s_add_nc_u64 s[22:23], s[22:23], 1
	s_wait_alu 0xfffe
	v_cmp_ge_i64_e64 s5, s[22:23], s[18:19]
	s_and_b32 vcc_lo, exec_lo, s5
	s_wait_alu 0xfffe
	s_cbranch_vccnz .LBB108_33
.LBB108_6:                              ; =>This Loop Header: Depth=1
                                        ;     Child Loop BB108_8 Depth 2
                                        ;     Child Loop BB108_22 Depth 2
	;; [unrolled: 1-line block ×5, first 2 shown]
	s_lshl_b64 s[24:25], s[22:23], 3
	v_mov_b32_e32 v7, 0
	s_wait_alu 0xfffe
	s_add_nc_u64 s[24:25], s[8:9], s[24:25]
	v_dual_mov_b32 v8, 0 :: v_dual_mov_b32 v5, 0
	s_load_b128 s[24:27], s[24:25], 0x0
	v_mov_b32_e32 v6, 0
	s_wait_kmcnt 0x0
	v_add_co_u32 v9, vcc_lo, s24, v16
	s_wait_alu 0xfffd
	v_add_co_ci_u32_e64 v10, null, s25, v17, vcc_lo
	s_sub_nc_u64 s[24:25], s[26:27], s[6:7]
	s_mov_b32 s26, exec_lo
	s_wait_alu 0xfffe
	v_cmpx_gt_i64_e64 s[24:25], v[9:10]
	s_cbranch_execz .LBB108_10
; %bb.7:                                ;   in Loop: Header=BB108_6 Depth=1
	v_lshlrev_b64_e32 v[5:6], 3, v[9:10]
	v_mov_b32_e32 v7, 0
	v_mov_b32_e32 v8, 0
	s_mov_b32 s27, 0
	s_delay_alu instid0(VALU_DEP_3)
	v_add_co_u32 v11, vcc_lo, s10, v5
	s_wait_alu 0xfffd
	v_add_co_ci_u32_e64 v12, null, s11, v6, vcc_lo
	v_add_co_u32 v13, vcc_lo, s12, v5
	s_wait_alu 0xfffd
	v_add_co_ci_u32_e64 v14, null, s13, v6, vcc_lo
	v_dual_mov_b32 v5, v7 :: v_dual_mov_b32 v6, v8
.LBB108_8:                              ;   Parent Loop BB108_6 Depth=1
                                        ; =>  This Inner Loop Header: Depth=2
	global_load_b64 v[19:20], v[11:12], off
	s_wait_loadcnt 0x0
	v_sub_co_u32 v19, vcc_lo, v19, s6
	s_wait_alu 0xfffd
	v_subrev_co_ci_u32_e64 v20, null, 0, v20, vcc_lo
	s_delay_alu instid0(VALU_DEP_1) | instskip(NEXT) | instid1(VALU_DEP_1)
	v_lshlrev_b64_e32 v[19:20], 4, v[19:20]
	v_add_co_u32 v19, vcc_lo, s14, v19
	s_wait_alu 0xfffd
	s_delay_alu instid0(VALU_DEP_2)
	v_add_co_ci_u32_e64 v20, null, s15, v20, vcc_lo
	v_add_co_u32 v9, vcc_lo, 0x100, v9
	global_load_b64 v[23:24], v[13:14], off
	global_load_b128 v[19:22], v[19:20], off
	s_wait_alu 0xfffd
	v_add_co_ci_u32_e64 v10, null, 0, v10, vcc_lo
	v_add_co_u32 v11, vcc_lo, 0x800, v11
	s_wait_alu 0xfffd
	v_add_co_ci_u32_e64 v12, null, 0, v12, vcc_lo
	s_delay_alu instid0(VALU_DEP_3)
	v_cmp_le_i64_e32 vcc_lo, s[24:25], v[9:10]
	v_add_co_u32 v13, s5, 0x800, v13
	s_wait_alu 0xf1ff
	v_add_co_ci_u32_e64 v14, null, 0, v14, s5
	s_wait_alu 0xfffe
	s_or_b32 s27, vcc_lo, s27
	s_wait_loadcnt 0x0
	v_fma_f64 v[5:6], v[23:24], v[19:20], v[5:6]
	v_fma_f64 v[7:8], v[19:20], 0, v[7:8]
	s_delay_alu instid0(VALU_DEP_2) | instskip(NEXT) | instid1(VALU_DEP_2)
	v_fma_f64 v[5:6], 0x80000000, v[21:22], v[5:6]
	v_fma_f64 v[7:8], v[23:24], v[21:22], v[7:8]
	s_wait_alu 0xfffe
	s_and_not1_b32 exec_lo, exec_lo, s27
	s_cbranch_execnz .LBB108_8
; %bb.9:                                ;   in Loop: Header=BB108_6 Depth=1
	s_or_b32 exec_lo, exec_lo, s27
.LBB108_10:                             ;   in Loop: Header=BB108_6 Depth=1
	s_delay_alu instid0(SALU_CYCLE_1)
	s_or_b32 exec_lo, exec_lo, s26
	ds_store_b128 v15, v[5:8]
	s_wait_loadcnt_dscnt 0x0
	s_barrier_signal -1
	s_barrier_wait -1
	global_inv scope:SCOPE_SE
	s_and_saveexec_b32 s5, s0
	s_cbranch_execz .LBB108_12
; %bb.11:                               ;   in Loop: Header=BB108_6 Depth=1
	ds_load_b128 v[5:8], v15 offset:4096
	ds_load_b128 v[9:12], v15 offset:8192
	ds_load_b128 v[19:22], v15 offset:12288
	ds_load_b128 v[23:26], v15
	s_wait_dscnt 0x2
	v_add_f64_e32 v[5:6], v[9:10], v[5:6]
	v_add_f64_e32 v[7:8], v[11:12], v[7:8]
	s_wait_dscnt 0x1
	s_delay_alu instid0(VALU_DEP_2) | instskip(NEXT) | instid1(VALU_DEP_2)
	v_add_f64_e32 v[5:6], v[5:6], v[19:20]
	v_add_f64_e32 v[7:8], v[7:8], v[21:22]
	s_wait_dscnt 0x0
	s_delay_alu instid0(VALU_DEP_2) | instskip(NEXT) | instid1(VALU_DEP_2)
	v_add_f64_e32 v[5:6], v[5:6], v[23:24]
	v_add_f64_e32 v[7:8], v[7:8], v[25:26]
	ds_store_b128 v15, v[5:8]
.LBB108_12:                             ;   in Loop: Header=BB108_6 Depth=1
	s_wait_alu 0xfffe
	s_or_b32 exec_lo, exec_lo, s5
	s_wait_loadcnt_dscnt 0x0
	s_barrier_signal -1
	s_barrier_wait -1
	global_inv scope:SCOPE_SE
	s_and_saveexec_b32 s5, s1
	s_cbranch_execz .LBB108_14
; %bb.13:                               ;   in Loop: Header=BB108_6 Depth=1
	ds_load_b128 v[5:8], v15 offset:1024
	ds_load_b128 v[9:12], v15 offset:2048
	ds_load_b128 v[19:22], v15 offset:3072
	ds_load_b128 v[23:26], v15
	s_wait_dscnt 0x2
	v_add_f64_e32 v[5:6], v[9:10], v[5:6]
	v_add_f64_e32 v[7:8], v[11:12], v[7:8]
	s_wait_dscnt 0x1
	s_delay_alu instid0(VALU_DEP_2) | instskip(NEXT) | instid1(VALU_DEP_2)
	v_add_f64_e32 v[5:6], v[5:6], v[19:20]
	v_add_f64_e32 v[7:8], v[7:8], v[21:22]
	s_wait_dscnt 0x0
	s_delay_alu instid0(VALU_DEP_2) | instskip(NEXT) | instid1(VALU_DEP_2)
	v_add_f64_e32 v[5:6], v[5:6], v[23:24]
	v_add_f64_e32 v[7:8], v[7:8], v[25:26]
	ds_store_b128 v15, v[5:8]
.LBB108_14:                             ;   in Loop: Header=BB108_6 Depth=1
	s_wait_alu 0xfffe
	s_or_b32 exec_lo, exec_lo, s5
	;; [unrolled: 26-line block ×5, first 2 shown]
	s_wait_loadcnt_dscnt 0x0
	s_barrier_signal -1
	s_barrier_wait -1
	global_inv scope:SCOPE_SE
	s_and_saveexec_b32 s5, s4
	s_cbranch_execz .LBB108_5
; %bb.21:                               ;   in Loop: Header=BB108_6 Depth=1
	ds_load_b128 v[5:8], v18
	v_mov_b32_e32 v13, 0
	v_bfrev_b32_e32 v14, 1
	s_mov_b32 s24, exec_lo
	s_wait_dscnt 0x0
	v_mul_f64_e64 v[9:10], v[7:8], -v[3:4]
	s_delay_alu instid0(VALU_DEP_1)
	v_fma_f64 v[9:10], v[1:2], v[5:6], v[9:10]
.LBB108_22:                             ;   Parent Loop BB108_6 Depth=1
                                        ; =>  This Inner Loop Header: Depth=2
	s_wait_alu 0xfffe
	s_ctz_i32_b32 s25, s24
	s_wait_alu 0xfffe
	s_delay_alu instid0(VALU_DEP_1) | instskip(NEXT) | instid1(VALU_DEP_2)
	v_readlane_b32 s27, v10, s25
	v_readlane_b32 s26, v9, s25
	s_lshl_b32 s25, 1, s25
	s_wait_alu 0xfffe
	s_and_not1_b32 s24, s24, s25
	v_add_f64_e32 v[13:14], s[26:27], v[13:14]
	s_wait_alu 0xfffe
	s_cmp_lg_u32 s24, 0
	s_cbranch_scc1 .LBB108_22
; %bb.23:                               ;   in Loop: Header=BB108_6 Depth=1
	v_mbcnt_lo_u32_b32 v0, exec_lo, 0
	s_lshl_b64 s[24:25], s[22:23], 4
	s_mov_b32 s26, exec_lo
	s_wait_alu 0xfffe
	s_add_nc_u64 s[24:25], s[20:21], s[24:25]
	v_cmpx_eq_u32_e32 0, v0
	s_xor_b32 s26, exec_lo, s26
	s_cbranch_execz .LBB108_27
; %bb.24:                               ;   in Loop: Header=BB108_6 Depth=1
	global_load_b64 v[11:12], v18, s[24:25]
	s_mov_b32 s27, 0
.LBB108_25:                             ;   Parent Loop BB108_6 Depth=1
                                        ; =>  This Inner Loop Header: Depth=2
	s_wait_loadcnt 0x0
	v_add_f64_e32 v[9:10], v[11:12], v[13:14]
	global_atomic_cmpswap_b64 v[9:10], v18, v[9:12], s[24:25] th:TH_ATOMIC_RETURN scope:SCOPE_DEV
	s_wait_loadcnt 0x0
	v_cmp_eq_u64_e32 vcc_lo, v[9:10], v[11:12]
	v_dual_mov_b32 v12, v10 :: v_dual_mov_b32 v11, v9
	s_wait_alu 0xfffe
	s_or_b32 s27, vcc_lo, s27
	s_wait_alu 0xfffe
	s_and_not1_b32 exec_lo, exec_lo, s27
	s_cbranch_execnz .LBB108_25
; %bb.26:                               ;   in Loop: Header=BB108_6 Depth=1
	s_or_b32 exec_lo, exec_lo, s27
.LBB108_27:                             ;   in Loop: Header=BB108_6 Depth=1
	s_wait_alu 0xfffe
	s_or_b32 exec_lo, exec_lo, s26
	v_mul_f64_e32 v[7:8], v[1:2], v[7:8]
	v_mov_b32_e32 v9, 0
	v_bfrev_b32_e32 v10, 1
	s_mov_b32 s26, exec_lo
	s_delay_alu instid0(VALU_DEP_3)
	v_fma_f64 v[5:6], v[3:4], v[5:6], v[7:8]
.LBB108_28:                             ;   Parent Loop BB108_6 Depth=1
                                        ; =>  This Inner Loop Header: Depth=2
	s_wait_alu 0xfffe
	s_ctz_i32_b32 s27, s26
	s_wait_alu 0xfffe
	s_delay_alu instid0(VALU_DEP_1) | instskip(NEXT) | instid1(VALU_DEP_2)
	v_readlane_b32 s29, v6, s27
	v_readlane_b32 s28, v5, s27
	s_lshl_b32 s27, 1, s27
	s_wait_alu 0xfffe
	s_and_not1_b32 s26, s26, s27
	v_add_f64_e32 v[9:10], s[28:29], v[9:10]
	s_wait_alu 0xfffe
	s_cmp_lg_u32 s26, 0
	s_cbranch_scc1 .LBB108_28
; %bb.29:                               ;   in Loop: Header=BB108_6 Depth=1
	v_mbcnt_lo_u32_b32 v0, exec_lo, 0
	s_mov_b32 s26, exec_lo
	s_delay_alu instid0(VALU_DEP_1)
	v_cmpx_eq_u32_e32 0, v0
	s_wait_alu 0xfffe
	s_xor_b32 s26, exec_lo, s26
	s_cbranch_execz .LBB108_5
; %bb.30:                               ;   in Loop: Header=BB108_6 Depth=1
	global_load_b64 v[7:8], v18, s[24:25] offset:8
	s_mov_b32 s26, 0
.LBB108_31:                             ;   Parent Loop BB108_6 Depth=1
                                        ; =>  This Inner Loop Header: Depth=2
	s_wait_loadcnt 0x0
	v_add_f64_e32 v[5:6], v[7:8], v[9:10]
	global_atomic_cmpswap_b64 v[5:6], v18, v[5:8], s[24:25] offset:8 th:TH_ATOMIC_RETURN scope:SCOPE_DEV
	s_wait_loadcnt 0x0
	v_cmp_eq_u64_e32 vcc_lo, v[5:6], v[7:8]
	v_dual_mov_b32 v8, v6 :: v_dual_mov_b32 v7, v5
	s_wait_alu 0xfffe
	s_or_b32 s26, vcc_lo, s26
	s_wait_alu 0xfffe
	s_and_not1_b32 exec_lo, exec_lo, s26
	s_cbranch_execnz .LBB108_31
; %bb.32:                               ;   in Loop: Header=BB108_6 Depth=1
	s_or_b32 exec_lo, exec_lo, s26
	s_branch .LBB108_5
.LBB108_33:
	s_lshl_b64 s[0:1], s[16:17], 3
	s_lshl_b64 s[2:3], s[18:19], 3
	s_wait_alu 0xfffe
	s_add_nc_u64 s[0:1], s[8:9], s[0:1]
	s_add_nc_u64 s[2:3], s[8:9], s[2:3]
	s_clause 0x1
	s_load_b64 s[0:1], s[0:1], 0x0
	s_load_b64 s[2:3], s[2:3], 0x0
	s_wait_kmcnt 0x0
	v_add_co_u32 v13, vcc_lo, s0, v16
	s_wait_alu 0xfffd
	v_add_co_ci_u32_e64 v14, null, s1, v17, vcc_lo
	s_sub_nc_u64 s[2:3], s[2:3], s[6:7]
	s_wait_alu 0xfffe
	v_cmp_gt_i64_e32 vcc_lo, s[2:3], v[13:14]
	s_and_b32 exec_lo, exec_lo, vcc_lo
	s_cbranch_execz .LBB108_45
; %bb.34:
	v_mul_f64_e32 v[15:16], 0x80000000, v[3:4]
	v_mul_f64_e32 v[17:18], 0, v[1:2]
	s_add_nc_u64 s[4:5], s[18:19], -1
	s_add_nc_u64 s[0:1], s[18:19], -2
	s_wait_alu 0xfffe
	v_cmp_lt_i64_e64 s7, s[16:17], s[4:5]
	s_cmp_lg_u64 s[16:17], s[0:1]
	s_cselect_b32 s0, -1, 0
	s_wait_alu 0xfffe
	s_and_b32 s1, s7, s0
	s_mov_b32 s7, 0
	s_branch .LBB108_36
.LBB108_35:                             ;   in Loop: Header=BB108_36 Depth=1
	s_wait_alu 0xfffe
	s_or_b32 exec_lo, exec_lo, s0
	v_add_co_u32 v13, vcc_lo, 0x100, v13
	s_wait_alu 0xfffd
	v_add_co_ci_u32_e64 v14, null, 0, v14, vcc_lo
	s_delay_alu instid0(VALU_DEP_1)
	v_cmp_le_i64_e32 vcc_lo, s[2:3], v[13:14]
	s_or_b32 s7, vcc_lo, s7
	s_wait_alu 0xfffe
	s_and_not1_b32 exec_lo, exec_lo, s7
	s_cbranch_execz .LBB108_45
.LBB108_36:                             ; =>This Loop Header: Depth=1
                                        ;     Child Loop BB108_38 Depth 2
                                        ;     Child Loop BB108_42 Depth 2
	;; [unrolled: 1-line block ×3, first 2 shown]
	v_dual_mov_b32 v5, s16 :: v_dual_mov_b32 v6, s17
	v_dual_mov_b32 v8, s5 :: v_dual_mov_b32 v7, s4
	s_wait_alu 0xfffe
	s_and_not1_b32 vcc_lo, exec_lo, s1
	s_wait_alu 0xfffe
	s_cbranch_vccnz .LBB108_40
; %bb.37:                               ;   in Loop: Header=BB108_36 Depth=1
	v_dual_mov_b32 v5, s16 :: v_dual_mov_b32 v6, s17
	v_dual_mov_b32 v8, s5 :: v_dual_mov_b32 v7, s4
	s_mov_b32 s18, 0
.LBB108_38:                             ;   Parent Loop BB108_36 Depth=1
                                        ; =>  This Inner Loop Header: Depth=2
	s_delay_alu instid0(VALU_DEP_1) | instskip(SKIP_1) | instid1(VALU_DEP_2)
	v_add_co_u32 v0, vcc_lo, v7, v5
	s_wait_alu 0xfffd
	v_add_co_ci_u32_e64 v10, null, v8, v6, vcc_lo
	s_delay_alu instid0(VALU_DEP_1) | instskip(NEXT) | instid1(VALU_DEP_1)
	v_lshrrev_b32_e32 v9, 31, v10
	v_add_co_u32 v9, vcc_lo, v0, v9
	s_wait_alu 0xfffd
	v_add_co_ci_u32_e64 v10, null, 0, v10, vcc_lo
	s_delay_alu instid0(VALU_DEP_1) | instskip(NEXT) | instid1(VALU_DEP_1)
	v_ashrrev_i64 v[9:10], 1, v[9:10]
	v_lshlrev_b64_e32 v[11:12], 3, v[9:10]
	s_delay_alu instid0(VALU_DEP_1) | instskip(SKIP_1) | instid1(VALU_DEP_2)
	v_add_co_u32 v11, vcc_lo, s8, v11
	s_wait_alu 0xfffd
	v_add_co_ci_u32_e64 v12, null, s9, v12, vcc_lo
	global_load_b64 v[11:12], v[11:12], off
	s_wait_loadcnt 0x0
	v_sub_co_u32 v11, vcc_lo, v11, s6
	s_wait_alu 0xfffd
	v_subrev_co_ci_u32_e64 v12, null, 0, v12, vcc_lo
	s_delay_alu instid0(VALU_DEP_1) | instskip(SKIP_3) | instid1(VALU_DEP_2)
	v_cmp_lt_i64_e32 vcc_lo, v[13:14], v[11:12]
	s_wait_alu 0xfffd
	v_dual_cndmask_b32 v8, v8, v10 :: v_dual_cndmask_b32 v7, v7, v9
	v_dual_cndmask_b32 v6, v10, v6 :: v_dual_cndmask_b32 v5, v9, v5
	v_add_co_u32 v9, vcc_lo, v7, -1
	s_wait_alu 0xfffd
	s_delay_alu instid0(VALU_DEP_3) | instskip(NEXT) | instid1(VALU_DEP_3)
	v_add_co_ci_u32_e64 v10, null, -1, v8, vcc_lo
	v_cmp_ge_i64_e32 vcc_lo, v[5:6], v[7:8]
	s_delay_alu instid0(VALU_DEP_2)
	v_cmp_eq_u64_e64 s0, v[5:6], v[9:10]
	s_or_b32 s0, vcc_lo, s0
	s_wait_alu 0xfffe
	s_and_b32 s0, exec_lo, s0
	s_wait_alu 0xfffe
	s_or_b32 s18, s0, s18
	s_wait_alu 0xfffe
	s_and_not1_b32 exec_lo, exec_lo, s18
	s_cbranch_execnz .LBB108_38
; %bb.39:                               ;   in Loop: Header=BB108_36 Depth=1
	s_or_b32 exec_lo, exec_lo, s18
.LBB108_40:                             ;   in Loop: Header=BB108_36 Depth=1
	v_lshlrev_b64_e32 v[9:10], 3, v[7:8]
	v_lshlrev_b64_e32 v[11:12], 3, v[13:14]
	s_mov_b32 s0, exec_lo
	s_delay_alu instid0(VALU_DEP_2) | instskip(SKIP_1) | instid1(VALU_DEP_3)
	v_add_co_u32 v9, vcc_lo, s8, v9
	s_wait_alu 0xfffd
	v_add_co_ci_u32_e64 v10, null, s9, v10, vcc_lo
	s_delay_alu instid0(VALU_DEP_3)
	v_add_co_u32 v19, vcc_lo, s10, v11
	s_wait_alu 0xfffd
	v_add_co_ci_u32_e64 v20, null, s11, v12, vcc_lo
	global_load_b64 v[9:10], v[9:10], off
	global_load_b64 v[19:20], v[19:20], off
	s_wait_loadcnt 0x1
	v_sub_co_u32 v9, vcc_lo, v9, s6
	s_wait_alu 0xfffd
	v_subrev_co_ci_u32_e64 v10, null, 0, v10, vcc_lo
	s_delay_alu instid0(VALU_DEP_1)
	v_cmp_lt_i64_e32 vcc_lo, v[13:14], v[9:10]
	s_wait_alu 0xfffd
	v_dual_cndmask_b32 v6, v8, v6 :: v_dual_cndmask_b32 v5, v7, v5
	s_wait_loadcnt 0x0
	v_sub_co_u32 v9, vcc_lo, v19, s6
	s_wait_alu 0xfffd
	v_subrev_co_ci_u32_e64 v10, null, 0, v20, vcc_lo
	s_delay_alu instid0(VALU_DEP_1)
	v_cmpx_ne_u64_e64 v[9:10], v[5:6]
	s_cbranch_execz .LBB108_35
; %bb.41:                               ;   in Loop: Header=BB108_36 Depth=1
	v_add_co_u32 v7, vcc_lo, s12, v11
	s_wait_alu 0xfffd
	v_add_co_ci_u32_e64 v8, null, s13, v12, vcc_lo
	v_lshlrev_b64_e32 v[5:6], 4, v[5:6]
	v_lshlrev_b64_e32 v[9:10], 4, v[9:10]
	s_mov_b32 s18, 0
	global_load_b64 v[23:24], v[7:8], off
	v_add_co_u32 v5, vcc_lo, s14, v5
	s_wait_alu 0xfffd
	v_add_co_ci_u32_e64 v6, null, s15, v6, vcc_lo
	v_add_co_u32 v19, vcc_lo, s20, v9
	s_wait_alu 0xfffd
	v_add_co_ci_u32_e64 v20, null, s21, v10, vcc_lo
	global_load_b128 v[5:8], v[5:6], off
	global_load_b64 v[11:12], v[19:20], off
	s_wait_loadcnt 0x2
	v_fma_f64 v[21:22], v[3:4], v[23:24], v[17:18]
	v_fma_f64 v[23:24], v[1:2], v[23:24], v[15:16]
	s_wait_loadcnt 0x1
	s_delay_alu instid0(VALU_DEP_2) | instskip(NEXT) | instid1(VALU_DEP_1)
	v_mul_f64_e64 v[9:10], v[7:8], -v[21:22]
	v_fma_f64 v[25:26], v[23:24], v[5:6], v[9:10]
.LBB108_42:                             ;   Parent Loop BB108_36 Depth=1
                                        ; =>  This Inner Loop Header: Depth=2
	s_wait_loadcnt 0x0
	s_delay_alu instid0(VALU_DEP_1)
	v_add_f64_e32 v[9:10], v[11:12], v[25:26]
	global_atomic_cmpswap_b64 v[9:10], v[19:20], v[9:12], off th:TH_ATOMIC_RETURN scope:SCOPE_DEV
	s_wait_loadcnt 0x0
	v_cmp_eq_u64_e32 vcc_lo, v[9:10], v[11:12]
	v_dual_mov_b32 v12, v10 :: v_dual_mov_b32 v11, v9
	s_wait_alu 0xfffe
	s_or_b32 s18, vcc_lo, s18
	s_wait_alu 0xfffe
	s_and_not1_b32 exec_lo, exec_lo, s18
	s_cbranch_execnz .LBB108_42
; %bb.43:                               ;   in Loop: Header=BB108_36 Depth=1
	s_or_b32 exec_lo, exec_lo, s18
	global_load_b64 v[9:10], v[19:20], off offset:8
	v_mul_f64_e32 v[7:8], v[23:24], v[7:8]
	s_mov_b32 s18, 0
	s_delay_alu instid0(VALU_DEP_1)
	v_fma_f64 v[5:6], v[21:22], v[5:6], v[7:8]
.LBB108_44:                             ;   Parent Loop BB108_36 Depth=1
                                        ; =>  This Inner Loop Header: Depth=2
	s_wait_loadcnt 0x0
	s_delay_alu instid0(VALU_DEP_1)
	v_add_f64_e32 v[7:8], v[9:10], v[5:6]
	global_atomic_cmpswap_b64 v[7:8], v[19:20], v[7:10], off offset:8 th:TH_ATOMIC_RETURN scope:SCOPE_DEV
	s_wait_loadcnt 0x0
	v_cmp_eq_u64_e32 vcc_lo, v[7:8], v[9:10]
	v_dual_mov_b32 v10, v8 :: v_dual_mov_b32 v9, v7
	s_wait_alu 0xfffe
	s_or_b32 s18, vcc_lo, s18
	s_wait_alu 0xfffe
	s_and_not1_b32 exec_lo, exec_lo, s18
	s_cbranch_execnz .LBB108_44
	s_branch .LBB108_35
.LBB108_45:
	s_endpgm
	.section	.rodata,"a",@progbits
	.p2align	6, 0x0
	.amdhsa_kernel _ZL33csrmvn_symm_large_adaptive_kernelIlld21rocsparse_complex_numIdES1_S1_EvbT_PKS2_N9rocsparse24const_host_device_scalarIT4_EES4_PKT0_PKT1_PKT2_S8_PT3_21rocsparse_index_base_b
		.amdhsa_group_segment_fixed_size 16384
		.amdhsa_private_segment_fixed_size 0
		.amdhsa_kernarg_size 104
		.amdhsa_user_sgpr_count 2
		.amdhsa_user_sgpr_dispatch_ptr 0
		.amdhsa_user_sgpr_queue_ptr 0
		.amdhsa_user_sgpr_kernarg_segment_ptr 1
		.amdhsa_user_sgpr_dispatch_id 0
		.amdhsa_user_sgpr_private_segment_size 0
		.amdhsa_wavefront_size32 1
		.amdhsa_uses_dynamic_stack 0
		.amdhsa_enable_private_segment 0
		.amdhsa_system_sgpr_workgroup_id_x 1
		.amdhsa_system_sgpr_workgroup_id_y 0
		.amdhsa_system_sgpr_workgroup_id_z 0
		.amdhsa_system_sgpr_workgroup_info 0
		.amdhsa_system_vgpr_workitem_id 0
		.amdhsa_next_free_vgpr 27
		.amdhsa_next_free_sgpr 30
		.amdhsa_reserve_vcc 1
		.amdhsa_float_round_mode_32 0
		.amdhsa_float_round_mode_16_64 0
		.amdhsa_float_denorm_mode_32 3
		.amdhsa_float_denorm_mode_16_64 3
		.amdhsa_fp16_overflow 0
		.amdhsa_workgroup_processor_mode 1
		.amdhsa_memory_ordered 1
		.amdhsa_forward_progress 1
		.amdhsa_inst_pref_size 24
		.amdhsa_round_robin_scheduling 0
		.amdhsa_exception_fp_ieee_invalid_op 0
		.amdhsa_exception_fp_denorm_src 0
		.amdhsa_exception_fp_ieee_div_zero 0
		.amdhsa_exception_fp_ieee_overflow 0
		.amdhsa_exception_fp_ieee_underflow 0
		.amdhsa_exception_fp_ieee_inexact 0
		.amdhsa_exception_int_div_zero 0
	.end_amdhsa_kernel
	.section	.text._ZL33csrmvn_symm_large_adaptive_kernelIlld21rocsparse_complex_numIdES1_S1_EvbT_PKS2_N9rocsparse24const_host_device_scalarIT4_EES4_PKT0_PKT1_PKT2_S8_PT3_21rocsparse_index_base_b,"axG",@progbits,_ZL33csrmvn_symm_large_adaptive_kernelIlld21rocsparse_complex_numIdES1_S1_EvbT_PKS2_N9rocsparse24const_host_device_scalarIT4_EES4_PKT0_PKT1_PKT2_S8_PT3_21rocsparse_index_base_b,comdat
.Lfunc_end108:
	.size	_ZL33csrmvn_symm_large_adaptive_kernelIlld21rocsparse_complex_numIdES1_S1_EvbT_PKS2_N9rocsparse24const_host_device_scalarIT4_EES4_PKT0_PKT1_PKT2_S8_PT3_21rocsparse_index_base_b, .Lfunc_end108-_ZL33csrmvn_symm_large_adaptive_kernelIlld21rocsparse_complex_numIdES1_S1_EvbT_PKS2_N9rocsparse24const_host_device_scalarIT4_EES4_PKT0_PKT1_PKT2_S8_PT3_21rocsparse_index_base_b
                                        ; -- End function
	.set _ZL33csrmvn_symm_large_adaptive_kernelIlld21rocsparse_complex_numIdES1_S1_EvbT_PKS2_N9rocsparse24const_host_device_scalarIT4_EES4_PKT0_PKT1_PKT2_S8_PT3_21rocsparse_index_base_b.num_vgpr, 27
	.set _ZL33csrmvn_symm_large_adaptive_kernelIlld21rocsparse_complex_numIdES1_S1_EvbT_PKS2_N9rocsparse24const_host_device_scalarIT4_EES4_PKT0_PKT1_PKT2_S8_PT3_21rocsparse_index_base_b.num_agpr, 0
	.set _ZL33csrmvn_symm_large_adaptive_kernelIlld21rocsparse_complex_numIdES1_S1_EvbT_PKS2_N9rocsparse24const_host_device_scalarIT4_EES4_PKT0_PKT1_PKT2_S8_PT3_21rocsparse_index_base_b.numbered_sgpr, 30
	.set _ZL33csrmvn_symm_large_adaptive_kernelIlld21rocsparse_complex_numIdES1_S1_EvbT_PKS2_N9rocsparse24const_host_device_scalarIT4_EES4_PKT0_PKT1_PKT2_S8_PT3_21rocsparse_index_base_b.num_named_barrier, 0
	.set _ZL33csrmvn_symm_large_adaptive_kernelIlld21rocsparse_complex_numIdES1_S1_EvbT_PKS2_N9rocsparse24const_host_device_scalarIT4_EES4_PKT0_PKT1_PKT2_S8_PT3_21rocsparse_index_base_b.private_seg_size, 0
	.set _ZL33csrmvn_symm_large_adaptive_kernelIlld21rocsparse_complex_numIdES1_S1_EvbT_PKS2_N9rocsparse24const_host_device_scalarIT4_EES4_PKT0_PKT1_PKT2_S8_PT3_21rocsparse_index_base_b.uses_vcc, 1
	.set _ZL33csrmvn_symm_large_adaptive_kernelIlld21rocsparse_complex_numIdES1_S1_EvbT_PKS2_N9rocsparse24const_host_device_scalarIT4_EES4_PKT0_PKT1_PKT2_S8_PT3_21rocsparse_index_base_b.uses_flat_scratch, 0
	.set _ZL33csrmvn_symm_large_adaptive_kernelIlld21rocsparse_complex_numIdES1_S1_EvbT_PKS2_N9rocsparse24const_host_device_scalarIT4_EES4_PKT0_PKT1_PKT2_S8_PT3_21rocsparse_index_base_b.has_dyn_sized_stack, 0
	.set _ZL33csrmvn_symm_large_adaptive_kernelIlld21rocsparse_complex_numIdES1_S1_EvbT_PKS2_N9rocsparse24const_host_device_scalarIT4_EES4_PKT0_PKT1_PKT2_S8_PT3_21rocsparse_index_base_b.has_recursion, 0
	.set _ZL33csrmvn_symm_large_adaptive_kernelIlld21rocsparse_complex_numIdES1_S1_EvbT_PKS2_N9rocsparse24const_host_device_scalarIT4_EES4_PKT0_PKT1_PKT2_S8_PT3_21rocsparse_index_base_b.has_indirect_call, 0
	.section	.AMDGPU.csdata,"",@progbits
; Kernel info:
; codeLenInByte = 2952
; TotalNumSgprs: 32
; NumVgprs: 27
; ScratchSize: 0
; MemoryBound: 0
; FloatMode: 240
; IeeeMode: 1
; LDSByteSize: 16384 bytes/workgroup (compile time only)
; SGPRBlocks: 0
; VGPRBlocks: 3
; NumSGPRsForWavesPerEU: 32
; NumVGPRsForWavesPerEU: 27
; Occupancy: 16
; WaveLimiterHint : 1
; COMPUTE_PGM_RSRC2:SCRATCH_EN: 0
; COMPUTE_PGM_RSRC2:USER_SGPR: 2
; COMPUTE_PGM_RSRC2:TRAP_HANDLER: 0
; COMPUTE_PGM_RSRC2:TGID_X_EN: 1
; COMPUTE_PGM_RSRC2:TGID_Y_EN: 0
; COMPUTE_PGM_RSRC2:TGID_Z_EN: 0
; COMPUTE_PGM_RSRC2:TIDIG_COMP_CNT: 0
	.section	.text._ZN9rocsparseL22csrmvn_adaptive_kernelIii21rocsparse_complex_numIfES1_IdES3_S3_EEvbT_PKS4_PjPKT0_NS_24const_host_device_scalarIT4_EES6_SA_PKT1_PKT2_SD_PT3_21rocsparse_index_base_b,"axG",@progbits,_ZN9rocsparseL22csrmvn_adaptive_kernelIii21rocsparse_complex_numIfES1_IdES3_S3_EEvbT_PKS4_PjPKT0_NS_24const_host_device_scalarIT4_EES6_SA_PKT1_PKT2_SD_PT3_21rocsparse_index_base_b,comdat
	.globl	_ZN9rocsparseL22csrmvn_adaptive_kernelIii21rocsparse_complex_numIfES1_IdES3_S3_EEvbT_PKS4_PjPKT0_NS_24const_host_device_scalarIT4_EES6_SA_PKT1_PKT2_SD_PT3_21rocsparse_index_base_b ; -- Begin function _ZN9rocsparseL22csrmvn_adaptive_kernelIii21rocsparse_complex_numIfES1_IdES3_S3_EEvbT_PKS4_PjPKT0_NS_24const_host_device_scalarIT4_EES6_SA_PKT1_PKT2_SD_PT3_21rocsparse_index_base_b
	.p2align	8
	.type	_ZN9rocsparseL22csrmvn_adaptive_kernelIii21rocsparse_complex_numIfES1_IdES3_S3_EEvbT_PKS4_PjPKT0_NS_24const_host_device_scalarIT4_EES6_SA_PKT1_PKT2_SD_PT3_21rocsparse_index_base_b,@function
_ZN9rocsparseL22csrmvn_adaptive_kernelIii21rocsparse_complex_numIfES1_IdES3_S3_EEvbT_PKS4_PjPKT0_NS_24const_host_device_scalarIT4_EES6_SA_PKT1_PKT2_SD_PT3_21rocsparse_index_base_b: ; @_ZN9rocsparseL22csrmvn_adaptive_kernelIii21rocsparse_complex_numIfES1_IdES3_S3_EEvbT_PKS4_PjPKT0_NS_24const_host_device_scalarIT4_EES6_SA_PKT1_PKT2_SD_PT3_21rocsparse_index_base_b
; %bb.0:
	s_clause 0x1
	s_load_b64 s[28:29], s[0:1], 0x68
	s_load_b64 s[2:3], s[0:1], 0x20
	s_add_nc_u64 s[4:5], s[0:1], 32
	s_load_b64 s[6:7], s[0:1], 0x50
	s_wait_kmcnt 0x0
	s_bitcmp1_b32 s29, 0
	s_cselect_b32 s2, s4, s2
	s_cselect_b32 s3, s5, s3
	s_delay_alu instid0(SALU_CYCLE_1)
	v_dual_mov_b32 v1, s2 :: v_dual_mov_b32 v2, s3
	s_add_nc_u64 s[2:3], s[0:1], 0x50
	s_wait_alu 0xfffe
	s_cselect_b32 s2, s2, s6
	s_cselect_b32 s3, s3, s7
	flat_load_b128 v[5:8], v[1:2]
	s_wait_alu 0xfffe
	v_dual_mov_b32 v1, s2 :: v_dual_mov_b32 v2, s3
	flat_load_b128 v[1:4], v[1:2]
	s_wait_loadcnt_dscnt 0x101
	v_cmp_eq_f64_e32 vcc_lo, 0, v[5:6]
	v_cmp_eq_f64_e64 s2, 0, v[7:8]
	s_and_b32 s4, vcc_lo, s2
	s_mov_b32 s2, -1
	s_and_saveexec_b32 s3, s4
	s_cbranch_execz .LBB109_2
; %bb.1:
	s_wait_loadcnt_dscnt 0x0
	v_cmp_neq_f64_e32 vcc_lo, 1.0, v[1:2]
	v_cmp_neq_f64_e64 s2, 0, v[3:4]
	s_wait_alu 0xfffe
	s_or_b32 s2, vcc_lo, s2
	s_wait_alu 0xfffe
	s_or_not1_b32 s2, s2, exec_lo
.LBB109_2:
	s_wait_alu 0xfffe
	s_or_b32 exec_lo, exec_lo, s3
	s_and_saveexec_b32 s3, s2
	s_cbranch_execz .LBB109_116
; %bb.3:
	s_clause 0x1
	s_load_b128 s[20:23], s[0:1], 0x0
	s_load_b64 s[2:3], s[0:1], 0x18
	s_mov_b32 s34, ttmp9
	s_wait_kmcnt 0x0
	s_bitcmp1_b32 s20, 0
	s_cselect_b32 s29, -1, 0
	s_ashr_i32 s35, ttmp9, 31
	s_delay_alu instid0(SALU_CYCLE_1) | instskip(NEXT) | instid1(SALU_CYCLE_1)
	s_lshl_b64 s[36:37], s[34:35], 2
	s_add_nc_u64 s[4:5], s[22:23], s[36:37]
	s_load_b64 s[24:25], s[4:5], 0x0
	s_load_b256 s[12:19], s[0:1], 0x30
	s_add_nc_u64 s[2:3], s[2:3], s[36:37]
	s_load_b64 s[22:23], s[0:1], 0x60
	s_wait_kmcnt 0x0
	s_ashr_i32 s31, s24, 31
	s_mov_b32 s30, s24
	s_delay_alu instid0(SALU_CYCLE_1) | instskip(NEXT) | instid1(SALU_CYCLE_1)
	s_lshl_b64 s[4:5], s[30:31], 2
	s_add_nc_u64 s[26:27], s[12:13], s[4:5]
	s_load_b32 s11, s[2:3], 0x0
	s_load_b32 s20, s[26:27], 0x0
	s_sub_co_i32 s3, s25, s24
	s_mov_b32 s2, -1
	s_wait_alu 0xfffe
	s_cmp_lt_i32 s3, 2
	s_cbranch_scc0 .LBB109_72
; %bb.4:
	s_cmp_lg_u32 s3, 1
	v_cmp_gt_u32_e64 s2, 0x80, v0
	s_cselect_b32 s4, -1, 0
	s_wait_kmcnt 0x0
	s_cmp_lg_u32 s11, 0
	v_cmp_gt_u32_e64 s3, 64, v0
	s_cselect_b32 s5, -1, 0
	v_cmp_gt_u32_e64 s6, 8, v0
	s_or_b32 s5, s4, s5
	v_cmp_gt_u32_e64 s4, 32, v0
	s_and_b32 vcc_lo, exec_lo, s5
	v_cmp_gt_u32_e64 s5, 16, v0
	v_cmp_gt_u32_e64 s7, 4, v0
	;; [unrolled: 1-line block ×3, first 2 shown]
	v_cmp_eq_u32_e64 s9, 0, v0
	s_mov_b32 s10, -1
	s_cbranch_vccnz .LBB109_32
; %bb.5:
	s_wait_loadcnt_dscnt 0x0
	v_cmp_neq_f64_e32 vcc_lo, 0, v[1:2]
	v_cmp_neq_f64_e64 s10, 0, v[3:4]
	v_subrev_nc_u32_e32 v18, s28, v0
	v_dual_mov_b32 v20, 0 :: v_dual_lshlrev_b32 v19, 4, v0
	s_add_nc_u64 s[38:39], s[16:17], 4
	s_mov_b32 s40, s24
	s_or_b32 s33, vcc_lo, s10
	s_branch .LBB109_8
.LBB109_6:                              ;   in Loop: Header=BB109_8 Depth=1
	s_or_b32 exec_lo, exec_lo, s35
	s_lshl_b64 s[42:43], s[40:41], 4
	s_wait_alu 0xfffe
	s_add_nc_u64 s[42:43], s[22:23], s[42:43]
	s_wait_dscnt 0x0
	global_store_b128 v20, v[9:12], s[42:43]
.LBB109_7:                              ;   in Loop: Header=BB109_8 Depth=1
	s_wait_alu 0xfffe
	s_or_b32 exec_lo, exec_lo, s10
	s_add_co_i32 s40, s40, 1
	s_delay_alu instid0(SALU_CYCLE_1)
	s_cmp_ge_i32 s40, s25
	s_cbranch_scc1 .LBB109_31
.LBB109_8:                              ; =>This Loop Header: Depth=1
                                        ;     Child Loop BB109_10 Depth 2
	s_ashr_i32 s41, s40, 31
	v_mov_b32_e32 v11, 0
	s_lshl_b64 s[42:43], s[40:41], 2
	v_mov_b32_e32 v9, 0
	s_wait_alu 0xfffe
	s_add_nc_u64 s[42:43], s[12:13], s[42:43]
	v_mov_b32_e32 v10, 0
	s_load_b64 s[42:43], s[42:43], 0x0
	s_mov_b32 s35, exec_lo
	s_wait_kmcnt 0x0
	v_dual_mov_b32 v12, 0 :: v_dual_add_nc_u32 v13, s42, v18
	s_sub_co_i32 s42, s43, s28
	s_wait_alu 0xfffe
	s_delay_alu instid0(VALU_DEP_1)
	v_cmpx_gt_i32_e64 s42, v13
	s_cbranch_execz .LBB109_12
; %bb.9:                                ;   in Loop: Header=BB109_8 Depth=1
	v_ashrrev_i32_e32 v14, 31, v13
	v_mov_b32_e32 v11, 0
	v_mov_b32_e32 v12, 0
	s_mov_b32 s43, 0
	s_delay_alu instid0(VALU_DEP_3) | instskip(SKIP_1) | instid1(VALU_DEP_2)
	v_lshlrev_b64_e32 v[9:10], 3, v[13:14]
	v_lshlrev_b64_e32 v[16:17], 2, v[13:14]
	v_add_co_u32 v14, vcc_lo, s38, v9
	s_wait_alu 0xfffd
	s_delay_alu instid0(VALU_DEP_3) | instskip(NEXT) | instid1(VALU_DEP_3)
	v_add_co_ci_u32_e64 v15, null, s39, v10, vcc_lo
	v_add_co_u32 v16, vcc_lo, s14, v16
	s_wait_alu 0xfffd
	v_add_co_ci_u32_e64 v17, null, s15, v17, vcc_lo
	v_dual_mov_b32 v9, v11 :: v_dual_mov_b32 v10, v12
.LBB109_10:                             ;   Parent Loop BB109_8 Depth=1
                                        ; =>  This Inner Loop Header: Depth=2
	global_load_b32 v21, v[16:17], off
	global_load_b64 v[25:26], v[14:15], off offset:-4
	v_add_nc_u32_e32 v13, 0x100, v13
	v_add_co_u32 v16, s10, 0x400, v16
	s_wait_alu 0xf1ff
	v_add_co_ci_u32_e64 v17, null, 0, v17, s10
	s_wait_loadcnt 0x1
	v_subrev_nc_u32_e32 v21, s28, v21
	s_wait_loadcnt 0x0
	v_cndmask_b32_e64 v26, v26, -v26, s29
	v_cvt_f64_f32_e32 v[28:29], v25
	s_delay_alu instid0(VALU_DEP_3) | instskip(NEXT) | instid1(VALU_DEP_3)
	v_ashrrev_i32_e32 v22, 31, v21
	v_cvt_f64_f32_e32 v[26:27], v26
	s_delay_alu instid0(VALU_DEP_2) | instskip(NEXT) | instid1(VALU_DEP_1)
	v_lshlrev_b64_e32 v[21:22], 4, v[21:22]
	v_add_co_u32 v21, vcc_lo, s18, v21
	s_wait_alu 0xfffd
	s_delay_alu instid0(VALU_DEP_2)
	v_add_co_ci_u32_e64 v22, null, s19, v22, vcc_lo
	v_add_co_u32 v14, vcc_lo, 0x800, v14
	s_wait_alu 0xfffd
	v_add_co_ci_u32_e64 v15, null, 0, v15, vcc_lo
	global_load_b128 v[21:24], v[21:22], off
	v_cmp_le_i32_e32 vcc_lo, s42, v13
	s_wait_alu 0xfffe
	s_or_b32 s43, vcc_lo, s43
	v_mul_f64_e64 v[30:31], -v[7:8], v[26:27]
	v_mul_f64_e32 v[25:26], v[5:6], v[26:27]
	s_delay_alu instid0(VALU_DEP_2) | instskip(NEXT) | instid1(VALU_DEP_2)
	v_fma_f64 v[30:31], v[5:6], v[28:29], v[30:31]
	v_fma_f64 v[25:26], v[7:8], v[28:29], v[25:26]
	s_wait_loadcnt 0x0
	s_delay_alu instid0(VALU_DEP_2) | instskip(NEXT) | instid1(VALU_DEP_2)
	v_fma_f64 v[9:10], v[30:31], v[21:22], v[9:10]
	v_fma_f64 v[11:12], v[25:26], v[21:22], v[11:12]
	s_delay_alu instid0(VALU_DEP_2) | instskip(NEXT) | instid1(VALU_DEP_2)
	v_fma_f64 v[9:10], -v[25:26], v[23:24], v[9:10]
	v_fma_f64 v[11:12], v[30:31], v[23:24], v[11:12]
	s_wait_alu 0xfffe
	s_and_not1_b32 exec_lo, exec_lo, s43
	s_cbranch_execnz .LBB109_10
; %bb.11:                               ;   in Loop: Header=BB109_8 Depth=1
	s_or_b32 exec_lo, exec_lo, s43
.LBB109_12:                             ;   in Loop: Header=BB109_8 Depth=1
	s_delay_alu instid0(SALU_CYCLE_1)
	s_or_b32 exec_lo, exec_lo, s35
	ds_store_b128 v19, v[9:12]
	s_wait_dscnt 0x0
	s_barrier_signal -1
	s_barrier_wait -1
	global_inv scope:SCOPE_SE
	s_and_saveexec_b32 s10, s2
	s_cbranch_execz .LBB109_14
; %bb.13:                               ;   in Loop: Header=BB109_8 Depth=1
	ds_load_b128 v[9:12], v19 offset:2048
	ds_load_b128 v[13:16], v19
	s_wait_dscnt 0x0
	v_add_f64_e32 v[9:10], v[9:10], v[13:14]
	v_add_f64_e32 v[11:12], v[11:12], v[15:16]
	ds_store_b128 v19, v[9:12]
.LBB109_14:                             ;   in Loop: Header=BB109_8 Depth=1
	s_wait_alu 0xfffe
	s_or_b32 exec_lo, exec_lo, s10
	s_wait_loadcnt_dscnt 0x0
	s_barrier_signal -1
	s_barrier_wait -1
	global_inv scope:SCOPE_SE
	s_and_saveexec_b32 s10, s3
	s_cbranch_execz .LBB109_16
; %bb.15:                               ;   in Loop: Header=BB109_8 Depth=1
	ds_load_b128 v[9:12], v19 offset:1024
	ds_load_b128 v[13:16], v19
	s_wait_dscnt 0x0
	v_add_f64_e32 v[9:10], v[9:10], v[13:14]
	v_add_f64_e32 v[11:12], v[11:12], v[15:16]
	ds_store_b128 v19, v[9:12]
.LBB109_16:                             ;   in Loop: Header=BB109_8 Depth=1
	s_wait_alu 0xfffe
	s_or_b32 exec_lo, exec_lo, s10
	s_wait_loadcnt_dscnt 0x0
	s_barrier_signal -1
	s_barrier_wait -1
	global_inv scope:SCOPE_SE
	s_and_saveexec_b32 s10, s4
	s_cbranch_execz .LBB109_18
; %bb.17:                               ;   in Loop: Header=BB109_8 Depth=1
	ds_load_b128 v[9:12], v19 offset:512
	ds_load_b128 v[13:16], v19
	s_wait_dscnt 0x0
	v_add_f64_e32 v[9:10], v[9:10], v[13:14]
	v_add_f64_e32 v[11:12], v[11:12], v[15:16]
	ds_store_b128 v19, v[9:12]
.LBB109_18:                             ;   in Loop: Header=BB109_8 Depth=1
	s_wait_alu 0xfffe
	s_or_b32 exec_lo, exec_lo, s10
	s_wait_loadcnt_dscnt 0x0
	s_barrier_signal -1
	s_barrier_wait -1
	global_inv scope:SCOPE_SE
	s_and_saveexec_b32 s10, s5
	s_cbranch_execz .LBB109_20
; %bb.19:                               ;   in Loop: Header=BB109_8 Depth=1
	ds_load_b128 v[9:12], v19 offset:256
	ds_load_b128 v[13:16], v19
	s_wait_dscnt 0x0
	v_add_f64_e32 v[9:10], v[9:10], v[13:14]
	v_add_f64_e32 v[11:12], v[11:12], v[15:16]
	ds_store_b128 v19, v[9:12]
.LBB109_20:                             ;   in Loop: Header=BB109_8 Depth=1
	s_wait_alu 0xfffe
	s_or_b32 exec_lo, exec_lo, s10
	s_wait_loadcnt_dscnt 0x0
	s_barrier_signal -1
	s_barrier_wait -1
	global_inv scope:SCOPE_SE
	s_and_saveexec_b32 s10, s6
	s_cbranch_execz .LBB109_22
; %bb.21:                               ;   in Loop: Header=BB109_8 Depth=1
	ds_load_b128 v[9:12], v19 offset:128
	ds_load_b128 v[13:16], v19
	s_wait_dscnt 0x0
	v_add_f64_e32 v[9:10], v[9:10], v[13:14]
	v_add_f64_e32 v[11:12], v[11:12], v[15:16]
	ds_store_b128 v19, v[9:12]
.LBB109_22:                             ;   in Loop: Header=BB109_8 Depth=1
	s_wait_alu 0xfffe
	s_or_b32 exec_lo, exec_lo, s10
	s_wait_loadcnt_dscnt 0x0
	s_barrier_signal -1
	s_barrier_wait -1
	global_inv scope:SCOPE_SE
	s_and_saveexec_b32 s10, s7
	s_cbranch_execz .LBB109_24
; %bb.23:                               ;   in Loop: Header=BB109_8 Depth=1
	ds_load_b128 v[9:12], v19 offset:64
	ds_load_b128 v[13:16], v19
	s_wait_dscnt 0x0
	v_add_f64_e32 v[9:10], v[9:10], v[13:14]
	v_add_f64_e32 v[11:12], v[11:12], v[15:16]
	ds_store_b128 v19, v[9:12]
.LBB109_24:                             ;   in Loop: Header=BB109_8 Depth=1
	s_wait_alu 0xfffe
	s_or_b32 exec_lo, exec_lo, s10
	s_wait_loadcnt_dscnt 0x0
	s_barrier_signal -1
	s_barrier_wait -1
	global_inv scope:SCOPE_SE
	s_and_saveexec_b32 s10, s8
	s_cbranch_execz .LBB109_26
; %bb.25:                               ;   in Loop: Header=BB109_8 Depth=1
	ds_load_b128 v[9:12], v19
	ds_load_b128 v[13:16], v19 offset:32
	s_wait_dscnt 0x0
	v_add_f64_e32 v[9:10], v[13:14], v[9:10]
	v_add_f64_e32 v[11:12], v[15:16], v[11:12]
	ds_store_b128 v19, v[9:12]
.LBB109_26:                             ;   in Loop: Header=BB109_8 Depth=1
	s_wait_alu 0xfffe
	s_or_b32 exec_lo, exec_lo, s10
	s_wait_loadcnt_dscnt 0x0
	s_barrier_signal -1
	s_barrier_wait -1
	global_inv scope:SCOPE_SE
	s_and_saveexec_b32 s10, s9
	s_cbranch_execz .LBB109_28
; %bb.27:                               ;   in Loop: Header=BB109_8 Depth=1
	ds_load_b128 v[9:12], v20
	ds_load_b128 v[13:16], v20 offset:16
	s_wait_dscnt 0x0
	v_add_f64_e32 v[9:10], v[13:14], v[9:10]
	v_add_f64_e32 v[11:12], v[15:16], v[11:12]
	ds_store_b128 v20, v[9:12]
.LBB109_28:                             ;   in Loop: Header=BB109_8 Depth=1
	s_wait_alu 0xfffe
	s_or_b32 exec_lo, exec_lo, s10
	s_wait_loadcnt_dscnt 0x0
	s_barrier_signal -1
	s_barrier_wait -1
	global_inv scope:SCOPE_SE
	s_and_saveexec_b32 s10, s9
	s_cbranch_execz .LBB109_7
; %bb.29:                               ;   in Loop: Header=BB109_8 Depth=1
	ds_load_b128 v[9:12], v20
	s_and_saveexec_b32 s35, s33
	s_cbranch_execz .LBB109_6
; %bb.30:                               ;   in Loop: Header=BB109_8 Depth=1
	s_lshl_b64 s[42:43], s[40:41], 4
	s_wait_alu 0xfffe
	s_add_nc_u64 s[42:43], s[22:23], s[42:43]
	global_load_b128 v[13:16], v20, s[42:43]
	s_wait_loadcnt_dscnt 0x0
	v_fma_f64 v[9:10], v[1:2], v[13:14], v[9:10]
	v_fma_f64 v[11:12], v[3:4], v[13:14], v[11:12]
	s_delay_alu instid0(VALU_DEP_2) | instskip(NEXT) | instid1(VALU_DEP_2)
	v_fma_f64 v[9:10], -v[3:4], v[15:16], v[9:10]
	v_fma_f64 v[11:12], v[1:2], v[15:16], v[11:12]
	s_branch .LBB109_6
.LBB109_31:
	s_mov_b32 s10, 0
.LBB109_32:
	s_wait_alu 0xfffe
	s_and_b32 vcc_lo, exec_lo, s10
	s_wait_alu 0xfffe
	s_cbranch_vccz .LBB109_71
; %bb.33:
	s_load_b64 s[4:5], s[0:1], 0x10
	v_mov_b32_e32 v13, 0
	v_mov_b32_e32 v9, 0
	v_dual_mov_b32 v10, 0 :: v_dual_mov_b32 v11, 0
	v_or_b32_e32 v14, s11, v0
	v_mov_b32_e32 v12, 0
	s_sub_co_i32 s6, s34, s11
	s_mov_b32 s0, exec_lo
	s_wait_kmcnt 0x0
	s_add_nc_u64 s[2:3], s[4:5], s[36:37]
	global_load_b32 v18, v13, s[2:3]
	v_cmpx_eq_u32_e32 0, v14
	s_cbranch_execz .LBB109_37
; %bb.34:
	s_lshl_b64 s[8:9], s[30:31], 4
	s_wait_loadcnt_dscnt 0x100
	v_add_f64_e32 v[9:10], -1.0, v[1:2]
	s_add_nc_u64 s[8:9], s[22:23], s[8:9]
	s_mov_b32 s1, exec_lo
	global_load_b128 v[11:14], v13, s[8:9]
	v_mbcnt_lo_u32_b32 v17, s1, 0
	s_mov_b32 s8, exec_lo
	s_wait_loadcnt 0x0
	s_wait_storecnt 0x0
	global_inv scope:SCOPE_DEV
	v_mul_f64_e64 v[15:16], v[13:14], -v[3:4]
	v_mul_f64_e32 v[13:14], v[9:10], v[13:14]
	v_cmpx_eq_u32_e32 0, v17
	s_cbranch_execz .LBB109_36
; %bb.35:
	s_bcnt1_i32_b32 s1, s1
	s_ashr_i32 s7, s6, 31
	s_wait_alu 0xfffe
	s_and_b32 s1, s1, 1
	v_mov_b32_e32 v17, 0
	s_wait_alu 0xfffe
	v_mov_b32_e32 v19, s1
	s_lshl_b64 s[34:35], s[6:7], 2
	s_delay_alu instid0(SALU_CYCLE_1)
	s_add_nc_u64 s[34:35], s[4:5], s[34:35]
	global_atomic_xor_b32 v17, v19, s[34:35] scope:SCOPE_DEV
.LBB109_36:
	s_or_b32 exec_lo, exec_lo, s8
	s_delay_alu instid0(VALU_DEP_3) | instskip(NEXT) | instid1(VALU_DEP_3)
	v_fma_f64 v[9:10], v[9:10], v[11:12], v[15:16]
	v_fma_f64 v[11:12], v[3:4], v[11:12], v[13:14]
.LBB109_37:
	s_or_b32 exec_lo, exec_lo, s0
	s_load_b32 s0, s[26:27], 0x4
	s_mul_i32 s1, s11, 0xc00
	s_sub_co_i32 s7, s20, s28
	s_wait_alu 0xfffe
	s_add_co_i32 s7, s7, s1
	s_mov_b32 s1, exec_lo
	v_add_nc_u32_e32 v13, s7, v0
	s_wait_kmcnt 0x0
	s_sub_co_i32 s0, s0, s28
	s_wait_alu 0xfffe
	s_delay_alu instid0(VALU_DEP_1)
	v_cmpx_gt_i32_e64 s0, v13
	s_cbranch_execz .LBB109_41
; %bb.38:
	v_ashrrev_i32_e32 v14, 31, v13
	s_addk_co_i32 s7, 0xc00
	s_mov_b32 s8, 0
	s_wait_alu 0xfffe
	s_min_i32 s7, s7, s0
	v_lshlrev_b64_e32 v[15:16], 3, v[13:14]
	s_delay_alu instid0(VALU_DEP_1) | instskip(SKIP_1) | instid1(VALU_DEP_2)
	v_add_co_u32 v15, vcc_lo, s16, v15
	s_wait_alu 0xfffd
	v_add_co_ci_u32_e64 v19, null, s17, v16, vcc_lo
	v_lshlrev_b64_e32 v[16:17], 2, v[13:14]
	s_delay_alu instid0(VALU_DEP_3) | instskip(SKIP_1) | instid1(VALU_DEP_3)
	v_add_co_u32 v14, vcc_lo, v15, 4
	s_wait_alu 0xfffd
	v_add_co_ci_u32_e64 v15, null, 0, v19, vcc_lo
	s_delay_alu instid0(VALU_DEP_3)
	v_add_co_u32 v16, vcc_lo, s14, v16
	s_wait_alu 0xfffd
	v_add_co_ci_u32_e64 v17, null, s15, v17, vcc_lo
.LBB109_39:                             ; =>This Inner Loop Header: Depth=1
	global_load_b32 v19, v[16:17], off
	global_load_b64 v[23:24], v[14:15], off offset:-4
	v_add_nc_u32_e32 v13, 0x100, v13
	v_add_co_u32 v16, s0, 0x400, v16
	s_wait_alu 0xf1ff
	v_add_co_ci_u32_e64 v17, null, 0, v17, s0
	s_wait_loadcnt 0x1
	v_subrev_nc_u32_e32 v19, s28, v19
	s_wait_loadcnt 0x0
	v_cndmask_b32_e64 v24, v24, -v24, s29
	v_cvt_f64_f32_e32 v[26:27], v23
	s_delay_alu instid0(VALU_DEP_3) | instskip(NEXT) | instid1(VALU_DEP_3)
	v_ashrrev_i32_e32 v20, 31, v19
	v_cvt_f64_f32_e32 v[24:25], v24
	s_delay_alu instid0(VALU_DEP_2) | instskip(NEXT) | instid1(VALU_DEP_1)
	v_lshlrev_b64_e32 v[19:20], 4, v[19:20]
	v_add_co_u32 v19, vcc_lo, s18, v19
	s_wait_alu 0xfffd
	s_delay_alu instid0(VALU_DEP_2)
	v_add_co_ci_u32_e64 v20, null, s19, v20, vcc_lo
	v_add_co_u32 v14, vcc_lo, 0x800, v14
	s_wait_alu 0xfffd
	v_add_co_ci_u32_e64 v15, null, 0, v15, vcc_lo
	global_load_b128 v[19:22], v[19:20], off
	s_wait_alu 0xfffe
	v_cmp_le_i32_e32 vcc_lo, s7, v13
	s_or_b32 s8, vcc_lo, s8
	v_mul_f64_e64 v[28:29], -v[7:8], v[24:25]
	v_mul_f64_e32 v[23:24], v[5:6], v[24:25]
	s_delay_alu instid0(VALU_DEP_2) | instskip(NEXT) | instid1(VALU_DEP_2)
	v_fma_f64 v[28:29], v[5:6], v[26:27], v[28:29]
	v_fma_f64 v[23:24], v[7:8], v[26:27], v[23:24]
	s_wait_loadcnt 0x0
	s_delay_alu instid0(VALU_DEP_2) | instskip(NEXT) | instid1(VALU_DEP_2)
	v_fma_f64 v[9:10], v[28:29], v[19:20], v[9:10]
	v_fma_f64 v[11:12], v[23:24], v[19:20], v[11:12]
	s_delay_alu instid0(VALU_DEP_2) | instskip(NEXT) | instid1(VALU_DEP_2)
	v_fma_f64 v[9:10], -v[23:24], v[21:22], v[9:10]
	v_fma_f64 v[11:12], v[28:29], v[21:22], v[11:12]
	s_and_not1_b32 exec_lo, exec_lo, s8
	s_cbranch_execnz .LBB109_39
; %bb.40:
	s_or_b32 exec_lo, exec_lo, s8
.LBB109_41:
	s_delay_alu instid0(SALU_CYCLE_1)
	s_or_b32 exec_lo, exec_lo, s1
	v_lshlrev_b32_e32 v13, 4, v0
	s_mov_b32 s0, exec_lo
	ds_store_b128 v13, v[9:12]
	s_wait_storecnt 0x0
	s_wait_loadcnt_dscnt 0x0
	s_barrier_signal -1
	s_barrier_wait -1
	global_inv scope:SCOPE_SE
	v_cmpx_gt_u32_e32 0x80, v0
	s_cbranch_execz .LBB109_43
; %bb.42:
	ds_load_b128 v[9:12], v13 offset:2048
	ds_load_b128 v[14:17], v13
	s_wait_dscnt 0x0
	v_add_f64_e32 v[9:10], v[9:10], v[14:15]
	v_add_f64_e32 v[11:12], v[11:12], v[16:17]
	ds_store_b128 v13, v[9:12]
.LBB109_43:
	s_wait_alu 0xfffe
	s_or_b32 exec_lo, exec_lo, s0
	s_delay_alu instid0(SALU_CYCLE_1)
	s_mov_b32 s0, exec_lo
	s_wait_loadcnt_dscnt 0x0
	s_barrier_signal -1
	s_barrier_wait -1
	global_inv scope:SCOPE_SE
	v_cmpx_gt_u32_e32 64, v0
	s_cbranch_execz .LBB109_45
; %bb.44:
	ds_load_b128 v[9:12], v13 offset:1024
	ds_load_b128 v[14:17], v13
	s_wait_dscnt 0x0
	v_add_f64_e32 v[9:10], v[9:10], v[14:15]
	v_add_f64_e32 v[11:12], v[11:12], v[16:17]
	ds_store_b128 v13, v[9:12]
.LBB109_45:
	s_wait_alu 0xfffe
	s_or_b32 exec_lo, exec_lo, s0
	s_delay_alu instid0(SALU_CYCLE_1)
	s_mov_b32 s0, exec_lo
	;; [unrolled: 18-line block ×6, first 2 shown]
	s_wait_loadcnt_dscnt 0x0
	s_barrier_signal -1
	s_barrier_wait -1
	global_inv scope:SCOPE_SE
	v_cmpx_gt_u32_e32 2, v0
	s_cbranch_execz .LBB109_55
; %bb.54:
	ds_load_b128 v[9:12], v13
	ds_load_b128 v[14:17], v13 offset:32
	s_wait_dscnt 0x0
	v_add_f64_e32 v[9:10], v[14:15], v[9:10]
	v_add_f64_e32 v[11:12], v[16:17], v[11:12]
	ds_store_b128 v13, v[9:12]
.LBB109_55:
	s_wait_alu 0xfffe
	s_or_b32 exec_lo, exec_lo, s0
	v_cmp_eq_u32_e32 vcc_lo, 0, v0
	s_wait_loadcnt_dscnt 0x0
	s_barrier_signal -1
	s_barrier_wait -1
	global_inv scope:SCOPE_SE
	s_and_saveexec_b32 s0, vcc_lo
	s_cbranch_execz .LBB109_57
; %bb.56:
	v_mov_b32_e32 v17, 0
	ds_load_b128 v[9:12], v17
	ds_load_b128 v[13:16], v17 offset:16
	s_wait_dscnt 0x0
	v_add_f64_e32 v[9:10], v[13:14], v[9:10]
	v_add_f64_e32 v[11:12], v[15:16], v[11:12]
	ds_store_b128 v17, v[9:12]
.LBB109_57:
	s_wait_alu 0xfffe
	s_or_b32 exec_lo, exec_lo, s0
	s_wait_loadcnt_dscnt 0x0
	s_barrier_signal -1
	s_barrier_wait -1
	global_inv scope:SCOPE_SE
	s_and_saveexec_b32 s8, vcc_lo
	s_cbranch_execz .LBB109_70
; %bb.58:
	s_cmp_eq_u32 s11, 0
	s_cbranch_scc1 .LBB109_64
; %bb.59:
	s_ashr_i32 s7, s6, 31
	v_mov_b32_e32 v9, 0
	s_wait_alu 0xfffe
	s_lshl_b64 s[0:1], s[6:7], 2
	s_wait_alu 0xfffe
	s_add_nc_u64 s[0:1], s[4:5], s[0:1]
	s_branch .LBB109_61
.LBB109_60:                             ;   in Loop: Header=BB109_61 Depth=1
	s_wait_alu 0xfffe
	s_or_b32 exec_lo, exec_lo, s4
	s_wait_loadcnt 0x0
	v_readfirstlane_b32 s4, v10
	s_wait_alu 0xf1ff
	s_delay_alu instid0(VALU_DEP_1)
	v_cmp_eq_u32_e32 vcc_lo, s4, v18
	s_cbranch_vccz .LBB109_63
.LBB109_61:                             ; =>This Inner Loop Header: Depth=1
	v_mbcnt_lo_u32_b32 v10, exec_lo, 0
	s_delay_alu instid0(VALU_DEP_1)
	v_cmp_eq_u32_e32 vcc_lo, 0, v10
                                        ; implicit-def: $vgpr10
	s_and_saveexec_b32 s4, vcc_lo
	s_cbranch_execz .LBB109_60
; %bb.62:                               ;   in Loop: Header=BB109_61 Depth=1
	global_load_b32 v10, v9, s[0:1] scope:SCOPE_DEV
	s_branch .LBB109_60
.LBB109_63:
	v_mov_b32_e32 v9, 0
	global_load_u16 v10, v9, s[2:3]
	s_wait_loadcnt 0x0
	v_xor_b32_e32 v10, 1, v10
	global_store_b16 v9, v10, s[2:3]
.LBB109_64:
	v_mov_b32_e32 v17, 0
	s_mov_b32 s3, exec_lo
	s_lshl_b64 s[0:1], s[30:31], 4
	s_wait_alu 0xfffe
	v_mbcnt_lo_u32_b32 v13, s3, 0
	s_add_nc_u64 s[0:1], s[22:23], s[0:1]
	ds_load_b128 v[9:12], v17
	s_mov_b32 s2, exec_lo
	v_cmpx_eq_u32_e32 0, v13
	s_cbranch_execz .LBB109_67
; %bb.65:
	global_load_b64 v[15:16], v17, s[0:1]
	s_bcnt1_i32_b32 s3, s3
	s_wait_alu 0xfffe
	v_cvt_f64_u32_e32 v[13:14], s3
	s_mov_b32 s3, 0
	s_wait_dscnt 0x0
	s_delay_alu instid0(VALU_DEP_1)
	v_mul_f64_e32 v[9:10], v[9:10], v[13:14]
.LBB109_66:                             ; =>This Inner Loop Header: Depth=1
	s_wait_loadcnt 0x0
	s_delay_alu instid0(VALU_DEP_1)
	v_add_f64_e32 v[13:14], v[15:16], v[9:10]
	global_atomic_cmpswap_b64 v[13:14], v17, v[13:16], s[0:1] th:TH_ATOMIC_RETURN scope:SCOPE_DEV
	s_wait_loadcnt 0x0
	v_cmp_eq_u64_e32 vcc_lo, v[13:14], v[15:16]
	v_dual_mov_b32 v16, v14 :: v_dual_mov_b32 v15, v13
	s_wait_alu 0xfffe
	s_or_b32 s3, vcc_lo, s3
	s_wait_alu 0xfffe
	s_and_not1_b32 exec_lo, exec_lo, s3
	s_cbranch_execnz .LBB109_66
.LBB109_67:
	s_wait_alu 0xfffe
	s_or_b32 exec_lo, exec_lo, s2
	s_delay_alu instid0(SALU_CYCLE_1) | instskip(SKIP_4) | instid1(VALU_DEP_1)
	s_mov_b32 s3, exec_lo
	s_mov_b32 s2, 0
	s_wait_dscnt 0x0
	s_wait_alu 0xfffe
	v_mbcnt_lo_u32_b32 v9, s3, 0
	v_cmp_eq_u32_e32 vcc_lo, 0, v9
	s_and_b32 s4, exec_lo, vcc_lo
	s_wait_alu 0xfffe
	s_mov_b32 exec_lo, s4
	s_cbranch_execz .LBB109_70
; %bb.68:
	v_mov_b32_e32 v15, 0
	s_bcnt1_i32_b32 s3, s3
	s_wait_alu 0xfffe
	v_cvt_f64_u32_e32 v[9:10], s3
	global_load_b64 v[13:14], v15, s[0:1] offset:8
	v_mul_f64_e32 v[9:10], v[11:12], v[9:10]
.LBB109_69:                             ; =>This Inner Loop Header: Depth=1
	s_wait_loadcnt 0x0
	s_delay_alu instid0(VALU_DEP_1)
	v_add_f64_e32 v[11:12], v[13:14], v[9:10]
	global_atomic_cmpswap_b64 v[11:12], v15, v[11:14], s[0:1] offset:8 th:TH_ATOMIC_RETURN scope:SCOPE_DEV
	s_wait_loadcnt 0x0
	v_cmp_eq_u64_e32 vcc_lo, v[11:12], v[13:14]
	v_dual_mov_b32 v14, v12 :: v_dual_mov_b32 v13, v11
	s_or_b32 s2, vcc_lo, s2
	s_wait_alu 0xfffe
	s_and_not1_b32 exec_lo, exec_lo, s2
	s_cbranch_execnz .LBB109_69
.LBB109_70:
	s_or_b32 exec_lo, exec_lo, s8
.LBB109_71:
	s_mov_b32 s2, 0
.LBB109_72:
	s_wait_alu 0xfffe
	s_and_not1_b32 vcc_lo, exec_lo, s2
	s_wait_alu 0xfffe
	s_cbranch_vccnz .LBB109_116
; %bb.73:
	v_subrev_nc_u32_e32 v9, s28, v0
	s_mov_b32 s0, exec_lo
	s_wait_kmcnt 0x0
	s_delay_alu instid0(VALU_DEP_1) | instskip(NEXT) | instid1(VALU_DEP_1)
	v_add_nc_u32_e32 v9, s20, v9
	v_add_nc_u32_e32 v10, 0x300, v9
	s_delay_alu instid0(VALU_DEP_1)
	v_cmpx_le_i32_e64 s21, v10
	s_wait_alu 0xfffe
	s_xor_b32 s0, exec_lo, s0
	s_cbranch_execz .LBB109_78
; %bb.74:
	s_ashr_i32 s3, s25, 31
	s_mov_b32 s2, s25
	s_wait_alu 0xfffe
	s_lshl_b64 s[2:3], s[2:3], 2
	s_wait_alu 0xfffe
	s_add_nc_u64 s[2:3], s[12:13], s[2:3]
	s_load_b32 s1, s[2:3], 0x0
	s_mov_b32 s2, exec_lo
	s_wait_kmcnt 0x0
	s_sub_co_i32 s1, s1, s28
	s_wait_alu 0xfffe
	v_cmpx_gt_i32_e64 s1, v9
	s_cbranch_execz .LBB109_77
; %bb.75:
	v_lshlrev_b32_e32 v11, 4, v0
	s_mov_b32 s3, 0
.LBB109_76:                             ; =>This Inner Loop Header: Depth=1
	v_ashrrev_i32_e32 v10, 31, v9
	s_delay_alu instid0(VALU_DEP_1) | instskip(NEXT) | instid1(VALU_DEP_1)
	v_lshlrev_b64_e32 v[12:13], 2, v[9:10]
	v_add_co_u32 v12, vcc_lo, s14, v12
	s_wait_alu 0xfffd
	s_delay_alu instid0(VALU_DEP_2) | instskip(SKIP_3) | instid1(VALU_DEP_2)
	v_add_co_ci_u32_e64 v13, null, s15, v13, vcc_lo
	global_load_b32 v14, v[12:13], off
	v_lshlrev_b64_e32 v[12:13], 3, v[9:10]
	v_add_nc_u32_e32 v9, 0x100, v9
	v_add_co_u32 v12, vcc_lo, s16, v12
	s_wait_alu 0xfffd
	s_delay_alu instid0(VALU_DEP_3) | instskip(SKIP_3) | instid1(VALU_DEP_1)
	v_add_co_ci_u32_e64 v13, null, s17, v13, vcc_lo
	global_load_b64 v[16:17], v[12:13], off
	s_wait_loadcnt 0x1
	v_subrev_nc_u32_e32 v12, s28, v14
	v_ashrrev_i32_e32 v13, 31, v12
	s_delay_alu instid0(VALU_DEP_1) | instskip(SKIP_3) | instid1(VALU_DEP_3)
	v_lshlrev_b64_e32 v[12:13], 4, v[12:13]
	s_wait_loadcnt 0x0
	v_cndmask_b32_e64 v10, v17, -v17, s29
	v_cvt_f64_f32_e32 v[19:20], v16
	v_add_co_u32 v12, vcc_lo, s18, v12
	s_wait_alu 0xfffd
	v_add_co_ci_u32_e64 v13, null, s19, v13, vcc_lo
	v_cvt_f64_f32_e32 v[17:18], v10
	v_cmp_le_i32_e32 vcc_lo, s1, v9
	global_load_b128 v[12:15], v[12:13], off
	s_wait_alu 0xfffe
	s_or_b32 s3, vcc_lo, s3
	v_mul_f64_e32 v[21:22], v[5:6], v[17:18]
	v_mul_f64_e64 v[16:17], -v[7:8], v[17:18]
	s_delay_alu instid0(VALU_DEP_2) | instskip(NEXT) | instid1(VALU_DEP_2)
	v_fma_f64 v[21:22], v[7:8], v[19:20], v[21:22]
	v_fma_f64 v[16:17], v[5:6], v[19:20], v[16:17]
	s_wait_loadcnt 0x0
	s_delay_alu instid0(VALU_DEP_2) | instskip(NEXT) | instid1(VALU_DEP_2)
	v_mul_f64_e64 v[18:19], v[14:15], -v[21:22]
	v_mul_f64_e32 v[23:24], v[14:15], v[16:17]
	s_delay_alu instid0(VALU_DEP_2) | instskip(NEXT) | instid1(VALU_DEP_2)
	v_fma_f64 v[14:15], v[16:17], v[12:13], v[18:19]
	v_fma_f64 v[16:17], v[21:22], v[12:13], v[23:24]
	ds_store_b128 v11, v[14:17]
	v_add_nc_u32_e32 v11, 0x1000, v11
	s_wait_alu 0xfffe
	s_and_not1_b32 exec_lo, exec_lo, s3
	s_cbranch_execnz .LBB109_76
.LBB109_77:
	s_or_b32 exec_lo, exec_lo, s2
                                        ; implicit-def: $vgpr9
                                        ; implicit-def: $vgpr7_vgpr8
.LBB109_78:
	s_wait_alu 0xfffe
	s_or_saveexec_b32 s0, s0
	v_lshlrev_b32_e32 v13, 4, v0
	s_wait_alu 0xfffe
	s_xor_b32 exec_lo, exec_lo, s0
	s_cbranch_execz .LBB109_80
; %bb.79:
	v_ashrrev_i32_e32 v10, 31, v9
	s_delay_alu instid0(VALU_DEP_1) | instskip(SKIP_1) | instid1(VALU_DEP_2)
	v_lshlrev_b64_e32 v[11:12], 2, v[9:10]
	v_lshlrev_b64_e32 v[9:10], 3, v[9:10]
	v_add_co_u32 v11, vcc_lo, s14, v11
	s_wait_alu 0xfffd
	s_delay_alu instid0(VALU_DEP_3) | instskip(NEXT) | instid1(VALU_DEP_3)
	v_add_co_ci_u32_e64 v12, null, s15, v12, vcc_lo
	v_add_co_u32 v9, vcc_lo, s16, v9
	s_wait_alu 0xfffd
	v_add_co_ci_u32_e64 v10, null, s17, v10, vcc_lo
	s_clause 0x3
	global_load_b32 v14, v[11:12], off
	global_load_b32 v15, v[11:12], off offset:1024
	global_load_b32 v16, v[11:12], off offset:2048
	;; [unrolled: 1-line block ×3, first 2 shown]
	s_clause 0x3
	global_load_b64 v[26:27], v[9:10], off
	global_load_b64 v[28:29], v[9:10], off offset:2048
	global_load_b64 v[30:31], v[9:10], off offset:4096
	;; [unrolled: 1-line block ×3, first 2 shown]
	s_wait_loadcnt 0x7
	v_subrev_nc_u32_e32 v9, s28, v14
	s_wait_loadcnt 0x6
	v_subrev_nc_u32_e32 v11, s28, v15
	;; [unrolled: 2-line block ×4, first 2 shown]
	s_wait_loadcnt 0x3
	v_cndmask_b32_e64 v27, v27, -v27, s29
	v_ashrrev_i32_e32 v10, 31, v9
	v_ashrrev_i32_e32 v12, 31, v11
	;; [unrolled: 1-line block ×4, first 2 shown]
	s_wait_loadcnt 0x2
	v_cndmask_b32_e64 v29, v29, -v29, s29
	v_lshlrev_b64_e32 v[9:10], 4, v[9:10]
	v_lshlrev_b64_e32 v[11:12], 4, v[11:12]
	;; [unrolled: 1-line block ×4, first 2 shown]
	s_wait_loadcnt 0x1
	v_cndmask_b32_e64 v31, v31, -v31, s29
	v_cvt_f64_f32_e32 v[34:35], v27
	v_add_co_u32 v9, vcc_lo, s18, v9
	s_wait_alu 0xfffd
	v_add_co_ci_u32_e64 v10, null, s19, v10, vcc_lo
	v_add_co_u32 v18, vcc_lo, s18, v11
	s_wait_alu 0xfffd
	v_add_co_ci_u32_e64 v19, null, s19, v12, vcc_lo
	;; [unrolled: 3-line block ×3, first 2 shown]
	v_add_co_u32 v22, vcc_lo, s18, v16
	global_load_b128 v[9:12], v[9:10], off
	s_wait_alu 0xfffd
	v_add_co_ci_u32_e64 v23, null, s19, v17, vcc_lo
	s_clause 0x2
	global_load_b128 v[14:17], v[18:19], off
	global_load_b128 v[18:21], v[20:21], off
	;; [unrolled: 1-line block ×3, first 2 shown]
	s_wait_loadcnt 0x4
	v_cndmask_b32_e64 v27, v33, -v33, s29
	v_cvt_f64_f32_e32 v[36:37], v29
	v_cvt_f64_f32_e32 v[38:39], v31
	;; [unrolled: 1-line block ×7, first 2 shown]
	v_mul_f64_e32 v[42:43], v[5:6], v[34:35]
	v_mul_f64_e64 v[34:35], -v[7:8], v[34:35]
	v_mul_f64_e32 v[44:45], v[5:6], v[36:37]
	v_mul_f64_e64 v[36:37], -v[7:8], v[36:37]
	;; [unrolled: 2-line block ×4, first 2 shown]
	v_fma_f64 v[42:43], v[7:8], v[26:27], v[42:43]
	v_fma_f64 v[26:27], v[5:6], v[26:27], v[34:35]
	;; [unrolled: 1-line block ×8, first 2 shown]
	s_wait_loadcnt 0x3
	v_mul_f64_e64 v[5:6], v[11:12], -v[42:43]
	v_mul_f64_e32 v[7:8], v[11:12], v[26:27]
	s_wait_loadcnt 0x2
	v_mul_f64_e64 v[11:12], v[16:17], -v[34:35]
	v_mul_f64_e32 v[16:17], v[16:17], v[28:29]
	;; [unrolled: 3-line block ×4, first 2 shown]
	v_fma_f64 v[5:6], v[26:27], v[9:10], v[5:6]
	v_fma_f64 v[7:8], v[42:43], v[9:10], v[7:8]
	v_fma_f64 v[9:10], v[28:29], v[14:15], v[11:12]
	v_fma_f64 v[11:12], v[34:35], v[14:15], v[16:17]
	v_fma_f64 v[14:15], v[30:31], v[18:19], v[40:41]
	v_fma_f64 v[16:17], v[36:37], v[18:19], v[20:21]
	v_fma_f64 v[18:19], v[32:33], v[22:23], v[44:45]
	v_fma_f64 v[20:21], v[38:39], v[22:23], v[24:25]
	ds_store_b128 v13, v[5:8]
	ds_store_b128 v13, v[9:12] offset:4096
	ds_store_b128 v13, v[14:17] offset:8192
	;; [unrolled: 1-line block ×3, first 2 shown]
.LBB109_80:
	s_or_b32 exec_lo, exec_lo, s0
	s_cmp_lt_i32 s11, 2
	s_mov_b32 s0, -1
	s_wait_storecnt 0x0
	s_wait_loadcnt_dscnt 0x0
	s_barrier_signal -1
	s_barrier_wait -1
	global_inv scope:SCOPE_SE
	s_cbranch_scc0 .LBB109_91
; %bb.81:
	v_add_nc_u32_e32 v9, s24, v0
	s_mov_b32 s1, exec_lo
	s_delay_alu instid0(VALU_DEP_1)
	v_cmpx_gt_i32_e64 s25, v9
	s_cbranch_execz .LBB109_90
; %bb.82:
	v_cmp_neq_f64_e32 vcc_lo, 0, v[1:2]
	v_cmp_neq_f64_e64 s0, 0, v[3:4]
	s_lshl_b32 s4, s20, 4
	s_mov_b32 s2, 0
	s_wait_alu 0xfffe
	s_sub_co_i32 s4, 0, s4
	s_or_b32 s3, vcc_lo, s0
	s_branch .LBB109_84
.LBB109_83:                             ;   in Loop: Header=BB109_84 Depth=1
	s_wait_alu 0xfffe
	s_or_b32 exec_lo, exec_lo, s0
	v_add_nc_u32_e32 v9, 0x100, v9
	v_add_co_u32 v10, s0, s22, v10
	s_wait_alu 0xf1ff
	v_add_co_ci_u32_e64 v11, null, s23, v11, s0
	s_delay_alu instid0(VALU_DEP_3)
	v_cmp_le_i32_e32 vcc_lo, s25, v9
	global_store_b128 v[10:11], v[5:8], off
	s_or_b32 s2, vcc_lo, s2
	s_wait_alu 0xfffe
	s_and_not1_b32 exec_lo, exec_lo, s2
	s_cbranch_execz .LBB109_90
.LBB109_84:                             ; =>This Loop Header: Depth=1
                                        ;     Child Loop BB109_86 Depth 2
	v_ashrrev_i32_e32 v10, 31, v9
	v_mov_b32_e32 v7, 0
	v_mov_b32_e32 v8, 0
	s_mov_b32 s0, exec_lo
	s_delay_alu instid0(VALU_DEP_3) | instskip(NEXT) | instid1(VALU_DEP_1)
	v_lshlrev_b64_e32 v[5:6], 2, v[9:10]
	v_add_co_u32 v5, vcc_lo, s12, v5
	s_wait_alu 0xfffd
	s_delay_alu instid0(VALU_DEP_2)
	v_add_co_ci_u32_e64 v6, null, s13, v6, vcc_lo
	global_load_b64 v[11:12], v[5:6], off
	v_mov_b32_e32 v5, 0
	v_mov_b32_e32 v6, 0
	s_wait_loadcnt 0x0
	v_cmpx_lt_i32_e64 v11, v12
	s_cbranch_execz .LBB109_88
; %bb.85:                               ;   in Loop: Header=BB109_84 Depth=1
	v_mov_b32_e32 v7, 0
	v_mov_b32_e32 v8, 0
	v_subrev_nc_u32_e32 v12, s20, v12
	v_subrev_nc_u32_e32 v14, s20, v11
	s_wait_alu 0xfffe
	v_lshl_add_u32 v11, v11, 4, s4
	v_dual_mov_b32 v5, v7 :: v_dual_mov_b32 v6, v8
	s_mov_b32 s5, 0
.LBB109_86:                             ;   Parent Loop BB109_84 Depth=1
                                        ; =>  This Inner Loop Header: Depth=2
	ds_load_b128 v[15:18], v11
	v_add_nc_u32_e32 v14, 1, v14
	v_add_nc_u32_e32 v11, 16, v11
	s_delay_alu instid0(VALU_DEP_2)
	v_cmp_ge_i32_e32 vcc_lo, v14, v12
	s_wait_alu 0xfffe
	s_or_b32 s5, vcc_lo, s5
	s_wait_dscnt 0x0
	v_add_f64_e32 v[5:6], v[5:6], v[15:16]
	v_add_f64_e32 v[7:8], v[7:8], v[17:18]
	s_wait_alu 0xfffe
	s_and_not1_b32 exec_lo, exec_lo, s5
	s_cbranch_execnz .LBB109_86
; %bb.87:                               ;   in Loop: Header=BB109_84 Depth=1
	s_or_b32 exec_lo, exec_lo, s5
.LBB109_88:                             ;   in Loop: Header=BB109_84 Depth=1
	s_wait_alu 0xfffe
	s_or_b32 exec_lo, exec_lo, s0
	v_lshlrev_b64_e32 v[10:11], 4, v[9:10]
	s_and_saveexec_b32 s0, s3
	s_cbranch_execz .LBB109_83
; %bb.89:                               ;   in Loop: Header=BB109_84 Depth=1
	s_delay_alu instid0(VALU_DEP_1) | instskip(SKIP_1) | instid1(VALU_DEP_2)
	v_add_co_u32 v14, vcc_lo, s22, v10
	s_wait_alu 0xfffd
	v_add_co_ci_u32_e64 v15, null, s23, v11, vcc_lo
	global_load_b128 v[14:17], v[14:15], off
	s_wait_loadcnt 0x0
	v_fma_f64 v[5:6], v[1:2], v[14:15], v[5:6]
	v_fma_f64 v[7:8], v[3:4], v[14:15], v[7:8]
	s_delay_alu instid0(VALU_DEP_2) | instskip(NEXT) | instid1(VALU_DEP_2)
	v_fma_f64 v[5:6], -v[3:4], v[16:17], v[5:6]
	v_fma_f64 v[7:8], v[1:2], v[16:17], v[7:8]
	s_branch .LBB109_83
.LBB109_90:
	s_wait_alu 0xfffe
	s_or_b32 exec_lo, exec_lo, s1
	s_mov_b32 s0, 0
.LBB109_91:
	s_wait_alu 0xfffe
	s_and_not1_b32 vcc_lo, exec_lo, s0
	s_wait_alu 0xfffe
	s_cbranch_vccnz .LBB109_116
; %bb.92:
	s_clz_i32_u32 s0, s11
	s_mov_b32 s1, exec_lo
	s_wait_alu 0xfffe
	s_xor_b32 s0, s0, 31
	s_wait_alu 0xfffe
	v_lshrrev_b32_e32 v10, s0, v0
	s_add_co_i32 s0, s11, -1
	s_wait_alu 0xfffe
	v_dual_mov_b32 v5, 0 :: v_dual_and_b32 v0, s0, v0
	s_delay_alu instid0(VALU_DEP_2) | instskip(NEXT) | instid1(VALU_DEP_1)
	v_dual_mov_b32 v6, 0 :: v_dual_add_nc_u32 v9, s24, v10
	v_dual_mov_b32 v8, v6 :: v_dual_mov_b32 v7, v5
	s_delay_alu instid0(VALU_DEP_2)
	v_cmp_le_i32_e32 vcc_lo, s25, v9
	v_cmpx_gt_i32_e64 s25, v9
	s_cbranch_execz .LBB109_98
; %bb.93:
	v_lshlrev_b32_e32 v5, 2, v10
	v_subrev_nc_u32_e32 v7, s20, v0
	s_mov_b32 s2, exec_lo
	global_load_b64 v[5:6], v5, s[26:27]
	s_wait_loadcnt 0x0
	v_subrev_nc_u32_e32 v10, s20, v6
	v_add_nc_u32_e32 v11, v5, v7
	v_mov_b32_e32 v7, 0
	v_dual_mov_b32 v5, 0 :: v_dual_mov_b32 v8, 0
	v_mov_b32_e32 v6, 0
	s_delay_alu instid0(VALU_DEP_4)
	v_cmpx_lt_i32_e64 v11, v10
	s_cbranch_execz .LBB109_97
; %bb.94:
	v_dual_mov_b32 v7, 0 :: v_dual_lshlrev_b32 v12, 4, v11
	v_mov_b32_e32 v8, 0
	s_delay_alu instid0(VALU_DEP_2) | instskip(SKIP_2) | instid1(VALU_DEP_2)
	v_mov_b32_e32 v5, v7
	s_lshl_b32 s4, s11, 4
	s_mov_b32 s3, 0
	v_mov_b32_e32 v6, v8
.LBB109_95:                             ; =>This Inner Loop Header: Depth=1
	ds_load_b128 v[14:17], v12
	v_add_nc_u32_e32 v11, s11, v11
	s_wait_alu 0xfffe
	v_add_nc_u32_e32 v12, s4, v12
	s_delay_alu instid0(VALU_DEP_2)
	v_cmp_ge_i32_e64 s0, v11, v10
	s_or_b32 s3, s0, s3
	s_wait_dscnt 0x0
	v_add_f64_e32 v[5:6], v[5:6], v[14:15]
	v_add_f64_e32 v[7:8], v[7:8], v[16:17]
	s_wait_alu 0xfffe
	s_and_not1_b32 exec_lo, exec_lo, s3
	s_cbranch_execnz .LBB109_95
; %bb.96:
	s_or_b32 exec_lo, exec_lo, s3
.LBB109_97:
	s_wait_alu 0xfffe
	s_or_b32 exec_lo, exec_lo, s2
.LBB109_98:
	s_delay_alu instid0(SALU_CYCLE_1)
	s_or_b32 exec_lo, exec_lo, s1
	s_cmp_lt_u32 s11, 0x81
	s_wait_loadcnt 0x0
	s_wait_storecnt 0x0
	s_barrier_signal -1
	s_barrier_wait -1
	global_inv scope:SCOPE_SE
	ds_store_b128 v13, v[5:8]
	s_wait_loadcnt_dscnt 0x0
	s_barrier_signal -1
	s_barrier_wait -1
	global_inv scope:SCOPE_SE
	s_cbranch_scc1 .LBB109_100
; %bb.99:
	ds_load_b128 v[14:17], v13 offset:2048
	s_wait_loadcnt_dscnt 0x0
	s_barrier_signal -1
	s_barrier_wait -1
	global_inv scope:SCOPE_SE
	v_add_f64_e32 v[5:6], v[5:6], v[14:15]
	v_add_f64_e32 v[7:8], v[7:8], v[16:17]
	ds_store_b128 v13, v[5:8]
.LBB109_100:
	s_cmp_lt_u32 s11, 0x41
	s_wait_loadcnt_dscnt 0x0
	s_barrier_signal -1
	s_barrier_wait -1
	global_inv scope:SCOPE_SE
	s_cbranch_scc1 .LBB109_102
; %bb.101:
	ds_load_b128 v[14:17], v13 offset:1024
	s_wait_loadcnt_dscnt 0x0
	s_barrier_signal -1
	s_barrier_wait -1
	global_inv scope:SCOPE_SE
	v_add_f64_e32 v[5:6], v[5:6], v[14:15]
	v_add_f64_e32 v[7:8], v[7:8], v[16:17]
	ds_store_b128 v13, v[5:8]
.LBB109_102:
	s_cmp_lt_u32 s11, 33
	;; [unrolled: 16-line block ×5, first 2 shown]
	s_wait_loadcnt_dscnt 0x0
	s_barrier_signal -1
	s_barrier_wait -1
	global_inv scope:SCOPE_SE
	s_cbranch_scc1 .LBB109_110
; %bb.109:
	ds_load_b128 v[14:17], v13 offset:64
	s_wait_loadcnt_dscnt 0x0
	s_barrier_signal -1
	s_barrier_wait -1
	global_inv scope:SCOPE_SE
	v_add_f64_e32 v[5:6], v[5:6], v[14:15]
	v_add_f64_e32 v[7:8], v[7:8], v[16:17]
	ds_store_b128 v13, v[5:8]
.LBB109_110:
	s_cmp_eq_u32 s11, 2
	s_wait_loadcnt_dscnt 0x0
	s_barrier_signal -1
	s_barrier_wait -1
	global_inv scope:SCOPE_SE
	s_cbranch_scc1 .LBB109_112
; %bb.111:
	ds_load_b128 v[14:17], v13 offset:32
	s_wait_loadcnt_dscnt 0x0
	s_barrier_signal -1
	s_barrier_wait -1
	global_inv scope:SCOPE_SE
	v_add_f64_e32 v[5:6], v[5:6], v[14:15]
	v_add_f64_e32 v[7:8], v[7:8], v[16:17]
	ds_store_b128 v13, v[5:8]
.LBB109_112:
	s_wait_loadcnt_dscnt 0x0
	s_barrier_signal -1
	s_barrier_wait -1
	global_inv scope:SCOPE_SE
	ds_load_b128 v[14:17], v13 offset:16
	v_cmp_eq_u32_e64 s0, 0, v0
	s_xor_b32 s1, vcc_lo, -1
	s_wait_loadcnt_dscnt 0x0
	s_barrier_signal -1
	s_barrier_wait -1
	s_wait_alu 0xfffe
	s_and_b32 s0, s0, s1
	global_inv scope:SCOPE_SE
	v_add_f64_e32 v[5:6], v[5:6], v[14:15]
	v_add_f64_e32 v[7:8], v[7:8], v[16:17]
	ds_store_b128 v13, v[5:8]
	s_wait_alu 0xfffe
	s_and_b32 exec_lo, exec_lo, s0
	s_cbranch_execz .LBB109_116
; %bb.113:
	v_cmp_neq_f64_e32 vcc_lo, 0, v[1:2]
	v_cmp_neq_f64_e64 s0, 0, v[3:4]
	v_ashrrev_i32_e32 v10, 31, v9
	s_delay_alu instid0(VALU_DEP_1)
	v_lshlrev_b64_e32 v[9:10], 4, v[9:10]
	s_or_b32 s1, vcc_lo, s0
	s_wait_alu 0xfffe
	s_and_saveexec_b32 s0, s1
	s_cbranch_execz .LBB109_115
; %bb.114:
	s_delay_alu instid0(VALU_DEP_1)
	v_add_co_u32 v11, vcc_lo, s22, v9
	s_wait_alu 0xfffd
	v_add_co_ci_u32_e64 v12, null, s23, v10, vcc_lo
	global_load_b128 v[11:14], v[11:12], off
	s_wait_loadcnt 0x0
	v_fma_f64 v[5:6], v[1:2], v[11:12], v[5:6]
	v_fma_f64 v[7:8], v[3:4], v[11:12], v[7:8]
	s_delay_alu instid0(VALU_DEP_2) | instskip(NEXT) | instid1(VALU_DEP_2)
	v_fma_f64 v[5:6], -v[3:4], v[13:14], v[5:6]
	v_fma_f64 v[7:8], v[1:2], v[13:14], v[7:8]
.LBB109_115:
	s_wait_alu 0xfffe
	s_or_b32 exec_lo, exec_lo, s0
	v_add_co_u32 v0, vcc_lo, s22, v9
	s_wait_alu 0xfffd
	v_add_co_ci_u32_e64 v1, null, s23, v10, vcc_lo
	global_store_b128 v[0:1], v[5:8], off
.LBB109_116:
	s_endpgm
	.section	.rodata,"a",@progbits
	.p2align	6, 0x0
	.amdhsa_kernel _ZN9rocsparseL22csrmvn_adaptive_kernelIii21rocsparse_complex_numIfES1_IdES3_S3_EEvbT_PKS4_PjPKT0_NS_24const_host_device_scalarIT4_EES6_SA_PKT1_PKT2_SD_PT3_21rocsparse_index_base_b
		.amdhsa_group_segment_fixed_size 16384
		.amdhsa_private_segment_fixed_size 0
		.amdhsa_kernarg_size 112
		.amdhsa_user_sgpr_count 2
		.amdhsa_user_sgpr_dispatch_ptr 0
		.amdhsa_user_sgpr_queue_ptr 0
		.amdhsa_user_sgpr_kernarg_segment_ptr 1
		.amdhsa_user_sgpr_dispatch_id 0
		.amdhsa_user_sgpr_private_segment_size 0
		.amdhsa_wavefront_size32 1
		.amdhsa_uses_dynamic_stack 0
		.amdhsa_enable_private_segment 0
		.amdhsa_system_sgpr_workgroup_id_x 1
		.amdhsa_system_sgpr_workgroup_id_y 0
		.amdhsa_system_sgpr_workgroup_id_z 0
		.amdhsa_system_sgpr_workgroup_info 0
		.amdhsa_system_vgpr_workitem_id 0
		.amdhsa_next_free_vgpr 50
		.amdhsa_next_free_sgpr 44
		.amdhsa_reserve_vcc 1
		.amdhsa_float_round_mode_32 0
		.amdhsa_float_round_mode_16_64 0
		.amdhsa_float_denorm_mode_32 3
		.amdhsa_float_denorm_mode_16_64 3
		.amdhsa_fp16_overflow 0
		.amdhsa_workgroup_processor_mode 1
		.amdhsa_memory_ordered 1
		.amdhsa_forward_progress 1
		.amdhsa_inst_pref_size 50
		.amdhsa_round_robin_scheduling 0
		.amdhsa_exception_fp_ieee_invalid_op 0
		.amdhsa_exception_fp_denorm_src 0
		.amdhsa_exception_fp_ieee_div_zero 0
		.amdhsa_exception_fp_ieee_overflow 0
		.amdhsa_exception_fp_ieee_underflow 0
		.amdhsa_exception_fp_ieee_inexact 0
		.amdhsa_exception_int_div_zero 0
	.end_amdhsa_kernel
	.section	.text._ZN9rocsparseL22csrmvn_adaptive_kernelIii21rocsparse_complex_numIfES1_IdES3_S3_EEvbT_PKS4_PjPKT0_NS_24const_host_device_scalarIT4_EES6_SA_PKT1_PKT2_SD_PT3_21rocsparse_index_base_b,"axG",@progbits,_ZN9rocsparseL22csrmvn_adaptive_kernelIii21rocsparse_complex_numIfES1_IdES3_S3_EEvbT_PKS4_PjPKT0_NS_24const_host_device_scalarIT4_EES6_SA_PKT1_PKT2_SD_PT3_21rocsparse_index_base_b,comdat
.Lfunc_end109:
	.size	_ZN9rocsparseL22csrmvn_adaptive_kernelIii21rocsparse_complex_numIfES1_IdES3_S3_EEvbT_PKS4_PjPKT0_NS_24const_host_device_scalarIT4_EES6_SA_PKT1_PKT2_SD_PT3_21rocsparse_index_base_b, .Lfunc_end109-_ZN9rocsparseL22csrmvn_adaptive_kernelIii21rocsparse_complex_numIfES1_IdES3_S3_EEvbT_PKS4_PjPKT0_NS_24const_host_device_scalarIT4_EES6_SA_PKT1_PKT2_SD_PT3_21rocsparse_index_base_b
                                        ; -- End function
	.set _ZN9rocsparseL22csrmvn_adaptive_kernelIii21rocsparse_complex_numIfES1_IdES3_S3_EEvbT_PKS4_PjPKT0_NS_24const_host_device_scalarIT4_EES6_SA_PKT1_PKT2_SD_PT3_21rocsparse_index_base_b.num_vgpr, 50
	.set _ZN9rocsparseL22csrmvn_adaptive_kernelIii21rocsparse_complex_numIfES1_IdES3_S3_EEvbT_PKS4_PjPKT0_NS_24const_host_device_scalarIT4_EES6_SA_PKT1_PKT2_SD_PT3_21rocsparse_index_base_b.num_agpr, 0
	.set _ZN9rocsparseL22csrmvn_adaptive_kernelIii21rocsparse_complex_numIfES1_IdES3_S3_EEvbT_PKS4_PjPKT0_NS_24const_host_device_scalarIT4_EES6_SA_PKT1_PKT2_SD_PT3_21rocsparse_index_base_b.numbered_sgpr, 44
	.set _ZN9rocsparseL22csrmvn_adaptive_kernelIii21rocsparse_complex_numIfES1_IdES3_S3_EEvbT_PKS4_PjPKT0_NS_24const_host_device_scalarIT4_EES6_SA_PKT1_PKT2_SD_PT3_21rocsparse_index_base_b.num_named_barrier, 0
	.set _ZN9rocsparseL22csrmvn_adaptive_kernelIii21rocsparse_complex_numIfES1_IdES3_S3_EEvbT_PKS4_PjPKT0_NS_24const_host_device_scalarIT4_EES6_SA_PKT1_PKT2_SD_PT3_21rocsparse_index_base_b.private_seg_size, 0
	.set _ZN9rocsparseL22csrmvn_adaptive_kernelIii21rocsparse_complex_numIfES1_IdES3_S3_EEvbT_PKS4_PjPKT0_NS_24const_host_device_scalarIT4_EES6_SA_PKT1_PKT2_SD_PT3_21rocsparse_index_base_b.uses_vcc, 1
	.set _ZN9rocsparseL22csrmvn_adaptive_kernelIii21rocsparse_complex_numIfES1_IdES3_S3_EEvbT_PKS4_PjPKT0_NS_24const_host_device_scalarIT4_EES6_SA_PKT1_PKT2_SD_PT3_21rocsparse_index_base_b.uses_flat_scratch, 0
	.set _ZN9rocsparseL22csrmvn_adaptive_kernelIii21rocsparse_complex_numIfES1_IdES3_S3_EEvbT_PKS4_PjPKT0_NS_24const_host_device_scalarIT4_EES6_SA_PKT1_PKT2_SD_PT3_21rocsparse_index_base_b.has_dyn_sized_stack, 0
	.set _ZN9rocsparseL22csrmvn_adaptive_kernelIii21rocsparse_complex_numIfES1_IdES3_S3_EEvbT_PKS4_PjPKT0_NS_24const_host_device_scalarIT4_EES6_SA_PKT1_PKT2_SD_PT3_21rocsparse_index_base_b.has_recursion, 0
	.set _ZN9rocsparseL22csrmvn_adaptive_kernelIii21rocsparse_complex_numIfES1_IdES3_S3_EEvbT_PKS4_PjPKT0_NS_24const_host_device_scalarIT4_EES6_SA_PKT1_PKT2_SD_PT3_21rocsparse_index_base_b.has_indirect_call, 0
	.section	.AMDGPU.csdata,"",@progbits
; Kernel info:
; codeLenInByte = 6320
; TotalNumSgprs: 46
; NumVgprs: 50
; ScratchSize: 0
; MemoryBound: 0
; FloatMode: 240
; IeeeMode: 1
; LDSByteSize: 16384 bytes/workgroup (compile time only)
; SGPRBlocks: 0
; VGPRBlocks: 6
; NumSGPRsForWavesPerEU: 46
; NumVGPRsForWavesPerEU: 50
; Occupancy: 16
; WaveLimiterHint : 1
; COMPUTE_PGM_RSRC2:SCRATCH_EN: 0
; COMPUTE_PGM_RSRC2:USER_SGPR: 2
; COMPUTE_PGM_RSRC2:TRAP_HANDLER: 0
; COMPUTE_PGM_RSRC2:TGID_X_EN: 1
; COMPUTE_PGM_RSRC2:TGID_Y_EN: 0
; COMPUTE_PGM_RSRC2:TGID_Z_EN: 0
; COMPUTE_PGM_RSRC2:TIDIG_COMP_CNT: 0
	.section	.text._ZN9rocsparseL27csrmvn_symm_adaptive_kernelIii21rocsparse_complex_numIfES1_IdES3_S3_EEvbT_S4_PKS4_NS_24const_host_device_scalarIT4_EES6_PKT0_PKT1_PKT2_S9_PT3_21rocsparse_index_base_b,"axG",@progbits,_ZN9rocsparseL27csrmvn_symm_adaptive_kernelIii21rocsparse_complex_numIfES1_IdES3_S3_EEvbT_S4_PKS4_NS_24const_host_device_scalarIT4_EES6_PKT0_PKT1_PKT2_S9_PT3_21rocsparse_index_base_b,comdat
	.globl	_ZN9rocsparseL27csrmvn_symm_adaptive_kernelIii21rocsparse_complex_numIfES1_IdES3_S3_EEvbT_S4_PKS4_NS_24const_host_device_scalarIT4_EES6_PKT0_PKT1_PKT2_S9_PT3_21rocsparse_index_base_b ; -- Begin function _ZN9rocsparseL27csrmvn_symm_adaptive_kernelIii21rocsparse_complex_numIfES1_IdES3_S3_EEvbT_S4_PKS4_NS_24const_host_device_scalarIT4_EES6_PKT0_PKT1_PKT2_S9_PT3_21rocsparse_index_base_b
	.p2align	8
	.type	_ZN9rocsparseL27csrmvn_symm_adaptive_kernelIii21rocsparse_complex_numIfES1_IdES3_S3_EEvbT_S4_PKS4_NS_24const_host_device_scalarIT4_EES6_PKT0_PKT1_PKT2_S9_PT3_21rocsparse_index_base_b,@function
_ZN9rocsparseL27csrmvn_symm_adaptive_kernelIii21rocsparse_complex_numIfES1_IdES3_S3_EEvbT_S4_PKS4_NS_24const_host_device_scalarIT4_EES6_PKT0_PKT1_PKT2_S9_PT3_21rocsparse_index_base_b: ; @_ZN9rocsparseL27csrmvn_symm_adaptive_kernelIii21rocsparse_complex_numIfES1_IdES3_S3_EEvbT_S4_PKS4_NS_24const_host_device_scalarIT4_EES6_PKT0_PKT1_PKT2_S9_PT3_21rocsparse_index_base_b
; %bb.0:
	s_clause 0x1
	s_load_b64 s[24:25], s[0:1], 0x60
	s_load_b64 s[4:5], s[0:1], 0x18
	s_add_nc_u64 s[6:7], s[0:1], 24
	s_wait_kmcnt 0x0
	s_bitcmp1_b32 s25, 0
	s_cselect_b32 s3, -1, 0
	s_delay_alu instid0(SALU_CYCLE_1) | instskip(SKIP_2) | instid1(SALU_CYCLE_1)
	s_and_b32 s2, s3, exec_lo
	s_cselect_b32 s2, s6, s4
	s_cselect_b32 s4, s7, s5
	v_dual_mov_b32 v1, s2 :: v_dual_mov_b32 v2, s4
	flat_load_b128 v[1:4], v[1:2]
	s_wait_loadcnt_dscnt 0x0
	v_cmp_eq_f64_e32 vcc_lo, 0, v[1:2]
	v_cmp_eq_f64_e64 s2, 0, v[3:4]
	s_and_b32 s5, vcc_lo, s2
	s_mov_b32 s2, -1
	s_wait_alu 0xfffe
	s_and_saveexec_b32 s4, s5
	s_cbranch_execz .LBB110_2
; %bb.1:
	s_load_b64 s[6:7], s[0:1], 0x48
	s_add_nc_u64 s[8:9], s[0:1], 0x48
	s_and_b32 s2, s3, exec_lo
	s_wait_kmcnt 0x0
	s_cselect_b32 s2, s8, s6
	s_cselect_b32 s3, s9, s7
	s_wait_alu 0xfffe
	v_dual_mov_b32 v5, s2 :: v_dual_mov_b32 v6, s3
	flat_load_b128 v[5:8], v[5:6]
	s_wait_loadcnt_dscnt 0x0
	v_cmp_neq_f64_e32 vcc_lo, 1.0, v[5:6]
	v_cmp_neq_f64_e64 s2, 0, v[7:8]
	s_or_b32 s2, vcc_lo, s2
	s_wait_alu 0xfffe
	s_or_not1_b32 s2, s2, exec_lo
.LBB110_2:
	s_wait_alu 0xfffe
	s_or_b32 exec_lo, exec_lo, s4
	s_and_saveexec_b32 s3, s2
	s_cbranch_execz .LBB110_203
; %bb.3:
	s_clause 0x1
	s_load_b96 s[16:18], s[0:1], 0x0
	s_load_b64 s[8:9], s[0:1], 0x10
	s_mov_b32 s4, 0
	s_mov_b32 s2, ttmp9
	s_wait_alu 0xfffe
	s_mov_b32 s7, s4
	s_mov_b32 s5, s4
	;; [unrolled: 1-line block ×3, first 2 shown]
	v_dual_mov_b32 v8, s7 :: v_dual_mov_b32 v5, s4
	v_dual_mov_b32 v7, s6 :: v_dual_lshlrev_b32 v22, 4, v0
	s_wait_alu 0xfffe
	v_mov_b32_e32 v6, s5
	ds_store_b128 v22, v[5:8]
	ds_store_b128 v22, v[5:8] offset:4096
	ds_store_b128 v22, v[5:8] offset:8192
	;; [unrolled: 1-line block ×3, first 2 shown]
	s_wait_dscnt 0x0
	s_barrier_signal -1
	s_barrier_wait -1
	s_wait_kmcnt 0x0
	s_bitcmp1_b32 s16, 0
	global_inv scope:SCOPE_SE
	s_cselect_b32 s25, -1, 0
	s_ashr_i32 s3, ttmp9, 31
	v_subrev_nc_u32_e32 v23, s24, v0
	s_wait_alu 0xfffe
	s_lshl_b64 s[2:3], s[2:3], 2
	s_wait_alu 0xfffe
	s_add_nc_u64 s[2:3], s[8:9], s[2:3]
	s_load_b64 s[22:23], s[2:3], 0x0
	s_clause 0x1
	s_load_b64 s[20:21], s[0:1], 0x58
	s_load_b256 s[8:15], s[0:1], 0x28
	s_mov_b32 s2, -1
	s_wait_kmcnt 0x0
	s_sub_co_i32 s16, s23, s22
	s_delay_alu instid0(SALU_CYCLE_1)
	s_cmp_gt_i32 s16, 2
	s_cbranch_scc1 .LBB110_45
; %bb.4:
	s_cmp_le_i32 s23, s22
	s_cbranch_scc1 .LBB110_32
; %bb.5:
	v_cmp_gt_u32_e64 s2, 16, v0
	v_cmp_gt_u32_e64 s3, 4, v0
	v_cmp_eq_u32_e64 s4, 0, v0
	v_mov_b32_e32 v15, 0
	s_add_nc_u64 s[26:27], s[12:13], 4
	s_mov_b32 s28, s22
	v_cmp_gt_u32_e32 vcc_lo, 64, v0
	s_branch .LBB110_7
.LBB110_6:                              ;   in Loop: Header=BB110_7 Depth=1
	s_wait_alu 0xfffe
	s_or_b32 exec_lo, exec_lo, s19
	s_add_co_i32 s28, s28, 1
	s_wait_alu 0xfffe
	s_cmp_ge_i32 s28, s23
	s_cbranch_scc1 .LBB110_32
.LBB110_7:                              ; =>This Loop Header: Depth=1
                                        ;     Child Loop BB110_9 Depth 2
                                        ;     Child Loop BB110_21 Depth 2
                                        ;     Child Loop BB110_24 Depth 2
                                        ;     Child Loop BB110_27 Depth 2
                                        ;     Child Loop BB110_30 Depth 2
	s_ashr_i32 s29, s28, 31
	v_mov_b32_e32 v7, 0
	s_wait_alu 0xfffe
	s_lshl_b64 s[6:7], s[28:29], 2
	v_mov_b32_e32 v5, 0
	s_wait_alu 0xfffe
	s_add_nc_u64 s[6:7], s[8:9], s[6:7]
	v_mov_b32_e32 v6, 0
	s_load_b64 s[6:7], s[6:7], 0x0
	s_wait_kmcnt 0x0
	v_dual_mov_b32 v8, 0 :: v_dual_add_nc_u32 v9, s6, v23
	s_sub_co_i32 s19, s7, s24
	s_mov_b32 s7, exec_lo
	s_wait_alu 0xfffe
	s_delay_alu instid0(VALU_DEP_1)
	v_cmpx_gt_i32_e64 s19, v9
	s_cbranch_execz .LBB110_11
; %bb.8:                                ;   in Loop: Header=BB110_7 Depth=1
	v_ashrrev_i32_e32 v10, 31, v9
	v_mov_b32_e32 v7, 0
	v_mov_b32_e32 v8, 0
	s_mov_b32 s30, 0
	s_delay_alu instid0(VALU_DEP_3) | instskip(SKIP_1) | instid1(VALU_DEP_2)
	v_lshlrev_b64_e32 v[5:6], 2, v[9:10]
	v_lshlrev_b64_e32 v[12:13], 3, v[9:10]
	v_add_co_u32 v10, s5, s10, v5
	s_wait_alu 0xf1ff
	s_delay_alu instid0(VALU_DEP_3) | instskip(NEXT) | instid1(VALU_DEP_3)
	v_add_co_ci_u32_e64 v11, null, s11, v6, s5
	v_add_co_u32 v12, s5, s26, v12
	s_wait_alu 0xf1ff
	v_add_co_ci_u32_e64 v13, null, s27, v13, s5
	v_dual_mov_b32 v5, v7 :: v_dual_mov_b32 v6, v8
.LBB110_9:                              ;   Parent Loop BB110_7 Depth=1
                                        ; =>  This Inner Loop Header: Depth=2
	global_load_b32 v14, v[10:11], off
	global_load_b64 v[20:21], v[12:13], off offset:-4
	v_add_nc_u32_e32 v9, 0x100, v9
	v_add_co_u32 v12, s6, 0x800, v12
	s_wait_alu 0xf1ff
	v_add_co_ci_u32_e64 v13, null, 0, v13, s6
	s_wait_loadcnt 0x1
	v_subrev_nc_u32_e32 v16, s24, v14
	s_wait_loadcnt 0x0
	v_cndmask_b32_e64 v14, v21, -v21, s25
	v_cvt_f64_f32_e32 v[20:21], v20
	s_delay_alu instid0(VALU_DEP_3) | instskip(NEXT) | instid1(VALU_DEP_3)
	v_ashrrev_i32_e32 v17, 31, v16
	v_cvt_f64_f32_e32 v[24:25], v14
	s_delay_alu instid0(VALU_DEP_2) | instskip(NEXT) | instid1(VALU_DEP_1)
	v_lshlrev_b64_e32 v[16:17], 4, v[16:17]
	v_add_co_u32 v16, s5, s14, v16
	s_wait_alu 0xf1ff
	s_delay_alu instid0(VALU_DEP_2)
	v_add_co_ci_u32_e64 v17, null, s15, v17, s5
	v_add_co_u32 v10, s5, 0x400, v10
	s_wait_alu 0xf1ff
	v_add_co_ci_u32_e64 v11, null, 0, v11, s5
	global_load_b128 v[16:19], v[16:17], off
	v_cmp_le_i32_e64 s5, s19, v9
	s_wait_alu 0xfffe
	s_or_b32 s30, s5, s30
	s_wait_loadcnt 0x0
	v_fma_f64 v[5:6], v[20:21], v[16:17], v[5:6]
	v_fma_f64 v[7:8], v[24:25], v[16:17], v[7:8]
	s_delay_alu instid0(VALU_DEP_2) | instskip(NEXT) | instid1(VALU_DEP_2)
	v_fma_f64 v[5:6], -v[24:25], v[18:19], v[5:6]
	v_fma_f64 v[7:8], v[20:21], v[18:19], v[7:8]
	s_wait_alu 0xfffe
	s_and_not1_b32 exec_lo, exec_lo, s30
	s_cbranch_execnz .LBB110_9
; %bb.10:                               ;   in Loop: Header=BB110_7 Depth=1
	s_or_b32 exec_lo, exec_lo, s30
.LBB110_11:                             ;   in Loop: Header=BB110_7 Depth=1
	s_wait_alu 0xfffe
	s_or_b32 exec_lo, exec_lo, s7
	ds_store_b128 v22, v[5:8]
	s_wait_loadcnt_dscnt 0x0
	s_barrier_signal -1
	s_barrier_wait -1
	global_inv scope:SCOPE_SE
	ds_load_b128 v[5:8], v22 offset:4096
	ds_load_b128 v[9:12], v22 offset:8192
	;; [unrolled: 1-line block ×3, first 2 shown]
	ds_load_b128 v[24:27], v22
	s_wait_dscnt 0x2
	v_add_f64_e32 v[5:6], v[9:10], v[5:6]
	v_add_f64_e32 v[7:8], v[11:12], v[7:8]
	s_wait_dscnt 0x1
	s_delay_alu instid0(VALU_DEP_2) | instskip(NEXT) | instid1(VALU_DEP_2)
	v_add_f64_e32 v[5:6], v[5:6], v[16:17]
	v_add_f64_e32 v[7:8], v[7:8], v[18:19]
	s_wait_dscnt 0x0
	s_delay_alu instid0(VALU_DEP_2) | instskip(NEXT) | instid1(VALU_DEP_2)
	v_add_f64_e32 v[5:6], v[5:6], v[24:25]
	v_add_f64_e32 v[7:8], v[7:8], v[26:27]
	ds_store_b128 v22, v[5:8]
	s_wait_loadcnt_dscnt 0x0
	s_barrier_signal -1
	s_barrier_wait -1
	global_inv scope:SCOPE_SE
	s_and_saveexec_b32 s5, vcc_lo
	s_cbranch_execz .LBB110_13
; %bb.12:                               ;   in Loop: Header=BB110_7 Depth=1
	ds_load_b128 v[5:8], v22 offset:1024
	ds_load_b128 v[9:12], v22 offset:2048
	ds_load_b128 v[16:19], v22 offset:3072
	ds_load_b128 v[24:27], v22
	s_wait_dscnt 0x2
	v_add_f64_e32 v[5:6], v[9:10], v[5:6]
	v_add_f64_e32 v[7:8], v[11:12], v[7:8]
	s_wait_dscnt 0x1
	s_delay_alu instid0(VALU_DEP_2) | instskip(NEXT) | instid1(VALU_DEP_2)
	v_add_f64_e32 v[5:6], v[5:6], v[16:17]
	v_add_f64_e32 v[7:8], v[7:8], v[18:19]
	s_wait_dscnt 0x0
	s_delay_alu instid0(VALU_DEP_2) | instskip(NEXT) | instid1(VALU_DEP_2)
	v_add_f64_e32 v[5:6], v[5:6], v[24:25]
	v_add_f64_e32 v[7:8], v[7:8], v[26:27]
	ds_store_b128 v22, v[5:8]
.LBB110_13:                             ;   in Loop: Header=BB110_7 Depth=1
	s_wait_alu 0xfffe
	s_or_b32 exec_lo, exec_lo, s5
	s_wait_loadcnt_dscnt 0x0
	s_barrier_signal -1
	s_barrier_wait -1
	global_inv scope:SCOPE_SE
	s_and_saveexec_b32 s5, s2
	s_cbranch_execz .LBB110_15
; %bb.14:                               ;   in Loop: Header=BB110_7 Depth=1
	ds_load_b128 v[5:8], v22 offset:256
	ds_load_b128 v[9:12], v22 offset:512
	ds_load_b128 v[16:19], v22 offset:768
	ds_load_b128 v[24:27], v22
	s_wait_dscnt 0x2
	v_add_f64_e32 v[5:6], v[9:10], v[5:6]
	v_add_f64_e32 v[7:8], v[11:12], v[7:8]
	s_wait_dscnt 0x1
	s_delay_alu instid0(VALU_DEP_2) | instskip(NEXT) | instid1(VALU_DEP_2)
	v_add_f64_e32 v[5:6], v[5:6], v[16:17]
	v_add_f64_e32 v[7:8], v[7:8], v[18:19]
	s_wait_dscnt 0x0
	s_delay_alu instid0(VALU_DEP_2) | instskip(NEXT) | instid1(VALU_DEP_2)
	v_add_f64_e32 v[5:6], v[5:6], v[24:25]
	v_add_f64_e32 v[7:8], v[7:8], v[26:27]
	ds_store_b128 v22, v[5:8]
.LBB110_15:                             ;   in Loop: Header=BB110_7 Depth=1
	s_wait_alu 0xfffe
	s_or_b32 exec_lo, exec_lo, s5
	s_wait_loadcnt_dscnt 0x0
	s_barrier_signal -1
	s_barrier_wait -1
	global_inv scope:SCOPE_SE
	s_and_saveexec_b32 s5, s3
	s_cbranch_execz .LBB110_17
; %bb.16:                               ;   in Loop: Header=BB110_7 Depth=1
	ds_load_b128 v[5:8], v22 offset:64
	ds_load_b128 v[9:12], v22 offset:128
	ds_load_b128 v[16:19], v22 offset:192
	ds_load_b128 v[24:27], v22
	s_wait_dscnt 0x2
	v_add_f64_e32 v[5:6], v[9:10], v[5:6]
	v_add_f64_e32 v[7:8], v[11:12], v[7:8]
	s_wait_dscnt 0x1
	s_delay_alu instid0(VALU_DEP_2) | instskip(NEXT) | instid1(VALU_DEP_2)
	v_add_f64_e32 v[5:6], v[5:6], v[16:17]
	v_add_f64_e32 v[7:8], v[7:8], v[18:19]
	s_wait_dscnt 0x0
	s_delay_alu instid0(VALU_DEP_2) | instskip(NEXT) | instid1(VALU_DEP_2)
	v_add_f64_e32 v[5:6], v[5:6], v[24:25]
	v_add_f64_e32 v[7:8], v[7:8], v[26:27]
	ds_store_b128 v22, v[5:8]
.LBB110_17:                             ;   in Loop: Header=BB110_7 Depth=1
	s_wait_alu 0xfffe
	s_or_b32 exec_lo, exec_lo, s5
	s_wait_loadcnt_dscnt 0x0
	s_barrier_signal -1
	s_barrier_wait -1
	global_inv scope:SCOPE_SE
	s_and_saveexec_b32 s5, s4
	s_cbranch_execz .LBB110_19
; %bb.18:                               ;   in Loop: Header=BB110_7 Depth=1
	ds_load_b128 v[5:8], v15 offset:16
	ds_load_b128 v[9:12], v15 offset:32
	ds_load_b128 v[16:19], v15 offset:48
	ds_load_b128 v[24:27], v22
	s_wait_dscnt 0x2
	v_add_f64_e32 v[5:6], v[9:10], v[5:6]
	v_add_f64_e32 v[7:8], v[11:12], v[7:8]
	s_wait_dscnt 0x1
	s_delay_alu instid0(VALU_DEP_2) | instskip(NEXT) | instid1(VALU_DEP_2)
	v_add_f64_e32 v[5:6], v[5:6], v[16:17]
	v_add_f64_e32 v[7:8], v[7:8], v[18:19]
	s_wait_dscnt 0x0
	s_delay_alu instid0(VALU_DEP_2) | instskip(NEXT) | instid1(VALU_DEP_2)
	v_add_f64_e32 v[5:6], v[5:6], v[24:25]
	v_add_f64_e32 v[7:8], v[7:8], v[26:27]
	ds_store_b128 v22, v[5:8]
.LBB110_19:                             ;   in Loop: Header=BB110_7 Depth=1
	s_wait_alu 0xfffe
	s_or_b32 exec_lo, exec_lo, s5
	s_wait_loadcnt_dscnt 0x0
	s_barrier_signal -1
	s_barrier_wait -1
	global_inv scope:SCOPE_SE
	s_and_saveexec_b32 s19, s4
	s_cbranch_execz .LBB110_6
; %bb.20:                               ;   in Loop: Header=BB110_7 Depth=1
	ds_load_b128 v[5:8], v15
	v_mov_b32_e32 v13, 0
	v_bfrev_b32_e32 v14, 1
	s_mov_b32 s5, exec_lo
	s_wait_dscnt 0x0
	v_mul_f64_e64 v[9:10], v[7:8], -v[3:4]
	s_delay_alu instid0(VALU_DEP_1)
	v_fma_f64 v[9:10], v[1:2], v[5:6], v[9:10]
.LBB110_21:                             ;   Parent Loop BB110_7 Depth=1
                                        ; =>  This Inner Loop Header: Depth=2
	s_wait_alu 0xfffe
	s_ctz_i32_b32 s30, s5
	s_wait_alu 0xfffe
	s_delay_alu instid0(VALU_DEP_1) | instskip(NEXT) | instid1(VALU_DEP_2)
	v_readlane_b32 s7, v10, s30
	v_readlane_b32 s6, v9, s30
	s_wait_alu 0xf1ff
	s_delay_alu instid0(VALU_DEP_1)
	v_add_f64_e32 v[13:14], s[6:7], v[13:14]
	s_lshl_b32 s6, 1, s30
	s_wait_alu 0xfffe
	s_and_not1_b32 s5, s5, s6
	s_wait_alu 0xfffe
	s_cmp_lg_u32 s5, 0
	s_cbranch_scc1 .LBB110_21
; %bb.22:                               ;   in Loop: Header=BB110_7 Depth=1
	v_mbcnt_lo_u32_b32 v9, exec_lo, 0
	s_lshl_b64 s[6:7], s[28:29], 4
	s_mov_b32 s29, exec_lo
	s_wait_alu 0xfffe
	s_add_nc_u64 s[6:7], s[20:21], s[6:7]
	v_cmpx_eq_u32_e32 0, v9
	s_xor_b32 s29, exec_lo, s29
	s_cbranch_execz .LBB110_26
; %bb.23:                               ;   in Loop: Header=BB110_7 Depth=1
	global_load_b64 v[11:12], v15, s[6:7]
	s_mov_b32 s30, 0
.LBB110_24:                             ;   Parent Loop BB110_7 Depth=1
                                        ; =>  This Inner Loop Header: Depth=2
	s_wait_loadcnt 0x0
	v_add_f64_e32 v[9:10], v[11:12], v[13:14]
	global_atomic_cmpswap_b64 v[9:10], v15, v[9:12], s[6:7] th:TH_ATOMIC_RETURN scope:SCOPE_DEV
	s_wait_loadcnt 0x0
	v_cmp_eq_u64_e64 s5, v[9:10], v[11:12]
	v_dual_mov_b32 v12, v10 :: v_dual_mov_b32 v11, v9
	s_wait_alu 0xfffe
	s_or_b32 s30, s5, s30
	s_wait_alu 0xfffe
	s_and_not1_b32 exec_lo, exec_lo, s30
	s_cbranch_execnz .LBB110_24
; %bb.25:                               ;   in Loop: Header=BB110_7 Depth=1
	s_or_b32 exec_lo, exec_lo, s30
.LBB110_26:                             ;   in Loop: Header=BB110_7 Depth=1
	s_wait_alu 0xfffe
	s_or_b32 exec_lo, exec_lo, s29
	v_mul_f64_e32 v[7:8], v[1:2], v[7:8]
	v_mov_b32_e32 v9, 0
	v_bfrev_b32_e32 v10, 1
	s_mov_b32 s5, exec_lo
	s_delay_alu instid0(VALU_DEP_3)
	v_fma_f64 v[5:6], v[3:4], v[5:6], v[7:8]
.LBB110_27:                             ;   Parent Loop BB110_7 Depth=1
                                        ; =>  This Inner Loop Header: Depth=2
	s_wait_alu 0xfffe
	s_ctz_i32_b32 s29, s5
	s_wait_alu 0xfffe
	s_delay_alu instid0(VALU_DEP_1) | instskip(NEXT) | instid1(VALU_DEP_2)
	v_readlane_b32 s31, v6, s29
	v_readlane_b32 s30, v5, s29
	s_lshl_b32 s29, 1, s29
	s_wait_alu 0xfffe
	s_and_not1_b32 s5, s5, s29
	v_add_f64_e32 v[9:10], s[30:31], v[9:10]
	s_wait_alu 0xfffe
	s_cmp_lg_u32 s5, 0
	s_cbranch_scc1 .LBB110_27
; %bb.28:                               ;   in Loop: Header=BB110_7 Depth=1
	v_mbcnt_lo_u32_b32 v5, exec_lo, 0
	s_mov_b32 s29, exec_lo
	s_delay_alu instid0(VALU_DEP_1)
	v_cmpx_eq_u32_e32 0, v5
	s_wait_alu 0xfffe
	s_xor_b32 s29, exec_lo, s29
	s_cbranch_execz .LBB110_6
; %bb.29:                               ;   in Loop: Header=BB110_7 Depth=1
	global_load_b64 v[7:8], v15, s[6:7] offset:8
	s_mov_b32 s29, 0
.LBB110_30:                             ;   Parent Loop BB110_7 Depth=1
                                        ; =>  This Inner Loop Header: Depth=2
	s_wait_loadcnt 0x0
	v_add_f64_e32 v[5:6], v[7:8], v[9:10]
	global_atomic_cmpswap_b64 v[5:6], v15, v[5:8], s[6:7] offset:8 th:TH_ATOMIC_RETURN scope:SCOPE_DEV
	s_wait_loadcnt 0x0
	v_cmp_eq_u64_e64 s5, v[5:6], v[7:8]
	v_dual_mov_b32 v8, v6 :: v_dual_mov_b32 v7, v5
	s_wait_alu 0xfffe
	s_or_b32 s29, s5, s29
	s_wait_alu 0xfffe
	s_and_not1_b32 exec_lo, exec_lo, s29
	s_cbranch_execnz .LBB110_30
; %bb.31:                               ;   in Loop: Header=BB110_7 Depth=1
	s_or_b32 exec_lo, exec_lo, s29
	s_branch .LBB110_6
.LBB110_32:
	s_ashr_i32 s3, s22, 31
	s_mov_b32 s2, s22
	s_ashr_i32 s5, s23, 31
	s_wait_alu 0xfffe
	s_lshl_b64 s[2:3], s[2:3], 2
	s_mov_b32 s4, s23
	s_wait_alu 0xfffe
	s_add_nc_u64 s[2:3], s[8:9], s[2:3]
	s_lshl_b64 s[4:5], s[4:5], 2
	s_load_b32 s6, s[2:3], 0x0
	s_add_nc_u64 s[2:3], s[8:9], s[4:5]
	s_mov_b32 s4, exec_lo
	s_load_b32 s2, s[2:3], 0x0
	s_wait_kmcnt 0x0
	v_add_nc_u32_e32 v13, s6, v23
	s_sub_co_i32 s3, s2, s24
	s_wait_alu 0xfffe
	s_delay_alu instid0(VALU_DEP_1)
	v_cmpx_gt_i32_e64 s3, v13
	s_cbranch_execz .LBB110_44
; %bb.33:
	s_add_co_i32 s5, s23, -1
	s_mov_b32 s7, 0
	s_wait_alu 0xfffe
	s_cmp_lt_i32 s22, s5
	s_cselect_b32 s2, -1, 0
	s_add_co_i32 s6, s23, -2
	s_wait_alu 0xfffe
	s_cmp_lg_u32 s22, s6
	s_cselect_b32 s6, -1, 0
	s_wait_alu 0xfffe
	s_and_b32 s6, s2, s6
	s_branch .LBB110_35
.LBB110_34:                             ;   in Loop: Header=BB110_35 Depth=1
	s_wait_alu 0xfffe
	s_or_b32 exec_lo, exec_lo, s2
	v_add_nc_u32_e32 v13, 0x100, v13
	s_delay_alu instid0(VALU_DEP_1)
	v_cmp_le_i32_e32 vcc_lo, s3, v13
	s_or_b32 s7, vcc_lo, s7
	s_wait_alu 0xfffe
	s_and_not1_b32 exec_lo, exec_lo, s7
	s_cbranch_execz .LBB110_44
.LBB110_35:                             ; =>This Loop Header: Depth=1
                                        ;     Child Loop BB110_37 Depth 2
                                        ;     Child Loop BB110_41 Depth 2
	;; [unrolled: 1-line block ×3, first 2 shown]
	v_mov_b32_e32 v7, s22
	v_mov_b32_e32 v5, s5
	s_wait_alu 0xfffe
	s_and_not1_b32 vcc_lo, exec_lo, s6
	s_wait_alu 0xfffe
	s_cbranch_vccnz .LBB110_39
; %bb.36:                               ;   in Loop: Header=BB110_35 Depth=1
	v_mov_b32_e32 v7, s22
	v_mov_b32_e32 v5, s5
	s_mov_b32 s19, 0
.LBB110_37:                             ;   Parent Loop BB110_35 Depth=1
                                        ; =>  This Inner Loop Header: Depth=2
	s_delay_alu instid0(VALU_DEP_1) | instskip(NEXT) | instid1(VALU_DEP_1)
	v_add_nc_u32_e32 v6, v5, v7
	v_lshrrev_b32_e32 v8, 31, v6
	s_delay_alu instid0(VALU_DEP_1) | instskip(NEXT) | instid1(VALU_DEP_1)
	v_add_nc_u32_e32 v6, v6, v8
	v_ashrrev_i32_e32 v8, 1, v6
	s_delay_alu instid0(VALU_DEP_1) | instskip(NEXT) | instid1(VALU_DEP_1)
	v_ashrrev_i32_e32 v9, 31, v8
	v_lshlrev_b64_e32 v[9:10], 2, v[8:9]
	s_delay_alu instid0(VALU_DEP_1) | instskip(SKIP_1) | instid1(VALU_DEP_2)
	v_add_co_u32 v9, vcc_lo, s8, v9
	s_wait_alu 0xfffd
	v_add_co_ci_u32_e64 v10, null, s9, v10, vcc_lo
	global_load_b32 v6, v[9:10], off
	s_wait_loadcnt 0x0
	v_subrev_nc_u32_e32 v6, s24, v6
	s_delay_alu instid0(VALU_DEP_1) | instskip(SKIP_2) | instid1(VALU_DEP_1)
	v_cmp_lt_i32_e32 vcc_lo, v13, v6
	s_wait_alu 0xfffd
	v_cndmask_b32_e32 v5, v5, v8, vcc_lo
	v_dual_cndmask_b32 v7, v8, v7 :: v_dual_add_nc_u32 v6, -1, v5
	s_delay_alu instid0(VALU_DEP_1) | instskip(NEXT) | instid1(VALU_DEP_2)
	v_cmp_ge_i32_e32 vcc_lo, v7, v5
	v_cmp_eq_u32_e64 s2, v7, v6
	s_or_b32 s2, vcc_lo, s2
	s_wait_alu 0xfffe
	s_and_b32 s2, exec_lo, s2
	s_wait_alu 0xfffe
	s_or_b32 s19, s2, s19
	s_wait_alu 0xfffe
	s_and_not1_b32 exec_lo, exec_lo, s19
	s_cbranch_execnz .LBB110_37
; %bb.38:                               ;   in Loop: Header=BB110_35 Depth=1
	s_or_b32 exec_lo, exec_lo, s19
.LBB110_39:                             ;   in Loop: Header=BB110_35 Depth=1
	v_ashrrev_i32_e32 v6, 31, v5
	v_ashrrev_i32_e32 v14, 31, v13
	s_mov_b32 s2, exec_lo
	s_delay_alu instid0(VALU_DEP_2) | instskip(NEXT) | instid1(VALU_DEP_2)
	v_lshlrev_b64_e32 v[8:9], 2, v[5:6]
	v_lshlrev_b64_e32 v[10:11], 2, v[13:14]
	s_delay_alu instid0(VALU_DEP_2) | instskip(SKIP_1) | instid1(VALU_DEP_3)
	v_add_co_u32 v8, vcc_lo, s8, v8
	s_wait_alu 0xfffd
	v_add_co_ci_u32_e64 v9, null, s9, v9, vcc_lo
	global_load_b32 v6, v[8:9], off
	v_add_co_u32 v8, vcc_lo, s10, v10
	s_wait_alu 0xfffd
	v_add_co_ci_u32_e64 v9, null, s11, v11, vcc_lo
	global_load_b32 v8, v[8:9], off
	s_wait_loadcnt 0x1
	v_subrev_nc_u32_e32 v6, s24, v6
	s_delay_alu instid0(VALU_DEP_1) | instskip(SKIP_4) | instid1(VALU_DEP_1)
	v_cmp_lt_i32_e32 vcc_lo, v13, v6
	s_wait_loadcnt 0x0
	v_subrev_nc_u32_e32 v9, s24, v8
	s_wait_alu 0xfffd
	v_cndmask_b32_e32 v5, v5, v7, vcc_lo
	v_cmpx_ne_u32_e64 v9, v5
	s_cbranch_execz .LBB110_34
; %bb.40:                               ;   in Loop: Header=BB110_35 Depth=1
	v_lshlrev_b64_e32 v[6:7], 3, v[13:14]
	v_ashrrev_i32_e32 v10, 31, v9
	s_mov_b32 s19, 0
	s_delay_alu instid0(VALU_DEP_1) | instskip(NEXT) | instid1(VALU_DEP_3)
	v_lshlrev_b64_e32 v[9:10], 4, v[9:10]
	v_add_co_u32 v6, vcc_lo, s12, v6
	s_wait_alu 0xfffd
	v_add_co_ci_u32_e64 v7, null, s13, v7, vcc_lo
	global_load_b64 v[16:17], v[6:7], off
	v_ashrrev_i32_e32 v6, 31, v5
	s_delay_alu instid0(VALU_DEP_1) | instskip(NEXT) | instid1(VALU_DEP_1)
	v_lshlrev_b64_e32 v[5:6], 4, v[5:6]
	v_add_co_u32 v5, vcc_lo, s14, v5
	s_wait_alu 0xfffd
	s_delay_alu instid0(VALU_DEP_2)
	v_add_co_ci_u32_e64 v6, null, s15, v6, vcc_lo
	v_add_co_u32 v14, vcc_lo, s20, v9
	s_wait_alu 0xfffd
	v_add_co_ci_u32_e64 v15, null, s21, v10, vcc_lo
	global_load_b128 v[5:8], v[5:6], off
	global_load_b64 v[11:12], v[14:15], off
	s_wait_loadcnt 0x2
	v_cndmask_b32_e64 v9, v17, -v17, s25
	v_cvt_f64_f32_e32 v[18:19], v16
	s_delay_alu instid0(VALU_DEP_2) | instskip(NEXT) | instid1(VALU_DEP_1)
	v_cvt_f64_f32_e32 v[9:10], v9
	v_mul_f64_e32 v[16:17], v[1:2], v[9:10]
	v_mul_f64_e64 v[9:10], -v[3:4], v[9:10]
	s_delay_alu instid0(VALU_DEP_2) | instskip(NEXT) | instid1(VALU_DEP_2)
	v_fma_f64 v[16:17], v[3:4], v[18:19], v[16:17]
	v_fma_f64 v[18:19], v[1:2], v[18:19], v[9:10]
	s_wait_loadcnt 0x1
	s_delay_alu instid0(VALU_DEP_2) | instskip(NEXT) | instid1(VALU_DEP_1)
	v_mul_f64_e64 v[9:10], v[7:8], -v[16:17]
	v_fma_f64 v[20:21], v[18:19], v[5:6], v[9:10]
.LBB110_41:                             ;   Parent Loop BB110_35 Depth=1
                                        ; =>  This Inner Loop Header: Depth=2
	s_wait_loadcnt 0x0
	s_delay_alu instid0(VALU_DEP_1)
	v_add_f64_e32 v[9:10], v[11:12], v[20:21]
	global_atomic_cmpswap_b64 v[9:10], v[14:15], v[9:12], off th:TH_ATOMIC_RETURN scope:SCOPE_DEV
	s_wait_loadcnt 0x0
	v_cmp_eq_u64_e32 vcc_lo, v[9:10], v[11:12]
	v_dual_mov_b32 v12, v10 :: v_dual_mov_b32 v11, v9
	s_wait_alu 0xfffe
	s_or_b32 s19, vcc_lo, s19
	s_wait_alu 0xfffe
	s_and_not1_b32 exec_lo, exec_lo, s19
	s_cbranch_execnz .LBB110_41
; %bb.42:                               ;   in Loop: Header=BB110_35 Depth=1
	s_or_b32 exec_lo, exec_lo, s19
	global_load_b64 v[9:10], v[14:15], off offset:8
	v_mul_f64_e32 v[7:8], v[7:8], v[18:19]
	s_mov_b32 s19, 0
	s_delay_alu instid0(VALU_DEP_1)
	v_fma_f64 v[5:6], v[16:17], v[5:6], v[7:8]
.LBB110_43:                             ;   Parent Loop BB110_35 Depth=1
                                        ; =>  This Inner Loop Header: Depth=2
	s_wait_loadcnt 0x0
	s_delay_alu instid0(VALU_DEP_1)
	v_add_f64_e32 v[7:8], v[9:10], v[5:6]
	global_atomic_cmpswap_b64 v[7:8], v[14:15], v[7:10], off offset:8 th:TH_ATOMIC_RETURN scope:SCOPE_DEV
	s_wait_loadcnt 0x0
	v_cmp_eq_u64_e32 vcc_lo, v[7:8], v[9:10]
	v_dual_mov_b32 v10, v8 :: v_dual_mov_b32 v9, v7
	s_wait_alu 0xfffe
	s_or_b32 s19, vcc_lo, s19
	s_wait_alu 0xfffe
	s_and_not1_b32 exec_lo, exec_lo, s19
	s_cbranch_execnz .LBB110_43
	s_branch .LBB110_34
.LBB110_44:
	s_or_b32 exec_lo, exec_lo, s4
	s_mov_b32 s2, 0
.LBB110_45:
	s_wait_alu 0xfffe
	s_and_b32 vcc_lo, exec_lo, s2
	s_wait_alu 0xfffe
	s_cbranch_vccz .LBB110_203
; %bb.46:
	s_ashr_i32 s3, s22, 31
	s_mov_b32 s2, s22
	s_cvt_f32_u32 s4, s16
	s_wait_alu 0xfffe
	s_lshl_b64 s[2:3], s[2:3], 2
	s_mov_b32 s5, 0
	s_wait_alu 0xfffe
	s_add_nc_u64 s[2:3], s[8:9], s[2:3]
	v_rcp_iflag_f32_e32 v5, s4
	s_load_b32 s19, s[2:3], 0x0
	s_load_b32 s4, s[0:1], 0x74
	s_delay_alu instid0(TRANS32_DEP_1) | instskip(SKIP_1) | instid1(SALU_CYCLE_3)
	v_readfirstlane_b32 s0, v5
	s_mul_f32 s0, s0, 0x4f7ffffe
	s_cvt_u32_f32 s6, s0
	s_sub_co_i32 s0, 0, s16
	s_wait_kmcnt 0x0
	v_add_nc_u32_e32 v9, s19, v23
	s_wait_alu 0xfffe
	s_mul_i32 s0, s0, s6
	s_delay_alu instid0(SALU_CYCLE_1) | instskip(NEXT) | instid1(VALU_DEP_1)
	s_mul_hi_u32 s7, s6, s0
	v_add_nc_u32_e32 v20, 0x300, v9
	s_delay_alu instid0(VALU_DEP_1) | instskip(SKIP_1) | instid1(SALU_CYCLE_1)
	v_cmp_le_i32_e32 vcc_lo, s17, v20
	s_and_saveexec_b32 s0, vcc_lo
	s_xor_b32 s1, exec_lo, s0
	s_cbranch_execz .LBB110_51
; %bb.47:
	s_ashr_i32 s27, s23, 31
	s_mov_b32 s26, s23
	s_wait_alu 0xfffe
	s_lshl_b64 s[26:27], s[26:27], 2
	s_wait_alu 0xfffe
	s_add_nc_u64 s[26:27], s[8:9], s[26:27]
	s_load_b32 s0, s[26:27], 0x0
	s_mov_b32 s26, exec_lo
	s_wait_kmcnt 0x0
	s_sub_co_i32 s17, s0, s19
	s_wait_alu 0xfffe
	v_cmpx_gt_i32_e64 s17, v0
	s_cbranch_execz .LBB110_50
; %bb.48:
	v_dual_mov_b32 v5, v22 :: v_dual_mov_b32 v6, v0
	s_sub_co_i32 s27, s19, s24
	s_mov_b32 s28, 0
.LBB110_49:                             ; =>This Inner Loop Header: Depth=1
	s_wait_alu 0xfffe
	s_delay_alu instid0(VALU_DEP_1) | instskip(SKIP_1) | instid1(VALU_DEP_2)
	v_add_nc_u32_e32 v7, s27, v6
	v_add_nc_u32_e32 v6, 0x100, v6
	v_ashrrev_i32_e32 v8, 31, v7
	s_delay_alu instid0(VALU_DEP_1) | instskip(NEXT) | instid1(VALU_DEP_1)
	v_lshlrev_b64_e32 v[7:8], 3, v[7:8]
	v_add_co_u32 v7, s0, s12, v7
	s_wait_alu 0xf1ff
	s_delay_alu instid0(VALU_DEP_2)
	v_add_co_ci_u32_e64 v8, null, s13, v8, s0
	v_cmp_le_i32_e64 s0, s17, v6
	global_load_b64 v[7:8], v[7:8], off
	s_or_b32 s28, s0, s28
	s_wait_loadcnt 0x0
	v_cndmask_b32_e64 v8, v8, -v8, s25
	s_delay_alu instid0(VALU_DEP_1) | instskip(SKIP_1) | instid1(VALU_DEP_2)
	v_cvt_f64_f32_e32 v[10:11], v8
	v_cvt_f64_f32_e32 v[7:8], v7
	v_mul_f64_e64 v[12:13], -v[3:4], v[10:11]
	v_mul_f64_e32 v[14:15], v[1:2], v[10:11]
	s_delay_alu instid0(VALU_DEP_2) | instskip(NEXT) | instid1(VALU_DEP_2)
	v_fma_f64 v[10:11], v[1:2], v[7:8], v[12:13]
	v_fma_f64 v[12:13], v[3:4], v[7:8], v[14:15]
	ds_store_b128 v5, v[10:13]
	v_add_nc_u32_e32 v5, 0x1000, v5
	s_wait_alu 0xfffe
	s_and_not1_b32 exec_lo, exec_lo, s28
	s_cbranch_execnz .LBB110_49
.LBB110_50:
	s_or_b32 exec_lo, exec_lo, s26
                                        ; implicit-def: $vgpr3_vgpr4
.LBB110_51:
	s_or_saveexec_b32 s1, s1
	v_ashrrev_i32_e32 v10, 31, v9
	s_and_b32 s4, s4, 0xffff
	s_wait_alu 0xfffe
	s_add_co_i32 s6, s6, s7
	s_xor_b32 exec_lo, exec_lo, s1
	s_cbranch_execz .LBB110_53
; %bb.52:
	v_lshlrev_b64_e32 v[5:6], 3, v[9:10]
	s_delay_alu instid0(VALU_DEP_1) | instskip(SKIP_1) | instid1(VALU_DEP_2)
	v_add_co_u32 v5, s0, s12, v5
	s_wait_alu 0xf1ff
	v_add_co_ci_u32_e64 v6, null, s13, v6, s0
	s_clause 0x3
	global_load_b64 v[7:8], v[5:6], off
	global_load_b64 v[11:12], v[5:6], off offset:2048
	global_load_b64 v[13:14], v[5:6], off offset:4096
	;; [unrolled: 1-line block ×3, first 2 shown]
	s_wait_loadcnt 0x3
	v_cndmask_b32_e64 v8, v8, -v8, s25
	s_wait_loadcnt 0x2
	v_cndmask_b32_e64 v12, v12, -v12, s25
	;; [unrolled: 2-line block ×4, first 2 shown]
	v_cvt_f64_f32_e32 v[25:26], v11
	v_cvt_f64_f32_e32 v[14:15], v8
	v_cvt_f64_f32_e32 v[16:17], v12
	v_cvt_f64_f32_e32 v[18:19], v18
	v_cvt_f64_f32_e32 v[23:24], v6
	v_cvt_f64_f32_e32 v[7:8], v7
	v_cvt_f64_f32_e32 v[29:30], v5
	v_cvt_f64_f32_e32 v[27:28], v13
	v_mul_f64_e64 v[5:6], -v[3:4], v[14:15]
	v_mul_f64_e32 v[11:12], v[1:2], v[14:15]
	v_mul_f64_e64 v[13:14], -v[3:4], v[16:17]
	v_mul_f64_e32 v[15:16], v[1:2], v[16:17]
	v_mul_f64_e64 v[31:32], -v[3:4], v[18:19]
	v_mul_f64_e32 v[17:18], v[1:2], v[18:19]
	v_mul_f64_e64 v[33:34], -v[3:4], v[23:24]
	v_mul_f64_e32 v[23:24], v[1:2], v[23:24]
	v_fma_f64 v[5:6], v[1:2], v[7:8], v[5:6]
	v_fma_f64 v[7:8], v[3:4], v[7:8], v[11:12]
	;; [unrolled: 1-line block ×8, first 2 shown]
	ds_store_b128 v22, v[5:8]
	ds_store_b128 v22, v[11:14] offset:4096
	ds_store_b128 v22, v[15:18] offset:8192
	;; [unrolled: 1-line block ×3, first 2 shown]
.LBB110_53:
	s_or_b32 exec_lo, exec_lo, s1
	s_mov_b32 s7, s5
	s_mov_b32 s1, exec_lo
	v_cmpx_gt_i32_e64 s18, v0
	s_cbranch_execz .LBB110_56
; %bb.54:
	s_mov_b32 s12, 0
	v_lshl_add_u32 v5, v0, 4, 0x4000
	s_wait_alu 0xfffe
	s_mov_b32 s13, s12
	s_mov_b32 s26, s12
	;; [unrolled: 1-line block ×3, first 2 shown]
	s_wait_alu 0xfffe
	v_dual_mov_b32 v1, s12 :: v_dual_mov_b32 v2, s13
	v_dual_mov_b32 v3, s26 :: v_dual_mov_b32 v4, s27
	v_mov_b32_e32 v6, v0
.LBB110_55:                             ; =>This Inner Loop Header: Depth=1
	s_delay_alu instid0(VALU_DEP_1)
	v_add_nc_u32_e32 v6, 0x100, v6
	ds_store_2addr_b64 v5, v[1:2], v[3:4] offset1:1
	v_add_nc_u32_e32 v5, 0x1000, v5
	v_cmp_le_i32_e64 s0, s18, v6
	s_or_b32 s12, s0, s12
	s_wait_alu 0xfffe
	s_and_not1_b32 exec_lo, exec_lo, s12
	s_cbranch_execnz .LBB110_55
.LBB110_56:
	s_wait_alu 0xfffe
	s_or_b32 exec_lo, exec_lo, s1
	s_mul_u64 s[0:1], s[4:5], s[6:7]
	s_sub_co_i32 s0, s23, s18
	s_cmp_ge_i32 s23, s18
	s_wait_loadcnt_dscnt 0x0
	s_wait_alu 0xfffe
	s_cselect_b32 s5, s0, 0
	s_barrier_signal -1
	s_barrier_wait -1
	global_inv scope:SCOPE_SE
	s_and_saveexec_b32 s0, vcc_lo
	s_wait_alu 0xfffe
	s_xor_b32 s6, exec_lo, s0
	s_cbranch_execz .LBB110_81
; %bb.57:
	s_ashr_i32 s13, s23, 31
	s_mov_b32 s12, s23
	s_wait_alu 0xfffe
	s_lshl_b64 s[12:13], s[12:13], 2
	s_wait_alu 0xfffe
	s_add_nc_u64 s[12:13], s[8:9], s[12:13]
	s_load_b32 s0, s[12:13], 0x0
	s_mov_b32 s12, exec_lo
	s_wait_kmcnt 0x0
	s_sub_co_i32 s7, s0, s19
	s_wait_alu 0xfffe
	v_cmpx_gt_i32_e64 s7, v0
	s_cbranch_execz .LBB110_80
; %bb.58:
	s_add_co_i32 s17, s23, -2
	s_add_co_i32 s13, s23, -1
	s_wait_alu 0xfffe
	s_cmp_lg_u32 s22, s17
	s_mov_b32 s26, 0
	s_cselect_b32 s17, -1, 0
	s_sub_co_i32 s25, s0, s24
	s_mov_b32 s27, 0
	s_branch .LBB110_61
.LBB110_59:                             ;   in Loop: Header=BB110_61 Depth=1
	s_wait_alu 0xfffe
	s_or_b32 exec_lo, exec_lo, s0
	v_xor_b32_e32 v6, 0x80000000, v4
	v_mov_b32_e32 v5, v3
.LBB110_60:                             ;   in Loop: Header=BB110_61 Depth=1
	s_wait_alu 0xfffe
	s_or_b32 exec_lo, exec_lo, s28
	v_ashrrev_i32_e32 v11, 31, v10
	s_addk_co_i32 s27, 0x100
	s_delay_alu instid0(VALU_DEP_1) | instskip(NEXT) | instid1(VALU_DEP_1)
	v_lshlrev_b64_e32 v[7:8], 4, v[10:11]
	v_add_co_u32 v7, vcc_lo, s14, v7
	s_wait_alu 0xfffd
	s_delay_alu instid0(VALU_DEP_2) | instskip(SKIP_4) | instid1(VALU_DEP_2)
	v_add_co_ci_u32_e64 v8, null, s15, v8, vcc_lo
	global_load_b128 v[10:13], v[7:8], off
	s_wait_loadcnt 0x0
	v_mul_f64_e32 v[5:6], v[12:13], v[5:6]
	v_mul_f64_e32 v[7:8], v[12:13], v[1:2]
	v_fma_f64 v[1:2], v[1:2], v[10:11], v[5:6]
	s_delay_alu instid0(VALU_DEP_2) | instskip(SKIP_2) | instid1(VALU_DEP_1)
	v_fma_f64 v[3:4], v[3:4], v[10:11], v[7:8]
	s_wait_alu 0xfffe
	v_add_nc_u32_e32 v5, s27, v0
	v_cmp_le_i32_e32 vcc_lo, s7, v5
	s_or_b32 s26, vcc_lo, s26
	ds_store_b128 v18, v[1:4]
	s_wait_alu 0xfffe
	s_and_not1_b32 exec_lo, exec_lo, s26
	s_cbranch_execz .LBB110_80
.LBB110_61:                             ; =>This Loop Header: Depth=1
                                        ;     Child Loop BB110_63 Depth 2
                                        ;     Child Loop BB110_70 Depth 2
	;; [unrolled: 1-line block ×5, first 2 shown]
	s_wait_alu 0xfffe
	v_add_nc_u32_e32 v1, s27, v9
	v_mov_b32_e32 v5, s22
	v_mov_b32_e32 v3, s13
	s_and_not1_b32 vcc_lo, exec_lo, s17
	s_wait_alu 0xfffe
	s_cbranch_vccnz .LBB110_65
; %bb.62:                               ;   in Loop: Header=BB110_61 Depth=1
	v_mov_b32_e32 v5, s22
	v_mov_b32_e32 v3, s13
	s_mov_b32 s28, 0
.LBB110_63:                             ;   Parent Loop BB110_61 Depth=1
                                        ; =>  This Inner Loop Header: Depth=2
	s_delay_alu instid0(VALU_DEP_1) | instskip(NEXT) | instid1(VALU_DEP_1)
	v_add_nc_u32_e32 v2, v3, v5
	v_lshrrev_b32_e32 v4, 31, v2
	s_delay_alu instid0(VALU_DEP_1) | instskip(NEXT) | instid1(VALU_DEP_1)
	v_add_nc_u32_e32 v2, v2, v4
	v_ashrrev_i32_e32 v6, 1, v2
	s_delay_alu instid0(VALU_DEP_1) | instskip(NEXT) | instid1(VALU_DEP_1)
	v_ashrrev_i32_e32 v7, 31, v6
	v_lshlrev_b64_e32 v[7:8], 2, v[6:7]
	s_delay_alu instid0(VALU_DEP_1) | instskip(SKIP_1) | instid1(VALU_DEP_2)
	v_add_co_u32 v7, vcc_lo, s8, v7
	s_wait_alu 0xfffd
	v_add_co_ci_u32_e64 v8, null, s9, v8, vcc_lo
	global_load_b32 v2, v[7:8], off
	s_wait_loadcnt 0x0
	v_subrev_nc_u32_e32 v2, s24, v2
	s_delay_alu instid0(VALU_DEP_1) | instskip(SKIP_2) | instid1(VALU_DEP_1)
	v_cmp_lt_i32_e32 vcc_lo, v1, v2
	s_wait_alu 0xfffd
	v_cndmask_b32_e32 v3, v3, v6, vcc_lo
	v_dual_cndmask_b32 v5, v6, v5 :: v_dual_add_nc_u32 v2, -1, v3
	s_delay_alu instid0(VALU_DEP_1) | instskip(NEXT) | instid1(VALU_DEP_2)
	v_cmp_ge_i32_e32 vcc_lo, v5, v3
	v_cmp_eq_u32_e64 s0, v5, v2
	s_or_b32 s0, vcc_lo, s0
	s_wait_alu 0xfffe
	s_and_b32 s0, exec_lo, s0
	s_wait_alu 0xfffe
	s_or_b32 s28, s0, s28
	s_wait_alu 0xfffe
	s_and_not1_b32 exec_lo, exec_lo, s28
	s_cbranch_execnz .LBB110_63
; %bb.64:                               ;   in Loop: Header=BB110_61 Depth=1
	s_or_b32 exec_lo, exec_lo, s28
.LBB110_65:                             ;   in Loop: Header=BB110_61 Depth=1
	s_delay_alu instid0(VALU_DEP_1) | instskip(SKIP_3) | instid1(VALU_DEP_4)
	v_ashrrev_i32_e32 v4, 31, v3
	v_ashrrev_i32_e32 v2, 31, v1
	v_cmp_le_i32_e64 s0, s25, v1
	v_lshl_add_u32 v18, s27, 4, v22
	v_lshlrev_b64_e32 v[6:7], 2, v[3:4]
	s_delay_alu instid0(VALU_DEP_4) | instskip(NEXT) | instid1(VALU_DEP_2)
	v_lshlrev_b64_e32 v[10:11], 2, v[1:2]
	v_add_co_u32 v6, vcc_lo, s8, v6
	s_wait_alu 0xfffd
	s_delay_alu instid0(VALU_DEP_3) | instskip(NEXT) | instid1(VALU_DEP_3)
	v_add_co_ci_u32_e64 v7, null, s9, v7, vcc_lo
	v_add_co_u32 v10, vcc_lo, s10, v10
	s_wait_alu 0xfffd
	v_add_co_ci_u32_e64 v11, null, s11, v11, vcc_lo
	global_load_b32 v2, v[6:7], off
	global_load_b32 v4, v[10:11], off
	s_wait_loadcnt 0x1
	v_subrev_nc_u32_e32 v2, s24, v2
	s_wait_loadcnt 0x0
	v_subrev_nc_u32_e32 v10, s24, v4
	s_delay_alu instid0(VALU_DEP_2) | instskip(SKIP_2) | instid1(VALU_DEP_1)
	v_cmp_lt_i32_e32 vcc_lo, v1, v2
	s_wait_alu 0xfffd
	v_cndmask_b32_e32 v7, v3, v5, vcc_lo
                                        ; implicit-def: $vgpr1_vgpr2
                                        ; implicit-def: $vgpr5_vgpr6
	v_cmp_eq_u32_e32 vcc_lo, v10, v7
	s_or_b32 s0, vcc_lo, s0
	s_wait_alu 0xfffe
	s_and_saveexec_b32 s28, s0
	s_wait_alu 0xfffe
	s_xor_b32 s0, exec_lo, s28
	s_cbranch_execz .LBB110_67
; %bb.66:                               ;   in Loop: Header=BB110_61 Depth=1
	ds_load_b128 v[1:4], v18
                                        ; implicit-def: $vgpr7
	s_wait_dscnt 0x0
	v_xor_b32_e32 v6, 0x80000000, v4
	v_mov_b32_e32 v5, v3
.LBB110_67:                             ;   in Loop: Header=BB110_61 Depth=1
	s_wait_alu 0xfffe
	s_and_not1_saveexec_b32 s28, s0
	s_cbranch_execz .LBB110_60
; %bb.68:                               ;   in Loop: Header=BB110_61 Depth=1
	v_ashrrev_i32_e32 v8, 31, v7
	v_cmp_le_i32_e64 s0, s23, v10
	s_delay_alu instid0(VALU_DEP_2) | instskip(NEXT) | instid1(VALU_DEP_1)
	v_lshlrev_b64_e32 v[1:2], 4, v[7:8]
	v_add_co_u32 v1, vcc_lo, s14, v1
	s_wait_alu 0xfffd
	s_delay_alu instid0(VALU_DEP_2)
	v_add_co_ci_u32_e64 v2, null, s15, v2, vcc_lo
	v_cmp_gt_i32_e32 vcc_lo, s5, v10
	global_load_b128 v[5:8], v[1:2], off
	ds_load_b128 v[1:4], v18
	s_or_b32 s0, vcc_lo, s0
	s_wait_loadcnt_dscnt 0x0
	v_mul_f64_e64 v[11:12], v[7:8], -v[3:4]
	v_mul_f64_e32 v[7:8], v[7:8], v[1:2]
	s_delay_alu instid0(VALU_DEP_2) | instskip(NEXT) | instid1(VALU_DEP_2)
	v_fma_f64 v[14:15], v[1:2], v[5:6], v[11:12]
	v_fma_f64 v[12:13], v[3:4], v[5:6], v[7:8]
	s_wait_alu 0xfffe
	s_and_saveexec_b32 s29, s0
	s_wait_alu 0xfffe
	s_xor_b32 s0, exec_lo, s29
	s_cbranch_execz .LBB110_74
; %bb.69:                               ;   in Loop: Header=BB110_61 Depth=1
	v_ashrrev_i32_e32 v11, 31, v10
	s_mov_b32 s29, 0
	s_delay_alu instid0(VALU_DEP_1) | instskip(NEXT) | instid1(VALU_DEP_1)
	v_lshlrev_b64_e32 v[5:6], 4, v[10:11]
	v_add_co_u32 v16, vcc_lo, s20, v5
	s_wait_alu 0xfffd
	s_delay_alu instid0(VALU_DEP_2)
	v_add_co_ci_u32_e64 v17, null, s21, v6, vcc_lo
	global_load_b64 v[7:8], v[16:17], off
.LBB110_70:                             ;   Parent Loop BB110_61 Depth=1
                                        ; =>  This Inner Loop Header: Depth=2
	s_wait_loadcnt 0x0
	v_add_f64_e32 v[5:6], v[7:8], v[14:15]
	global_atomic_cmpswap_b64 v[5:6], v[16:17], v[5:8], off th:TH_ATOMIC_RETURN scope:SCOPE_DEV
	s_wait_loadcnt 0x0
	v_cmp_eq_u64_e32 vcc_lo, v[5:6], v[7:8]
	v_dual_mov_b32 v8, v6 :: v_dual_mov_b32 v7, v5
	s_wait_alu 0xfffe
	s_or_b32 s29, vcc_lo, s29
	s_wait_alu 0xfffe
	s_and_not1_b32 exec_lo, exec_lo, s29
	s_cbranch_execnz .LBB110_70
; %bb.71:                               ;   in Loop: Header=BB110_61 Depth=1
	s_or_b32 exec_lo, exec_lo, s29
	global_load_b64 v[7:8], v[16:17], off offset:8
	s_mov_b32 s29, 0
.LBB110_72:                             ;   Parent Loop BB110_61 Depth=1
                                        ; =>  This Inner Loop Header: Depth=2
	s_wait_loadcnt 0x0
	v_add_f64_e32 v[5:6], v[7:8], v[12:13]
	global_atomic_cmpswap_b64 v[5:6], v[16:17], v[5:8], off offset:8 th:TH_ATOMIC_RETURN scope:SCOPE_DEV
	s_wait_loadcnt 0x0
	v_cmp_eq_u64_e32 vcc_lo, v[5:6], v[7:8]
	v_dual_mov_b32 v8, v6 :: v_dual_mov_b32 v7, v5
	s_wait_alu 0xfffe
	s_or_b32 s29, vcc_lo, s29
	s_wait_alu 0xfffe
	s_and_not1_b32 exec_lo, exec_lo, s29
	s_cbranch_execnz .LBB110_72
; %bb.73:                               ;   in Loop: Header=BB110_61 Depth=1
	s_or_b32 exec_lo, exec_lo, s29
                                        ; implicit-def: $vgpr12_vgpr13
                                        ; implicit-def: $vgpr14_vgpr15
.LBB110_74:                             ;   in Loop: Header=BB110_61 Depth=1
	s_wait_alu 0xfffe
	s_and_not1_saveexec_b32 s0, s0
	s_cbranch_execz .LBB110_59
; %bb.75:                               ;   in Loop: Header=BB110_61 Depth=1
	v_subrev_nc_u32_e32 v5, s5, v10
	s_mov_b32 s29, 0
	s_delay_alu instid0(VALU_DEP_1)
	v_lshl_add_u32 v7, v5, 4, 0x4000
	ds_load_b64 v[5:6], v7
.LBB110_76:                             ;   Parent Loop BB110_61 Depth=1
                                        ; =>  This Inner Loop Header: Depth=2
	s_wait_dscnt 0x0
	v_add_f64_e32 v[16:17], v[5:6], v[14:15]
	ds_cmpstore_rtn_b64 v[16:17], v7, v[16:17], v[5:6]
	s_wait_dscnt 0x0
	v_cmp_eq_u64_e32 vcc_lo, v[16:17], v[5:6]
	v_dual_mov_b32 v5, v16 :: v_dual_mov_b32 v6, v17
	s_wait_alu 0xfffe
	s_or_b32 s29, vcc_lo, s29
	s_wait_alu 0xfffe
	s_and_not1_b32 exec_lo, exec_lo, s29
	s_cbranch_execnz .LBB110_76
; %bb.77:                               ;   in Loop: Header=BB110_61 Depth=1
	s_or_b32 exec_lo, exec_lo, s29
	ds_load_b64 v[5:6], v7 offset:8
	s_mov_b32 s29, 0
.LBB110_78:                             ;   Parent Loop BB110_61 Depth=1
                                        ; =>  This Inner Loop Header: Depth=2
	s_wait_dscnt 0x0
	v_add_f64_e32 v[14:15], v[5:6], v[12:13]
	ds_cmpstore_rtn_b64 v[14:15], v7, v[14:15], v[5:6] offset:8
	s_wait_dscnt 0x0
	v_cmp_eq_u64_e32 vcc_lo, v[14:15], v[5:6]
	v_dual_mov_b32 v5, v14 :: v_dual_mov_b32 v6, v15
	s_wait_alu 0xfffe
	s_or_b32 s29, vcc_lo, s29
	s_wait_alu 0xfffe
	s_and_not1_b32 exec_lo, exec_lo, s29
	s_cbranch_execnz .LBB110_78
; %bb.79:                               ;   in Loop: Header=BB110_61 Depth=1
	s_or_b32 exec_lo, exec_lo, s29
	s_branch .LBB110_59
.LBB110_80:
	s_or_b32 exec_lo, exec_lo, s12
                                        ; implicit-def: $vgpr20
                                        ; implicit-def: $vgpr9
.LBB110_81:
	s_wait_alu 0xfffe
	s_and_not1_saveexec_b32 s12, s6
	s_cbranch_execz .LBB110_167
; %bb.82:
	s_add_co_i32 s13, s23, -1
	s_add_co_i32 s0, s23, -2
	v_mov_b32_e32 v3, s22
	s_wait_alu 0xfffe
	v_mov_b32_e32 v1, s13
	s_cmp_lg_u32 s22, s0
	s_cselect_b32 s17, -1, 0
	s_cmp_eq_u32 s22, s0
	s_cbranch_scc1 .LBB110_86
; %bb.83:
	v_mov_b32_e32 v3, s22
	v_mov_b32_e32 v1, s13
	s_mov_b32 s6, 0
.LBB110_84:                             ; =>This Inner Loop Header: Depth=1
	s_delay_alu instid0(VALU_DEP_1) | instskip(NEXT) | instid1(VALU_DEP_1)
	v_add_nc_u32_e32 v2, v1, v3
	v_lshrrev_b32_e32 v4, 31, v2
	s_delay_alu instid0(VALU_DEP_1) | instskip(NEXT) | instid1(VALU_DEP_1)
	v_add_nc_u32_e32 v2, v2, v4
	v_ashrrev_i32_e32 v4, 1, v2
	s_delay_alu instid0(VALU_DEP_1) | instskip(NEXT) | instid1(VALU_DEP_1)
	v_ashrrev_i32_e32 v5, 31, v4
	v_lshlrev_b64_e32 v[5:6], 2, v[4:5]
	s_delay_alu instid0(VALU_DEP_1) | instskip(SKIP_1) | instid1(VALU_DEP_2)
	v_add_co_u32 v5, vcc_lo, s8, v5
	s_wait_alu 0xfffd
	v_add_co_ci_u32_e64 v6, null, s9, v6, vcc_lo
	global_load_b32 v2, v[5:6], off
	s_wait_loadcnt 0x0
	v_subrev_nc_u32_e32 v2, s24, v2
	s_delay_alu instid0(VALU_DEP_1) | instskip(SKIP_2) | instid1(VALU_DEP_1)
	v_cmp_lt_i32_e32 vcc_lo, v9, v2
	s_wait_alu 0xfffd
	v_cndmask_b32_e32 v1, v1, v4, vcc_lo
	v_dual_cndmask_b32 v3, v4, v3 :: v_dual_add_nc_u32 v2, -1, v1
	s_delay_alu instid0(VALU_DEP_1) | instskip(NEXT) | instid1(VALU_DEP_2)
	v_cmp_ge_i32_e32 vcc_lo, v3, v1
	v_cmp_eq_u32_e64 s0, v3, v2
	s_or_b32 s0, vcc_lo, s0
	s_wait_alu 0xfffe
	s_and_b32 s0, exec_lo, s0
	s_wait_alu 0xfffe
	s_or_b32 s6, s0, s6
	s_wait_alu 0xfffe
	s_and_not1_b32 exec_lo, exec_lo, s6
	s_cbranch_execnz .LBB110_84
; %bb.85:
	s_or_b32 exec_lo, exec_lo, s6
.LBB110_86:
	v_ashrrev_i32_e32 v2, 31, v1
	v_lshlrev_b64_e32 v[6:7], 2, v[9:10]
	s_ashr_i32 s7, s23, 31
	s_mov_b32 s6, s23
	s_mov_b32 s0, exec_lo
	v_lshlrev_b64_e32 v[4:5], 2, v[1:2]
	s_wait_alu 0xfffe
	s_lshl_b64 s[6:7], s[6:7], 2
	s_wait_alu 0xfffe
	s_add_nc_u64 s[6:7], s[8:9], s[6:7]
	s_delay_alu instid0(VALU_DEP_1)
	v_add_co_u32 v4, vcc_lo, s8, v4
	s_wait_alu 0xfffd
	v_add_co_ci_u32_e64 v5, null, s9, v5, vcc_lo
	v_add_co_u32 v10, vcc_lo, s10, v6
	s_wait_alu 0xfffd
	v_add_co_ci_u32_e64 v11, null, s11, v7, vcc_lo
	global_load_b32 v2, v[4:5], off
	global_load_b32 v4, v[10:11], off
	s_wait_loadcnt 0x1
	v_subrev_nc_u32_e32 v2, s24, v2
	s_wait_loadcnt 0x0
	v_subrev_nc_u32_e32 v12, s24, v4
	s_delay_alu instid0(VALU_DEP_2) | instskip(SKIP_2) | instid1(VALU_DEP_1)
	v_cmp_lt_i32_e32 vcc_lo, v9, v2
	s_wait_alu 0xfffd
	v_cndmask_b32_e32 v5, v1, v3, vcc_lo
                                        ; implicit-def: $vgpr1_vgpr2
	v_cmpx_ne_u32_e64 v12, v5
	s_xor_b32 s10, exec_lo, s0
	s_cbranch_execz .LBB110_101
; %bb.87:
	s_load_b32 s0, s[6:7], 0x0
	ds_load_b128 v[1:4], v22
	s_mov_b32 s11, exec_lo
	s_wait_kmcnt 0x0
	s_sub_co_i32 s0, s0, s24
	s_wait_alu 0xfffe
	v_cmpx_gt_i32_e64 s0, v9
	s_cbranch_execz .LBB110_100
; %bb.88:
	v_ashrrev_i32_e32 v6, 31, v5
	v_cmp_le_i32_e64 s0, s23, v12
	s_delay_alu instid0(VALU_DEP_2) | instskip(NEXT) | instid1(VALU_DEP_1)
	v_lshlrev_b64_e32 v[5:6], 4, v[5:6]
	v_add_co_u32 v5, vcc_lo, s14, v5
	s_wait_alu 0xfffd
	s_delay_alu instid0(VALU_DEP_2)
	v_add_co_ci_u32_e64 v6, null, s15, v6, vcc_lo
	v_cmp_gt_i32_e32 vcc_lo, s5, v12
	global_load_b128 v[5:8], v[5:6], off
	s_or_b32 s0, vcc_lo, s0
	s_wait_loadcnt_dscnt 0x0
	v_mul_f64_e64 v[13:14], v[7:8], -v[3:4]
	v_mul_f64_e32 v[7:8], v[7:8], v[1:2]
	s_delay_alu instid0(VALU_DEP_2) | instskip(NEXT) | instid1(VALU_DEP_2)
	v_fma_f64 v[16:17], v[1:2], v[5:6], v[13:14]
	v_fma_f64 v[14:15], v[3:4], v[5:6], v[7:8]
	s_wait_alu 0xfffe
	s_and_saveexec_b32 s25, s0
	s_wait_alu 0xfffe
	s_xor_b32 s0, exec_lo, s25
	s_cbranch_execz .LBB110_94
; %bb.89:
	v_ashrrev_i32_e32 v13, 31, v12
	s_mov_b32 s25, 0
	s_delay_alu instid0(VALU_DEP_1) | instskip(NEXT) | instid1(VALU_DEP_1)
	v_lshlrev_b64_e32 v[5:6], 4, v[12:13]
	v_add_co_u32 v18, vcc_lo, s20, v5
	s_wait_alu 0xfffd
	s_delay_alu instid0(VALU_DEP_2)
	v_add_co_ci_u32_e64 v19, null, s21, v6, vcc_lo
	global_load_b64 v[7:8], v[18:19], off
.LBB110_90:                             ; =>This Inner Loop Header: Depth=1
	s_wait_loadcnt 0x0
	v_add_f64_e32 v[5:6], v[7:8], v[16:17]
	global_atomic_cmpswap_b64 v[5:6], v[18:19], v[5:8], off th:TH_ATOMIC_RETURN scope:SCOPE_DEV
	s_wait_loadcnt 0x0
	v_cmp_eq_u64_e32 vcc_lo, v[5:6], v[7:8]
	v_dual_mov_b32 v8, v6 :: v_dual_mov_b32 v7, v5
	s_wait_alu 0xfffe
	s_or_b32 s25, vcc_lo, s25
	s_wait_alu 0xfffe
	s_and_not1_b32 exec_lo, exec_lo, s25
	s_cbranch_execnz .LBB110_90
; %bb.91:
	s_or_b32 exec_lo, exec_lo, s25
	global_load_b64 v[7:8], v[18:19], off offset:8
	s_mov_b32 s25, 0
.LBB110_92:                             ; =>This Inner Loop Header: Depth=1
	s_wait_loadcnt 0x0
	v_add_f64_e32 v[5:6], v[7:8], v[14:15]
	global_atomic_cmpswap_b64 v[5:6], v[18:19], v[5:8], off offset:8 th:TH_ATOMIC_RETURN scope:SCOPE_DEV
	s_wait_loadcnt 0x0
	v_cmp_eq_u64_e32 vcc_lo, v[5:6], v[7:8]
	v_dual_mov_b32 v8, v6 :: v_dual_mov_b32 v7, v5
	s_wait_alu 0xfffe
	s_or_b32 s25, vcc_lo, s25
	s_wait_alu 0xfffe
	s_and_not1_b32 exec_lo, exec_lo, s25
	s_cbranch_execnz .LBB110_92
; %bb.93:
	s_or_b32 exec_lo, exec_lo, s25
                                        ; implicit-def: $vgpr14_vgpr15
                                        ; implicit-def: $vgpr16_vgpr17
.LBB110_94:
	s_wait_alu 0xfffe
	s_and_not1_saveexec_b32 s0, s0
	s_cbranch_execz .LBB110_100
; %bb.95:
	v_subrev_nc_u32_e32 v5, s5, v12
	s_mov_b32 s0, 0
	s_delay_alu instid0(VALU_DEP_1)
	v_lshl_add_u32 v7, v5, 4, 0x4000
	ds_load_b64 v[5:6], v7
.LBB110_96:                             ; =>This Inner Loop Header: Depth=1
	s_wait_dscnt 0x0
	v_add_f64_e32 v[18:19], v[5:6], v[16:17]
	ds_cmpstore_rtn_b64 v[18:19], v7, v[18:19], v[5:6]
	s_wait_dscnt 0x0
	v_cmp_eq_u64_e32 vcc_lo, v[18:19], v[5:6]
	v_dual_mov_b32 v5, v18 :: v_dual_mov_b32 v6, v19
	s_wait_alu 0xfffe
	s_or_b32 s0, vcc_lo, s0
	s_wait_alu 0xfffe
	s_and_not1_b32 exec_lo, exec_lo, s0
	s_cbranch_execnz .LBB110_96
; %bb.97:
	s_or_b32 exec_lo, exec_lo, s0
	ds_load_b64 v[5:6], v7 offset:8
	s_mov_b32 s0, 0
.LBB110_98:                             ; =>This Inner Loop Header: Depth=1
	s_wait_dscnt 0x0
	v_add_f64_e32 v[16:17], v[5:6], v[14:15]
	ds_cmpstore_rtn_b64 v[16:17], v7, v[16:17], v[5:6] offset:8
	s_wait_dscnt 0x0
	v_cmp_eq_u64_e32 vcc_lo, v[16:17], v[5:6]
	v_dual_mov_b32 v5, v16 :: v_dual_mov_b32 v6, v17
	s_wait_alu 0xfffe
	s_or_b32 s0, vcc_lo, s0
	s_wait_alu 0xfffe
	s_and_not1_b32 exec_lo, exec_lo, s0
	s_cbranch_execnz .LBB110_98
; %bb.99:
	s_or_b32 exec_lo, exec_lo, s0
.LBB110_100:
	s_delay_alu instid0(SALU_CYCLE_1)
	s_or_b32 exec_lo, exec_lo, s11
.LBB110_101:
	s_wait_alu 0xfffe
	s_and_not1_saveexec_b32 s0, s10
	s_cbranch_execz .LBB110_103
; %bb.102:
	s_wait_dscnt 0x0
	ds_load_b128 v[1:4], v22
.LBB110_103:
	s_wait_alu 0xfffe
	s_or_b32 exec_lo, exec_lo, s0
	v_ashrrev_i32_e32 v13, 31, v12
	v_cndmask_b32_e64 v21, 0, 1, s17
	s_delay_alu instid0(VALU_DEP_2) | instskip(NEXT) | instid1(VALU_DEP_1)
	v_lshlrev_b64_e32 v[5:6], 4, v[12:13]
	v_add_co_u32 v5, vcc_lo, s14, v5
	s_wait_alu 0xfffd
	s_delay_alu instid0(VALU_DEP_2)
	v_add_co_ci_u32_e64 v6, null, s15, v6, vcc_lo
	s_and_not1_b32 vcc_lo, exec_lo, s17
	global_load_b128 v[5:8], v[5:6], off
	s_wait_loadcnt_dscnt 0x0
	v_mul_f64_e64 v[12:13], v[7:8], -v[3:4]
	v_mul_f64_e32 v[7:8], v[7:8], v[1:2]
	s_delay_alu instid0(VALU_DEP_2) | instskip(NEXT) | instid1(VALU_DEP_2)
	v_fma_f64 v[12:13], v[1:2], v[5:6], v[12:13]
	v_fma_f64 v[14:15], v[3:4], v[5:6], v[7:8]
	v_dual_mov_b32 v3, s22 :: v_dual_add_nc_u32 v6, 0x100, v9
	v_mov_b32_e32 v1, s13
	ds_store_b128 v22, v[12:15]
	s_wait_alu 0xfffe
	s_cbranch_vccnz .LBB110_107
; %bb.104:
	v_mov_b32_e32 v3, s22
	v_mov_b32_e32 v1, s13
	s_mov_b32 s10, 0
.LBB110_105:                            ; =>This Inner Loop Header: Depth=1
	s_delay_alu instid0(VALU_DEP_1) | instskip(NEXT) | instid1(VALU_DEP_1)
	v_add_nc_u32_e32 v2, v1, v3
	v_lshrrev_b32_e32 v4, 31, v2
	s_delay_alu instid0(VALU_DEP_1) | instskip(NEXT) | instid1(VALU_DEP_1)
	v_add_nc_u32_e32 v2, v2, v4
	v_ashrrev_i32_e32 v4, 1, v2
	s_delay_alu instid0(VALU_DEP_1) | instskip(NEXT) | instid1(VALU_DEP_1)
	v_ashrrev_i32_e32 v5, 31, v4
	v_lshlrev_b64_e32 v[7:8], 2, v[4:5]
	s_delay_alu instid0(VALU_DEP_1) | instskip(SKIP_1) | instid1(VALU_DEP_2)
	v_add_co_u32 v7, vcc_lo, s8, v7
	s_wait_alu 0xfffd
	v_add_co_ci_u32_e64 v8, null, s9, v8, vcc_lo
	global_load_b32 v2, v[7:8], off
	s_wait_loadcnt 0x0
	v_subrev_nc_u32_e32 v2, s24, v2
	s_delay_alu instid0(VALU_DEP_1) | instskip(SKIP_2) | instid1(VALU_DEP_1)
	v_cmp_lt_i32_e32 vcc_lo, v6, v2
	s_wait_alu 0xfffd
	v_cndmask_b32_e32 v1, v1, v4, vcc_lo
	v_dual_cndmask_b32 v3, v4, v3 :: v_dual_add_nc_u32 v2, -1, v1
	s_delay_alu instid0(VALU_DEP_1) | instskip(NEXT) | instid1(VALU_DEP_2)
	v_cmp_ge_i32_e32 vcc_lo, v3, v1
	v_cmp_eq_u32_e64 s0, v3, v2
	s_or_b32 s0, vcc_lo, s0
	s_wait_alu 0xfffe
	s_and_b32 s0, exec_lo, s0
	s_wait_alu 0xfffe
	s_or_b32 s10, s0, s10
	s_wait_alu 0xfffe
	s_and_not1_b32 exec_lo, exec_lo, s10
	s_cbranch_execnz .LBB110_105
; %bb.106:
	s_or_b32 exec_lo, exec_lo, s10
.LBB110_107:
	v_ashrrev_i32_e32 v2, 31, v1
	s_mov_b32 s0, exec_lo
	s_delay_alu instid0(VALU_DEP_1) | instskip(NEXT) | instid1(VALU_DEP_1)
	v_lshlrev_b64_e32 v[4:5], 2, v[1:2]
	v_add_co_u32 v4, vcc_lo, s8, v4
	s_wait_alu 0xfffd
	s_delay_alu instid0(VALU_DEP_2)
	v_add_co_ci_u32_e64 v5, null, s9, v5, vcc_lo
	global_load_b32 v2, v[4:5], off
	global_load_b32 v4, v[10:11], off offset:1024
	s_wait_loadcnt 0x1
	v_subrev_nc_u32_e32 v2, s24, v2
	s_wait_loadcnt 0x0
	v_subrev_nc_u32_e32 v12, s24, v4
	s_delay_alu instid0(VALU_DEP_2) | instskip(SKIP_2) | instid1(VALU_DEP_1)
	v_cmp_lt_i32_e32 vcc_lo, v6, v2
	s_wait_alu 0xfffd
	v_cndmask_b32_e32 v5, v1, v3, vcc_lo
                                        ; implicit-def: $vgpr1_vgpr2
	v_cmpx_ne_u32_e64 v12, v5
	s_wait_alu 0xfffe
	s_xor_b32 s10, exec_lo, s0
	s_cbranch_execz .LBB110_122
; %bb.108:
	s_load_b32 s0, s[6:7], 0x0
	ds_load_b128 v[1:4], v22 offset:4096
	s_mov_b32 s11, exec_lo
	s_wait_kmcnt 0x0
	s_sub_co_i32 s0, s0, s24
	s_wait_alu 0xfffe
	v_cmpx_gt_i32_e64 s0, v6
	s_cbranch_execz .LBB110_121
; %bb.109:
	v_ashrrev_i32_e32 v6, 31, v5
	v_cmp_le_i32_e64 s0, s23, v12
	s_delay_alu instid0(VALU_DEP_2) | instskip(NEXT) | instid1(VALU_DEP_1)
	v_lshlrev_b64_e32 v[5:6], 4, v[5:6]
	v_add_co_u32 v5, vcc_lo, s14, v5
	s_wait_alu 0xfffd
	s_delay_alu instid0(VALU_DEP_2)
	v_add_co_ci_u32_e64 v6, null, s15, v6, vcc_lo
	v_cmp_gt_i32_e32 vcc_lo, s5, v12
	global_load_b128 v[5:8], v[5:6], off
	s_or_b32 s0, vcc_lo, s0
	s_wait_loadcnt_dscnt 0x0
	v_mul_f64_e64 v[13:14], v[7:8], -v[3:4]
	v_mul_f64_e32 v[7:8], v[7:8], v[1:2]
	s_delay_alu instid0(VALU_DEP_2) | instskip(NEXT) | instid1(VALU_DEP_2)
	v_fma_f64 v[16:17], v[1:2], v[5:6], v[13:14]
	v_fma_f64 v[14:15], v[3:4], v[5:6], v[7:8]
	s_wait_alu 0xfffe
	s_and_saveexec_b32 s17, s0
	s_wait_alu 0xfffe
	s_xor_b32 s0, exec_lo, s17
	s_cbranch_execz .LBB110_115
; %bb.110:
	v_ashrrev_i32_e32 v13, 31, v12
	s_mov_b32 s17, 0
	s_delay_alu instid0(VALU_DEP_1) | instskip(NEXT) | instid1(VALU_DEP_1)
	v_lshlrev_b64_e32 v[5:6], 4, v[12:13]
	v_add_co_u32 v18, vcc_lo, s20, v5
	s_wait_alu 0xfffd
	s_delay_alu instid0(VALU_DEP_2)
	v_add_co_ci_u32_e64 v19, null, s21, v6, vcc_lo
	global_load_b64 v[7:8], v[18:19], off
.LBB110_111:                            ; =>This Inner Loop Header: Depth=1
	s_wait_loadcnt 0x0
	v_add_f64_e32 v[5:6], v[7:8], v[16:17]
	global_atomic_cmpswap_b64 v[5:6], v[18:19], v[5:8], off th:TH_ATOMIC_RETURN scope:SCOPE_DEV
	s_wait_loadcnt 0x0
	v_cmp_eq_u64_e32 vcc_lo, v[5:6], v[7:8]
	v_dual_mov_b32 v8, v6 :: v_dual_mov_b32 v7, v5
	s_wait_alu 0xfffe
	s_or_b32 s17, vcc_lo, s17
	s_wait_alu 0xfffe
	s_and_not1_b32 exec_lo, exec_lo, s17
	s_cbranch_execnz .LBB110_111
; %bb.112:
	s_or_b32 exec_lo, exec_lo, s17
	global_load_b64 v[7:8], v[18:19], off offset:8
	s_mov_b32 s17, 0
.LBB110_113:                            ; =>This Inner Loop Header: Depth=1
	s_wait_loadcnt 0x0
	v_add_f64_e32 v[5:6], v[7:8], v[14:15]
	global_atomic_cmpswap_b64 v[5:6], v[18:19], v[5:8], off offset:8 th:TH_ATOMIC_RETURN scope:SCOPE_DEV
	s_wait_loadcnt 0x0
	v_cmp_eq_u64_e32 vcc_lo, v[5:6], v[7:8]
	v_dual_mov_b32 v8, v6 :: v_dual_mov_b32 v7, v5
	s_wait_alu 0xfffe
	s_or_b32 s17, vcc_lo, s17
	s_wait_alu 0xfffe
	s_and_not1_b32 exec_lo, exec_lo, s17
	s_cbranch_execnz .LBB110_113
; %bb.114:
	s_or_b32 exec_lo, exec_lo, s17
                                        ; implicit-def: $vgpr14_vgpr15
                                        ; implicit-def: $vgpr16_vgpr17
.LBB110_115:
	s_wait_alu 0xfffe
	s_and_not1_saveexec_b32 s0, s0
	s_cbranch_execz .LBB110_121
; %bb.116:
	v_subrev_nc_u32_e32 v5, s5, v12
	s_mov_b32 s0, 0
	s_delay_alu instid0(VALU_DEP_1)
	v_lshl_add_u32 v7, v5, 4, 0x4000
	ds_load_b64 v[5:6], v7
.LBB110_117:                            ; =>This Inner Loop Header: Depth=1
	s_wait_dscnt 0x0
	v_add_f64_e32 v[18:19], v[5:6], v[16:17]
	ds_cmpstore_rtn_b64 v[18:19], v7, v[18:19], v[5:6]
	s_wait_dscnt 0x0
	v_cmp_eq_u64_e32 vcc_lo, v[18:19], v[5:6]
	v_dual_mov_b32 v5, v18 :: v_dual_mov_b32 v6, v19
	s_wait_alu 0xfffe
	s_or_b32 s0, vcc_lo, s0
	s_wait_alu 0xfffe
	s_and_not1_b32 exec_lo, exec_lo, s0
	s_cbranch_execnz .LBB110_117
; %bb.118:
	s_or_b32 exec_lo, exec_lo, s0
	ds_load_b64 v[5:6], v7 offset:8
	s_mov_b32 s0, 0
.LBB110_119:                            ; =>This Inner Loop Header: Depth=1
	s_wait_dscnt 0x0
	v_add_f64_e32 v[16:17], v[5:6], v[14:15]
	ds_cmpstore_rtn_b64 v[16:17], v7, v[16:17], v[5:6] offset:8
	s_wait_dscnt 0x0
	v_cmp_eq_u64_e32 vcc_lo, v[16:17], v[5:6]
	v_dual_mov_b32 v5, v16 :: v_dual_mov_b32 v6, v17
	s_wait_alu 0xfffe
	s_or_b32 s0, vcc_lo, s0
	s_wait_alu 0xfffe
	s_and_not1_b32 exec_lo, exec_lo, s0
	s_cbranch_execnz .LBB110_119
; %bb.120:
	s_or_b32 exec_lo, exec_lo, s0
.LBB110_121:
	s_delay_alu instid0(SALU_CYCLE_1)
	s_or_b32 exec_lo, exec_lo, s11
.LBB110_122:
	s_wait_alu 0xfffe
	s_and_not1_saveexec_b32 s0, s10
	s_cbranch_execz .LBB110_124
; %bb.123:
	s_wait_dscnt 0x0
	ds_load_b128 v[1:4], v22 offset:4096
.LBB110_124:
	s_wait_alu 0xfffe
	s_or_b32 exec_lo, exec_lo, s0
	v_ashrrev_i32_e32 v13, 31, v12
	s_delay_alu instid0(VALU_DEP_1) | instskip(NEXT) | instid1(VALU_DEP_1)
	v_lshlrev_b64_e32 v[5:6], 4, v[12:13]
	v_add_co_u32 v5, vcc_lo, s14, v5
	s_wait_alu 0xfffd
	s_delay_alu instid0(VALU_DEP_2)
	v_add_co_ci_u32_e64 v6, null, s15, v6, vcc_lo
	v_cmp_ne_u32_e32 vcc_lo, 1, v21
	global_load_b128 v[5:8], v[5:6], off
	s_and_b32 vcc_lo, exec_lo, vcc_lo
	s_wait_loadcnt_dscnt 0x0
	v_mul_f64_e64 v[12:13], v[7:8], -v[3:4]
	v_mul_f64_e32 v[7:8], v[7:8], v[1:2]
	s_delay_alu instid0(VALU_DEP_2) | instskip(NEXT) | instid1(VALU_DEP_2)
	v_fma_f64 v[12:13], v[1:2], v[5:6], v[12:13]
	v_fma_f64 v[14:15], v[3:4], v[5:6], v[7:8]
	v_dual_mov_b32 v3, s22 :: v_dual_add_nc_u32 v6, 0x200, v9
	v_mov_b32_e32 v1, s13
	ds_store_b128 v22, v[12:15] offset:4096
	s_wait_alu 0xfffe
	s_cbranch_vccnz .LBB110_128
; %bb.125:
	v_mov_b32_e32 v3, s22
	v_mov_b32_e32 v1, s13
	s_mov_b32 s10, 0
.LBB110_126:                            ; =>This Inner Loop Header: Depth=1
	s_delay_alu instid0(VALU_DEP_1) | instskip(NEXT) | instid1(VALU_DEP_1)
	v_add_nc_u32_e32 v2, v1, v3
	v_lshrrev_b32_e32 v4, 31, v2
	s_delay_alu instid0(VALU_DEP_1) | instskip(NEXT) | instid1(VALU_DEP_1)
	v_add_nc_u32_e32 v2, v2, v4
	v_ashrrev_i32_e32 v4, 1, v2
	s_delay_alu instid0(VALU_DEP_1) | instskip(NEXT) | instid1(VALU_DEP_1)
	v_ashrrev_i32_e32 v5, 31, v4
	v_lshlrev_b64_e32 v[7:8], 2, v[4:5]
	s_delay_alu instid0(VALU_DEP_1) | instskip(SKIP_1) | instid1(VALU_DEP_2)
	v_add_co_u32 v7, vcc_lo, s8, v7
	s_wait_alu 0xfffd
	v_add_co_ci_u32_e64 v8, null, s9, v8, vcc_lo
	global_load_b32 v2, v[7:8], off
	s_wait_loadcnt 0x0
	v_subrev_nc_u32_e32 v2, s24, v2
	s_delay_alu instid0(VALU_DEP_1) | instskip(SKIP_2) | instid1(VALU_DEP_1)
	v_cmp_lt_i32_e32 vcc_lo, v6, v2
	s_wait_alu 0xfffd
	v_cndmask_b32_e32 v1, v1, v4, vcc_lo
	v_dual_cndmask_b32 v3, v4, v3 :: v_dual_add_nc_u32 v2, -1, v1
	s_delay_alu instid0(VALU_DEP_1) | instskip(NEXT) | instid1(VALU_DEP_2)
	v_cmp_ge_i32_e32 vcc_lo, v3, v1
	v_cmp_eq_u32_e64 s0, v3, v2
	s_or_b32 s0, vcc_lo, s0
	s_wait_alu 0xfffe
	s_and_b32 s0, exec_lo, s0
	s_wait_alu 0xfffe
	s_or_b32 s10, s0, s10
	s_wait_alu 0xfffe
	s_and_not1_b32 exec_lo, exec_lo, s10
	s_cbranch_execnz .LBB110_126
; %bb.127:
	s_or_b32 exec_lo, exec_lo, s10
.LBB110_128:
	v_ashrrev_i32_e32 v2, 31, v1
	s_mov_b32 s0, exec_lo
	s_delay_alu instid0(VALU_DEP_1) | instskip(NEXT) | instid1(VALU_DEP_1)
	v_lshlrev_b64_e32 v[4:5], 2, v[1:2]
	v_add_co_u32 v4, vcc_lo, s8, v4
	s_wait_alu 0xfffd
	s_delay_alu instid0(VALU_DEP_2)
	v_add_co_ci_u32_e64 v5, null, s9, v5, vcc_lo
	global_load_b32 v2, v[4:5], off
	global_load_b32 v4, v[10:11], off offset:2048
	s_wait_loadcnt 0x1
	v_subrev_nc_u32_e32 v2, s24, v2
	s_wait_loadcnt 0x0
	v_subrev_nc_u32_e32 v12, s24, v4
	s_delay_alu instid0(VALU_DEP_2) | instskip(SKIP_2) | instid1(VALU_DEP_1)
	v_cmp_lt_i32_e32 vcc_lo, v6, v2
	s_wait_alu 0xfffd
	v_cndmask_b32_e32 v5, v1, v3, vcc_lo
                                        ; implicit-def: $vgpr1_vgpr2
	v_cmpx_ne_u32_e64 v12, v5
	s_wait_alu 0xfffe
	s_xor_b32 s10, exec_lo, s0
	s_cbranch_execz .LBB110_143
; %bb.129:
	s_load_b32 s0, s[6:7], 0x0
	ds_load_b128 v[1:4], v22 offset:8192
	s_mov_b32 s11, exec_lo
	s_wait_kmcnt 0x0
	s_sub_co_i32 s0, s0, s24
	s_wait_alu 0xfffe
	v_cmpx_gt_i32_e64 s0, v6
	s_cbranch_execz .LBB110_142
; %bb.130:
	v_ashrrev_i32_e32 v6, 31, v5
	v_cmp_le_i32_e64 s0, s23, v12
	s_delay_alu instid0(VALU_DEP_2) | instskip(NEXT) | instid1(VALU_DEP_1)
	v_lshlrev_b64_e32 v[5:6], 4, v[5:6]
	v_add_co_u32 v5, vcc_lo, s14, v5
	s_wait_alu 0xfffd
	s_delay_alu instid0(VALU_DEP_2)
	v_add_co_ci_u32_e64 v6, null, s15, v6, vcc_lo
	v_cmp_gt_i32_e32 vcc_lo, s5, v12
	global_load_b128 v[5:8], v[5:6], off
	s_or_b32 s0, vcc_lo, s0
	s_wait_loadcnt_dscnt 0x0
	v_mul_f64_e64 v[13:14], v[7:8], -v[3:4]
	v_mul_f64_e32 v[7:8], v[7:8], v[1:2]
	s_delay_alu instid0(VALU_DEP_2) | instskip(NEXT) | instid1(VALU_DEP_2)
	v_fma_f64 v[16:17], v[1:2], v[5:6], v[13:14]
	v_fma_f64 v[14:15], v[3:4], v[5:6], v[7:8]
	s_wait_alu 0xfffe
	s_and_saveexec_b32 s17, s0
	s_wait_alu 0xfffe
	s_xor_b32 s0, exec_lo, s17
	s_cbranch_execz .LBB110_136
; %bb.131:
	v_ashrrev_i32_e32 v13, 31, v12
	s_mov_b32 s17, 0
	s_delay_alu instid0(VALU_DEP_1) | instskip(NEXT) | instid1(VALU_DEP_1)
	v_lshlrev_b64_e32 v[5:6], 4, v[12:13]
	v_add_co_u32 v18, vcc_lo, s20, v5
	s_wait_alu 0xfffd
	s_delay_alu instid0(VALU_DEP_2)
	v_add_co_ci_u32_e64 v19, null, s21, v6, vcc_lo
	global_load_b64 v[7:8], v[18:19], off
.LBB110_132:                            ; =>This Inner Loop Header: Depth=1
	s_wait_loadcnt 0x0
	v_add_f64_e32 v[5:6], v[7:8], v[16:17]
	global_atomic_cmpswap_b64 v[5:6], v[18:19], v[5:8], off th:TH_ATOMIC_RETURN scope:SCOPE_DEV
	s_wait_loadcnt 0x0
	v_cmp_eq_u64_e32 vcc_lo, v[5:6], v[7:8]
	v_dual_mov_b32 v8, v6 :: v_dual_mov_b32 v7, v5
	s_wait_alu 0xfffe
	s_or_b32 s17, vcc_lo, s17
	s_wait_alu 0xfffe
	s_and_not1_b32 exec_lo, exec_lo, s17
	s_cbranch_execnz .LBB110_132
; %bb.133:
	s_or_b32 exec_lo, exec_lo, s17
	global_load_b64 v[7:8], v[18:19], off offset:8
	s_mov_b32 s17, 0
.LBB110_134:                            ; =>This Inner Loop Header: Depth=1
	s_wait_loadcnt 0x0
	v_add_f64_e32 v[5:6], v[7:8], v[14:15]
	global_atomic_cmpswap_b64 v[5:6], v[18:19], v[5:8], off offset:8 th:TH_ATOMIC_RETURN scope:SCOPE_DEV
	s_wait_loadcnt 0x0
	v_cmp_eq_u64_e32 vcc_lo, v[5:6], v[7:8]
	v_dual_mov_b32 v8, v6 :: v_dual_mov_b32 v7, v5
	s_wait_alu 0xfffe
	s_or_b32 s17, vcc_lo, s17
	s_wait_alu 0xfffe
	s_and_not1_b32 exec_lo, exec_lo, s17
	s_cbranch_execnz .LBB110_134
; %bb.135:
	s_or_b32 exec_lo, exec_lo, s17
                                        ; implicit-def: $vgpr14_vgpr15
                                        ; implicit-def: $vgpr16_vgpr17
.LBB110_136:
	s_wait_alu 0xfffe
	s_and_not1_saveexec_b32 s0, s0
	s_cbranch_execz .LBB110_142
; %bb.137:
	v_subrev_nc_u32_e32 v5, s5, v12
	s_mov_b32 s0, 0
	s_delay_alu instid0(VALU_DEP_1)
	v_lshl_add_u32 v7, v5, 4, 0x4000
	ds_load_b64 v[5:6], v7
.LBB110_138:                            ; =>This Inner Loop Header: Depth=1
	s_wait_dscnt 0x0
	v_add_f64_e32 v[8:9], v[5:6], v[16:17]
	ds_cmpstore_rtn_b64 v[8:9], v7, v[8:9], v[5:6]
	s_wait_dscnt 0x0
	v_cmp_eq_u64_e32 vcc_lo, v[8:9], v[5:6]
	v_dual_mov_b32 v5, v8 :: v_dual_mov_b32 v6, v9
	s_wait_alu 0xfffe
	s_or_b32 s0, vcc_lo, s0
	s_wait_alu 0xfffe
	s_and_not1_b32 exec_lo, exec_lo, s0
	s_cbranch_execnz .LBB110_138
; %bb.139:
	s_or_b32 exec_lo, exec_lo, s0
	ds_load_b64 v[5:6], v7 offset:8
	s_mov_b32 s0, 0
.LBB110_140:                            ; =>This Inner Loop Header: Depth=1
	s_wait_dscnt 0x0
	v_add_f64_e32 v[8:9], v[5:6], v[14:15]
	ds_cmpstore_rtn_b64 v[8:9], v7, v[8:9], v[5:6] offset:8
	s_wait_dscnt 0x0
	v_cmp_eq_u64_e32 vcc_lo, v[8:9], v[5:6]
	v_dual_mov_b32 v5, v8 :: v_dual_mov_b32 v6, v9
	s_wait_alu 0xfffe
	s_or_b32 s0, vcc_lo, s0
	s_wait_alu 0xfffe
	s_and_not1_b32 exec_lo, exec_lo, s0
	s_cbranch_execnz .LBB110_140
; %bb.141:
	s_or_b32 exec_lo, exec_lo, s0
.LBB110_142:
	s_delay_alu instid0(SALU_CYCLE_1)
	s_or_b32 exec_lo, exec_lo, s11
.LBB110_143:
	s_wait_alu 0xfffe
	s_and_not1_saveexec_b32 s0, s10
	s_cbranch_execz .LBB110_145
; %bb.144:
	s_wait_dscnt 0x0
	ds_load_b128 v[1:4], v22 offset:8192
.LBB110_145:
	s_wait_alu 0xfffe
	s_or_b32 exec_lo, exec_lo, s0
	v_ashrrev_i32_e32 v13, 31, v12
	s_delay_alu instid0(VALU_DEP_1) | instskip(NEXT) | instid1(VALU_DEP_1)
	v_lshlrev_b64_e32 v[5:6], 4, v[12:13]
	v_add_co_u32 v5, vcc_lo, s14, v5
	s_wait_alu 0xfffd
	s_delay_alu instid0(VALU_DEP_2)
	v_add_co_ci_u32_e64 v6, null, s15, v6, vcc_lo
	v_cmp_ne_u32_e32 vcc_lo, 1, v21
	global_load_b128 v[5:8], v[5:6], off
	s_and_b32 vcc_lo, exec_lo, vcc_lo
	s_wait_loadcnt_dscnt 0x0
	v_mul_f64_e64 v[12:13], v[7:8], -v[3:4]
	v_mul_f64_e32 v[7:8], v[7:8], v[1:2]
	s_delay_alu instid0(VALU_DEP_2) | instskip(NEXT) | instid1(VALU_DEP_2)
	v_fma_f64 v[12:13], v[1:2], v[5:6], v[12:13]
	v_fma_f64 v[14:15], v[3:4], v[5:6], v[7:8]
	v_mov_b32_e32 v3, s22
	v_mov_b32_e32 v1, s13
	ds_store_b128 v22, v[12:15] offset:8192
	s_wait_alu 0xfffe
	s_cbranch_vccnz .LBB110_149
; %bb.146:
	v_mov_b32_e32 v3, s22
	v_mov_b32_e32 v1, s13
	s_mov_b32 s10, 0
.LBB110_147:                            ; =>This Inner Loop Header: Depth=1
	s_delay_alu instid0(VALU_DEP_1) | instskip(NEXT) | instid1(VALU_DEP_1)
	v_add_nc_u32_e32 v2, v1, v3
	v_lshrrev_b32_e32 v4, 31, v2
	s_delay_alu instid0(VALU_DEP_1) | instskip(NEXT) | instid1(VALU_DEP_1)
	v_add_nc_u32_e32 v2, v2, v4
	v_ashrrev_i32_e32 v4, 1, v2
	s_delay_alu instid0(VALU_DEP_1) | instskip(NEXT) | instid1(VALU_DEP_1)
	v_ashrrev_i32_e32 v5, 31, v4
	v_lshlrev_b64_e32 v[5:6], 2, v[4:5]
	s_delay_alu instid0(VALU_DEP_1) | instskip(SKIP_1) | instid1(VALU_DEP_2)
	v_add_co_u32 v5, vcc_lo, s8, v5
	s_wait_alu 0xfffd
	v_add_co_ci_u32_e64 v6, null, s9, v6, vcc_lo
	global_load_b32 v2, v[5:6], off
	s_wait_loadcnt 0x0
	v_subrev_nc_u32_e32 v2, s24, v2
	s_delay_alu instid0(VALU_DEP_1) | instskip(SKIP_2) | instid1(VALU_DEP_1)
	v_cmp_lt_i32_e32 vcc_lo, v20, v2
	s_wait_alu 0xfffd
	v_cndmask_b32_e32 v1, v1, v4, vcc_lo
	v_dual_cndmask_b32 v3, v4, v3 :: v_dual_add_nc_u32 v2, -1, v1
	s_delay_alu instid0(VALU_DEP_1) | instskip(NEXT) | instid1(VALU_DEP_2)
	v_cmp_ge_i32_e32 vcc_lo, v3, v1
	v_cmp_eq_u32_e64 s0, v3, v2
	s_or_b32 s0, vcc_lo, s0
	s_wait_alu 0xfffe
	s_and_b32 s0, exec_lo, s0
	s_wait_alu 0xfffe
	s_or_b32 s10, s0, s10
	s_wait_alu 0xfffe
	s_and_not1_b32 exec_lo, exec_lo, s10
	s_cbranch_execnz .LBB110_147
; %bb.148:
	s_or_b32 exec_lo, exec_lo, s10
.LBB110_149:
	v_ashrrev_i32_e32 v2, 31, v1
	s_mov_b32 s0, exec_lo
	s_delay_alu instid0(VALU_DEP_1) | instskip(NEXT) | instid1(VALU_DEP_1)
	v_lshlrev_b64_e32 v[4:5], 2, v[1:2]
	v_add_co_u32 v4, vcc_lo, s8, v4
	s_wait_alu 0xfffd
	s_delay_alu instid0(VALU_DEP_2)
	v_add_co_ci_u32_e64 v5, null, s9, v5, vcc_lo
	global_load_b32 v2, v[4:5], off
	global_load_b32 v4, v[10:11], off offset:3072
	s_wait_loadcnt 0x1
	v_subrev_nc_u32_e32 v2, s24, v2
	s_wait_loadcnt 0x0
	v_subrev_nc_u32_e32 v9, s24, v4
	s_delay_alu instid0(VALU_DEP_2) | instskip(SKIP_2) | instid1(VALU_DEP_1)
	v_cmp_lt_i32_e32 vcc_lo, v20, v2
	s_wait_alu 0xfffd
	v_cndmask_b32_e32 v5, v1, v3, vcc_lo
                                        ; implicit-def: $vgpr1_vgpr2
	v_cmpx_ne_u32_e64 v9, v5
	s_wait_alu 0xfffe
	s_xor_b32 s10, exec_lo, s0
	s_cbranch_execz .LBB110_164
; %bb.150:
	s_load_b32 s0, s[6:7], 0x0
	ds_load_b128 v[1:4], v22 offset:12288
	s_mov_b32 s6, exec_lo
	s_wait_kmcnt 0x0
	s_sub_co_i32 s0, s0, s24
	s_wait_alu 0xfffe
	v_cmpx_gt_i32_e64 s0, v20
	s_cbranch_execz .LBB110_163
; %bb.151:
	v_ashrrev_i32_e32 v6, 31, v5
	v_cmp_le_i32_e64 s0, s23, v9
	s_delay_alu instid0(VALU_DEP_2) | instskip(NEXT) | instid1(VALU_DEP_1)
	v_lshlrev_b64_e32 v[5:6], 4, v[5:6]
	v_add_co_u32 v5, vcc_lo, s14, v5
	s_wait_alu 0xfffd
	s_delay_alu instid0(VALU_DEP_2)
	v_add_co_ci_u32_e64 v6, null, s15, v6, vcc_lo
	v_cmp_gt_i32_e32 vcc_lo, s5, v9
	global_load_b128 v[5:8], v[5:6], off
	s_or_b32 s0, vcc_lo, s0
	s_wait_loadcnt_dscnt 0x0
	v_mul_f64_e64 v[10:11], v[7:8], -v[3:4]
	v_mul_f64_e32 v[7:8], v[7:8], v[1:2]
	s_delay_alu instid0(VALU_DEP_2) | instskip(NEXT) | instid1(VALU_DEP_2)
	v_fma_f64 v[13:14], v[1:2], v[5:6], v[10:11]
	v_fma_f64 v[11:12], v[3:4], v[5:6], v[7:8]
	s_wait_alu 0xfffe
	s_and_saveexec_b32 s7, s0
	s_wait_alu 0xfffe
	s_xor_b32 s0, exec_lo, s7
	s_cbranch_execz .LBB110_157
; %bb.152:
	v_ashrrev_i32_e32 v10, 31, v9
	s_mov_b32 s7, 0
	s_delay_alu instid0(VALU_DEP_1) | instskip(NEXT) | instid1(VALU_DEP_1)
	v_lshlrev_b64_e32 v[5:6], 4, v[9:10]
	v_add_co_u32 v15, vcc_lo, s20, v5
	s_wait_alu 0xfffd
	s_delay_alu instid0(VALU_DEP_2)
	v_add_co_ci_u32_e64 v16, null, s21, v6, vcc_lo
	global_load_b64 v[7:8], v[15:16], off
.LBB110_153:                            ; =>This Inner Loop Header: Depth=1
	s_wait_loadcnt 0x0
	v_add_f64_e32 v[5:6], v[7:8], v[13:14]
	global_atomic_cmpswap_b64 v[5:6], v[15:16], v[5:8], off th:TH_ATOMIC_RETURN scope:SCOPE_DEV
	s_wait_loadcnt 0x0
	v_cmp_eq_u64_e32 vcc_lo, v[5:6], v[7:8]
	v_dual_mov_b32 v8, v6 :: v_dual_mov_b32 v7, v5
	s_wait_alu 0xfffe
	s_or_b32 s7, vcc_lo, s7
	s_wait_alu 0xfffe
	s_and_not1_b32 exec_lo, exec_lo, s7
	s_cbranch_execnz .LBB110_153
; %bb.154:
	s_or_b32 exec_lo, exec_lo, s7
	global_load_b64 v[7:8], v[15:16], off offset:8
	s_mov_b32 s7, 0
.LBB110_155:                            ; =>This Inner Loop Header: Depth=1
	s_wait_loadcnt 0x0
	v_add_f64_e32 v[5:6], v[7:8], v[11:12]
	global_atomic_cmpswap_b64 v[5:6], v[15:16], v[5:8], off offset:8 th:TH_ATOMIC_RETURN scope:SCOPE_DEV
	s_wait_loadcnt 0x0
	v_cmp_eq_u64_e32 vcc_lo, v[5:6], v[7:8]
	v_dual_mov_b32 v8, v6 :: v_dual_mov_b32 v7, v5
	s_wait_alu 0xfffe
	s_or_b32 s7, vcc_lo, s7
	s_wait_alu 0xfffe
	s_and_not1_b32 exec_lo, exec_lo, s7
	s_cbranch_execnz .LBB110_155
; %bb.156:
	s_or_b32 exec_lo, exec_lo, s7
                                        ; implicit-def: $vgpr11_vgpr12
                                        ; implicit-def: $vgpr13_vgpr14
.LBB110_157:
	s_wait_alu 0xfffe
	s_and_not1_saveexec_b32 s0, s0
	s_cbranch_execz .LBB110_163
; %bb.158:
	v_subrev_nc_u32_e32 v5, s5, v9
	s_mov_b32 s0, 0
	s_delay_alu instid0(VALU_DEP_1)
	v_lshl_add_u32 v7, v5, 4, 0x4000
	ds_load_b64 v[5:6], v7
.LBB110_159:                            ; =>This Inner Loop Header: Depth=1
	s_wait_dscnt 0x0
	v_add_f64_e32 v[15:16], v[5:6], v[13:14]
	ds_cmpstore_rtn_b64 v[15:16], v7, v[15:16], v[5:6]
	s_wait_dscnt 0x0
	v_cmp_eq_u64_e32 vcc_lo, v[15:16], v[5:6]
	v_dual_mov_b32 v5, v15 :: v_dual_mov_b32 v6, v16
	s_wait_alu 0xfffe
	s_or_b32 s0, vcc_lo, s0
	s_wait_alu 0xfffe
	s_and_not1_b32 exec_lo, exec_lo, s0
	s_cbranch_execnz .LBB110_159
; %bb.160:
	s_or_b32 exec_lo, exec_lo, s0
	ds_load_b64 v[5:6], v7 offset:8
	s_mov_b32 s0, 0
.LBB110_161:                            ; =>This Inner Loop Header: Depth=1
	s_wait_dscnt 0x0
	v_add_f64_e32 v[13:14], v[5:6], v[11:12]
	ds_cmpstore_rtn_b64 v[13:14], v7, v[13:14], v[5:6] offset:8
	s_wait_dscnt 0x0
	v_cmp_eq_u64_e32 vcc_lo, v[13:14], v[5:6]
	v_dual_mov_b32 v5, v13 :: v_dual_mov_b32 v6, v14
	s_wait_alu 0xfffe
	s_or_b32 s0, vcc_lo, s0
	s_wait_alu 0xfffe
	s_and_not1_b32 exec_lo, exec_lo, s0
	s_cbranch_execnz .LBB110_161
; %bb.162:
	s_or_b32 exec_lo, exec_lo, s0
.LBB110_163:
	s_delay_alu instid0(SALU_CYCLE_1)
	s_or_b32 exec_lo, exec_lo, s6
.LBB110_164:
	s_wait_alu 0xfffe
	s_and_not1_saveexec_b32 s0, s10
	s_cbranch_execz .LBB110_166
; %bb.165:
	s_wait_dscnt 0x0
	ds_load_b128 v[1:4], v22 offset:12288
.LBB110_166:
	s_wait_alu 0xfffe
	s_or_b32 exec_lo, exec_lo, s0
	v_ashrrev_i32_e32 v10, 31, v9
	s_delay_alu instid0(VALU_DEP_1) | instskip(NEXT) | instid1(VALU_DEP_1)
	v_lshlrev_b64_e32 v[5:6], 4, v[9:10]
	v_add_co_u32 v5, vcc_lo, s14, v5
	s_wait_alu 0xfffd
	s_delay_alu instid0(VALU_DEP_2) | instskip(SKIP_4) | instid1(VALU_DEP_2)
	v_add_co_ci_u32_e64 v6, null, s15, v6, vcc_lo
	global_load_b128 v[5:8], v[5:6], off
	s_wait_loadcnt_dscnt 0x0
	v_mul_f64_e64 v[9:10], v[7:8], -v[3:4]
	v_mul_f64_e32 v[7:8], v[7:8], v[1:2]
	v_fma_f64 v[1:2], v[1:2], v[5:6], v[9:10]
	s_delay_alu instid0(VALU_DEP_2)
	v_fma_f64 v[3:4], v[3:4], v[5:6], v[7:8]
	ds_store_b128 v22, v[1:4] offset:12288
.LBB110_167:
	s_wait_alu 0xfffe
	s_or_b32 exec_lo, exec_lo, s12
	s_min_i32 s6, s23, s18
	s_mov_b32 s7, exec_lo
	s_wait_alu 0xfffe
	s_sub_co_i32 s0, s6, s16
	s_wait_loadcnt_dscnt 0x0
	s_barrier_signal -1
	s_barrier_wait -1
	global_inv scope:SCOPE_SE
	s_wait_alu 0xfffe
	v_cmpx_gt_i32_e64 s0, v0
	s_cbranch_execz .LBB110_174
; %bb.168:
	v_mov_b32_e32 v11, v0
	s_mov_b32 s10, 0
.LBB110_169:                            ; =>This Loop Header: Depth=1
                                        ;     Child Loop BB110_170 Depth 2
                                        ;     Child Loop BB110_172 Depth 2
	s_delay_alu instid0(VALU_DEP_1) | instskip(SKIP_1) | instid1(VALU_DEP_1)
	v_add_nc_u32_e32 v1, s5, v11
	s_mov_b32 s11, 0
	v_ashrrev_i32_e32 v2, 31, v1
	s_delay_alu instid0(VALU_DEP_1) | instskip(NEXT) | instid1(VALU_DEP_1)
	v_lshlrev_b64_e32 v[1:2], 4, v[1:2]
	v_add_co_u32 v9, vcc_lo, s20, v1
	s_wait_alu 0xfffd
	s_delay_alu instid0(VALU_DEP_2)
	v_add_co_ci_u32_e64 v10, null, s21, v2, vcc_lo
	v_lshl_add_u32 v1, v11, 4, 0x4000
	global_load_b64 v[7:8], v[9:10], off
	ds_load_2addr_b64 v[1:4], v1 offset1:1
.LBB110_170:                            ;   Parent Loop BB110_169 Depth=1
                                        ; =>  This Inner Loop Header: Depth=2
	s_wait_loadcnt_dscnt 0x0
	v_add_f64_e32 v[5:6], v[7:8], v[1:2]
	global_atomic_cmpswap_b64 v[5:6], v[9:10], v[5:8], off th:TH_ATOMIC_RETURN scope:SCOPE_DEV
	s_wait_loadcnt 0x0
	v_cmp_eq_u64_e32 vcc_lo, v[5:6], v[7:8]
	v_dual_mov_b32 v8, v6 :: v_dual_mov_b32 v7, v5
	s_wait_alu 0xfffe
	s_or_b32 s11, vcc_lo, s11
	s_wait_alu 0xfffe
	s_and_not1_b32 exec_lo, exec_lo, s11
	s_cbranch_execnz .LBB110_170
; %bb.171:                              ;   in Loop: Header=BB110_169 Depth=1
	s_or_b32 exec_lo, exec_lo, s11
	global_load_b64 v[7:8], v[9:10], off offset:8
	s_mov_b32 s11, 0
.LBB110_172:                            ;   Parent Loop BB110_169 Depth=1
                                        ; =>  This Inner Loop Header: Depth=2
	s_wait_loadcnt 0x0
	v_add_f64_e32 v[5:6], v[7:8], v[3:4]
	global_atomic_cmpswap_b64 v[1:2], v[9:10], v[5:8], off offset:8 th:TH_ATOMIC_RETURN scope:SCOPE_DEV
	s_wait_loadcnt 0x0
	v_cmp_eq_u64_e32 vcc_lo, v[1:2], v[7:8]
	v_dual_mov_b32 v8, v2 :: v_dual_mov_b32 v7, v1
	s_wait_alu 0xfffe
	s_or_b32 s11, vcc_lo, s11
	s_wait_alu 0xfffe
	s_and_not1_b32 exec_lo, exec_lo, s11
	s_cbranch_execnz .LBB110_172
; %bb.173:                              ;   in Loop: Header=BB110_169 Depth=1
	s_or_b32 exec_lo, exec_lo, s11
	v_add_nc_u32_e32 v11, 0x100, v11
	s_delay_alu instid0(VALU_DEP_1)
	v_cmp_le_i32_e32 vcc_lo, s0, v11
	s_or_b32 s10, vcc_lo, s10
	s_wait_alu 0xfffe
	s_and_not1_b32 exec_lo, exec_lo, s10
	s_cbranch_execnz .LBB110_169
.LBB110_174:
	s_or_b32 exec_lo, exec_lo, s7
	s_mul_i32 s5, s1, s16
	s_add_co_i32 s7, s1, 1
	s_wait_alu 0xfffe
	s_sub_co_i32 s5, s4, s5
	v_add_nc_u32_e32 v9, s22, v0
	s_wait_alu 0xfffe
	s_sub_co_i32 s10, s5, s16
	s_cmp_ge_u32 s5, s16
	s_wait_loadcnt 0x0
	s_cselect_b32 s1, s7, s1
	s_wait_alu 0xfffe
	s_cselect_b32 s5, s10, s5
	s_add_co_i32 s7, s1, 1
	s_wait_alu 0xfffe
	s_cmp_ge_u32 s5, s16
	s_barrier_signal -1
	s_cselect_b32 s1, s7, s1
	s_barrier_wait -1
	s_wait_alu 0xfffe
	s_add_co_i32 s1, s1, -1
	global_inv scope:SCOPE_SE
	s_wait_alu 0xfffe
	s_ashr_i32 s5, s1, 1
	s_wait_alu 0xfffe
	s_or_b32 s1, s5, s1
	s_wait_alu 0xfffe
	s_ashr_i32 s5, s1, 2
	s_wait_alu 0xfffe
	s_or_b32 s1, s5, s1
	;; [unrolled: 4-line block ×5, first 2 shown]
	s_mov_b32 s5, -1
	s_wait_alu 0xfffe
	s_add_co_i32 s1, s1, 1
	s_wait_alu 0xfffe
	s_ashr_i32 s1, s1, 1
	s_wait_alu 0xfffe
	s_cmp_gt_i32 s1, 1
	s_cbranch_scc1 .LBB110_187
; %bb.175:
	s_mov_b32 s5, exec_lo
	v_cmpx_gt_i32_e64 s23, v9
	s_cbranch_execz .LBB110_186
; %bb.176:
	s_sub_co_i32 s6, s6, s23
	v_mov_b32_e32 v10, v9
	s_lshl_b32 s10, s19, 4
	s_wait_alu 0xfffe
	s_lshl_b32 s6, s6, 4
	s_mov_b32 s7, 0
	s_wait_alu 0xfffe
	s_addk_co_i32 s6, 0x4000
	s_sub_co_i32 s10, 0, s10
.LBB110_177:                            ; =>This Loop Header: Depth=1
                                        ;     Child Loop BB110_179 Depth 2
                                        ;     Child Loop BB110_182 Depth 2
	;; [unrolled: 1-line block ×3, first 2 shown]
	v_ashrrev_i32_e32 v11, 31, v10
	v_dual_mov_b32 v12, 0 :: v_dual_mov_b32 v5, 0
	v_dual_mov_b32 v13, 0 :: v_dual_mov_b32 v6, 0
	s_delay_alu instid0(VALU_DEP_3) | instskip(SKIP_1) | instid1(VALU_DEP_1)
	v_lshlrev_b64_e32 v[1:2], 2, v[10:11]
	s_mov_b32 s11, exec_lo
	v_add_co_u32 v1, vcc_lo, s8, v1
	s_wait_alu 0xfffd
	s_delay_alu instid0(VALU_DEP_2)
	v_add_co_ci_u32_e64 v2, null, s9, v2, vcc_lo
	global_load_b64 v[1:2], v[1:2], off
	s_wait_loadcnt 0x0
	v_cmpx_lt_i32_e64 v1, v2
	s_cbranch_execz .LBB110_181
; %bb.178:                              ;   in Loop: Header=BB110_177 Depth=1
	v_dual_mov_b32 v12, 0 :: v_dual_mov_b32 v5, 0
	v_subrev_nc_u32_e32 v2, s19, v2
	v_subrev_nc_u32_e32 v3, s19, v1
	v_dual_mov_b32 v13, 0 :: v_dual_mov_b32 v6, 0
	s_wait_alu 0xfffe
	v_lshl_add_u32 v1, v1, 4, s10
	s_mov_b32 s12, 0
.LBB110_179:                            ;   Parent Loop BB110_177 Depth=1
                                        ; =>  This Inner Loop Header: Depth=2
	ds_load_b128 v[14:17], v1
	v_add_nc_u32_e32 v3, 1, v3
	v_add_nc_u32_e32 v1, 16, v1
	s_delay_alu instid0(VALU_DEP_2)
	v_cmp_ge_i32_e32 vcc_lo, v3, v2
	s_wait_alu 0xfffe
	s_or_b32 s12, vcc_lo, s12
	s_wait_dscnt 0x0
	v_add_f64_e32 v[5:6], v[5:6], v[14:15]
	v_add_f64_e32 v[12:13], v[12:13], v[16:17]
	s_wait_alu 0xfffe
	s_and_not1_b32 exec_lo, exec_lo, s12
	s_cbranch_execnz .LBB110_179
; %bb.180:                              ;   in Loop: Header=BB110_177 Depth=1
	s_or_b32 exec_lo, exec_lo, s12
.LBB110_181:                            ;   in Loop: Header=BB110_177 Depth=1
	s_wait_alu 0xfffe
	s_or_b32 exec_lo, exec_lo, s11
	v_lshlrev_b64_e32 v[1:2], 4, v[10:11]
	s_mov_b32 s11, 0
	s_delay_alu instid0(VALU_DEP_1) | instskip(SKIP_1) | instid1(VALU_DEP_2)
	v_add_co_u32 v14, vcc_lo, s20, v1
	s_wait_alu 0xfffd
	v_add_co_ci_u32_e64 v15, null, s21, v2, vcc_lo
	v_lshl_add_u32 v1, v10, 4, s6
	global_load_b64 v[7:8], v[14:15], off
	ds_load_2addr_b64 v[1:4], v1 offset1:1
	s_wait_dscnt 0x0
	v_add_f64_e32 v[1:2], v[5:6], v[1:2]
.LBB110_182:                            ;   Parent Loop BB110_177 Depth=1
                                        ; =>  This Inner Loop Header: Depth=2
	s_wait_loadcnt 0x0
	s_delay_alu instid0(VALU_DEP_1)
	v_add_f64_e32 v[5:6], v[7:8], v[1:2]
	global_atomic_cmpswap_b64 v[5:6], v[14:15], v[5:8], off th:TH_ATOMIC_RETURN scope:SCOPE_DEV
	s_wait_loadcnt 0x0
	v_cmp_eq_u64_e32 vcc_lo, v[5:6], v[7:8]
	v_dual_mov_b32 v8, v6 :: v_dual_mov_b32 v7, v5
	s_wait_alu 0xfffe
	s_or_b32 s11, vcc_lo, s11
	s_wait_alu 0xfffe
	s_and_not1_b32 exec_lo, exec_lo, s11
	s_cbranch_execnz .LBB110_182
; %bb.183:                              ;   in Loop: Header=BB110_177 Depth=1
	s_or_b32 exec_lo, exec_lo, s11
	global_load_b64 v[5:6], v[14:15], off offset:8
	v_add_f64_e32 v[1:2], v[12:13], v[3:4]
	s_mov_b32 s11, 0
.LBB110_184:                            ;   Parent Loop BB110_177 Depth=1
                                        ; =>  This Inner Loop Header: Depth=2
	s_wait_loadcnt 0x0
	s_delay_alu instid0(VALU_DEP_1)
	v_add_f64_e32 v[3:4], v[5:6], v[1:2]
	global_atomic_cmpswap_b64 v[3:4], v[14:15], v[3:6], off offset:8 th:TH_ATOMIC_RETURN scope:SCOPE_DEV
	s_wait_loadcnt 0x0
	v_cmp_eq_u64_e32 vcc_lo, v[3:4], v[5:6]
	v_dual_mov_b32 v6, v4 :: v_dual_mov_b32 v5, v3
	s_wait_alu 0xfffe
	s_or_b32 s11, vcc_lo, s11
	s_wait_alu 0xfffe
	s_and_not1_b32 exec_lo, exec_lo, s11
	s_cbranch_execnz .LBB110_184
; %bb.185:                              ;   in Loop: Header=BB110_177 Depth=1
	s_or_b32 exec_lo, exec_lo, s11
	v_add_nc_u32_e32 v10, s4, v10
	s_delay_alu instid0(VALU_DEP_1)
	v_cmp_le_i32_e32 vcc_lo, s23, v10
	s_or_b32 s7, vcc_lo, s7
	s_wait_alu 0xfffe
	s_and_not1_b32 exec_lo, exec_lo, s7
	s_cbranch_execnz .LBB110_177
.LBB110_186:
	s_wait_alu 0xfffe
	s_or_b32 exec_lo, exec_lo, s5
	s_mov_b32 s5, 0
.LBB110_187:
	s_wait_alu 0xfffe
	s_and_not1_b32 vcc_lo, exec_lo, s5
	s_wait_alu 0xfffe
	s_cbranch_vccnz .LBB110_203
; %bb.188:
	s_cvt_f32_u32 s4, s1
	s_sub_co_i32 s5, 0, s1
	s_wait_alu 0xfffe
	s_delay_alu instid0(SALU_CYCLE_1) | instskip(NEXT) | instid1(TRANS32_DEP_1)
	v_rcp_iflag_f32_e32 v1, s4
	v_readfirstlane_b32 s4, v1
	s_mul_f32 s4, s4, 0x4f7ffffe
	s_wait_alu 0xfffe
	s_delay_alu instid0(SALU_CYCLE_2) | instskip(SKIP_1) | instid1(SALU_CYCLE_2)
	s_cvt_u32_f32 s4, s4
	s_wait_alu 0xfffe
	s_mul_i32 s5, s5, s4
	s_wait_alu 0xfffe
	s_mul_hi_u32 s5, s4, s5
	s_wait_alu 0xfffe
	s_add_co_i32 s4, s4, s5
	s_wait_alu 0xfffe
	v_mul_hi_u32 v1, v0, s4
	s_delay_alu instid0(VALU_DEP_1) | instskip(NEXT) | instid1(VALU_DEP_1)
	v_mul_lo_u32 v2, v1, s1
	v_sub_nc_u32_e32 v2, v0, v2
	s_delay_alu instid0(VALU_DEP_1) | instskip(SKIP_2) | instid1(VALU_DEP_2)
	v_subrev_nc_u32_e32 v4, s1, v2
	v_cmp_le_u32_e32 vcc_lo, s1, v2
	s_wait_alu 0xfffd
	v_dual_cndmask_b32 v2, v2, v4 :: v_dual_add_nc_u32 v3, 1, v1
	s_delay_alu instid0(VALU_DEP_1) | instskip(NEXT) | instid1(VALU_DEP_2)
	v_cndmask_b32_e32 v1, v1, v3, vcc_lo
	v_cmp_le_u32_e32 vcc_lo, s1, v2
	s_delay_alu instid0(VALU_DEP_2) | instskip(SKIP_1) | instid1(VALU_DEP_1)
	v_add_nc_u32_e32 v3, 1, v1
	s_wait_alu 0xfffd
	v_cndmask_b32_e32 v7, v1, v3, vcc_lo
	v_mov_b32_e32 v3, 0
	s_delay_alu instid0(VALU_DEP_2)
	v_dual_mov_b32 v4, 0 :: v_dual_lshlrev_b32 v1, 2, v7
	global_load_b64 v[5:6], v1, s[2:3]
	s_abs_i32 s3, s1
	s_wait_alu 0xfffe
	s_cvt_f32_u32 s2, s3
	s_wait_alu 0xfffe
	s_delay_alu instid0(SALU_CYCLE_2) | instskip(SKIP_1) | instid1(TRANS32_DEP_1)
	v_rcp_iflag_f32_e32 v1, s2
	s_mov_b32 s2, exec_lo
	v_readfirstlane_b32 s4, v1
	v_mov_b32_e32 v1, 0
	v_mov_b32_e32 v2, 0
	v_cmpx_gt_i32_e64 s16, v7
	s_cbranch_execz .LBB110_196
; %bb.189:
	s_wait_loadcnt 0x0
	v_subrev_nc_u32_e32 v5, s19, v5
	v_subrev_nc_u32_e32 v7, s19, v6
	s_mul_f32 s4, s4, 0x4f7ffffe
	s_sub_co_i32 s5, 0, s3
	s_wait_alu 0xfffe
	s_delay_alu instid0(SALU_CYCLE_1) | instskip(SKIP_2) | instid1(SALU_CYCLE_1)
	s_cvt_u32_f32 s4, s4
	v_sub_nc_u32_e32 v3, v7, v5
	s_wait_alu 0xfffe
	s_mul_i32 s5, s5, s4
	s_delay_alu instid0(VALU_DEP_1)
	v_sub_nc_u32_e32 v1, 0, v3
	s_wait_alu 0xfffe
	s_mul_hi_u32 s5, s4, s5
	s_wait_alu 0xfffe
	s_add_co_i32 s4, s4, s5
	v_max_i32_e32 v4, v3, v1
	v_ashrrev_i32_e32 v3, 31, v3
	s_wait_alu 0xfffe
	s_delay_alu instid0(VALU_DEP_2) | instskip(SKIP_4) | instid1(VALU_DEP_1)
	v_mad_co_u64_u32 v[1:2], null, v4, s4, 0
	s_ashr_i32 s4, s1, 31
	s_wait_alu 0xfffe
	v_xor_b32_e32 v3, s4, v3
	v_mul_lo_u32 v1, v2, s3
	v_sub_nc_u32_e32 v1, v4, v1
	v_add_nc_u32_e32 v4, 1, v2
	s_delay_alu instid0(VALU_DEP_2) | instskip(SKIP_2) | instid1(VALU_DEP_2)
	v_subrev_nc_u32_e32 v6, s3, v1
	v_cmp_le_u32_e32 vcc_lo, s3, v1
	s_wait_alu 0xfffd
	v_dual_cndmask_b32 v2, v2, v4 :: v_dual_cndmask_b32 v1, v1, v6
	s_delay_alu instid0(VALU_DEP_1) | instskip(NEXT) | instid1(VALU_DEP_2)
	v_add_nc_u32_e32 v4, 1, v2
	v_cmp_le_u32_e32 vcc_lo, s3, v1
	s_add_co_i32 s3, s1, -1
	s_wait_alu 0xfffe
	v_and_b32_e32 v10, s3, v0
	s_mov_b32 s3, exec_lo
	s_wait_alu 0xfffd
	v_cndmask_b32_e32 v1, v2, v4, vcc_lo
	s_delay_alu instid0(VALU_DEP_1) | instskip(NEXT) | instid1(VALU_DEP_1)
	v_xor_b32_e32 v1, v1, v3
	v_sub_nc_u32_e32 v6, v1, v3
	v_mov_b32_e32 v3, 0
	v_dual_mov_b32 v1, 0 :: v_dual_mov_b32 v4, 0
	v_mov_b32_e32 v2, 0
	v_lshlrev_b32_e32 v8, 4, v10
	v_cmpx_lt_i32_e32 0, v6
	s_cbranch_execz .LBB110_193
; %bb.190:
	v_dual_mov_b32 v3, 0 :: v_dual_mov_b32 v12, v6
	v_mov_b32_e32 v4, 0
	v_lshl_add_u32 v11, v5, 4, v8
	s_delay_alu instid0(VALU_DEP_3)
	v_mov_b32_e32 v1, v3
	s_lshl_b32 s5, s1, 4
	s_mov_b32 s4, 0
	v_mov_b32_e32 v2, v4
.LBB110_191:                            ; =>This Inner Loop Header: Depth=1
	ds_load_b128 v[13:16], v11
	v_add_nc_u32_e32 v12, -1, v12
	s_wait_alu 0xfffe
	v_add_nc_u32_e32 v11, s5, v11
	s_delay_alu instid0(VALU_DEP_2)
	v_cmp_eq_u32_e32 vcc_lo, 0, v12
	s_or_b32 s4, vcc_lo, s4
	s_wait_dscnt 0x0
	v_add_f64_e32 v[1:2], v[1:2], v[13:14]
	v_add_f64_e32 v[3:4], v[3:4], v[15:16]
	s_wait_alu 0xfffe
	s_and_not1_b32 exec_lo, exec_lo, s4
	s_cbranch_execnz .LBB110_191
; %bb.192:
	s_or_b32 exec_lo, exec_lo, s4
.LBB110_193:
	s_wait_alu 0xfffe
	s_or_b32 exec_lo, exec_lo, s3
	v_mad_co_u64_u32 v[5:6], null, v6, s1, v[5:6]
	s_mov_b32 s3, exec_lo
	v_sub_nc_u32_e32 v6, v7, v5
	s_delay_alu instid0(VALU_DEP_1)
	v_cmpx_lt_i32_e64 v10, v6
	s_cbranch_execz .LBB110_195
; %bb.194:
	v_lshl_add_u32 v5, v5, 4, v8
	ds_load_b128 v[5:8], v5
	s_wait_dscnt 0x0
	v_add_f64_e32 v[1:2], v[1:2], v[5:6]
	v_add_f64_e32 v[3:4], v[3:4], v[7:8]
.LBB110_195:
	s_wait_alu 0xfffe
	s_or_b32 exec_lo, exec_lo, s3
.LBB110_196:
	s_wait_alu 0xfffe
	s_or_b32 exec_lo, exec_lo, s2
	v_cmp_gt_i32_e32 vcc_lo, s16, v0
	s_wait_loadcnt 0x0
	s_barrier_signal -1
	s_barrier_wait -1
	global_inv scope:SCOPE_SE
	ds_store_b128 v22, v[1:4]
	s_wait_loadcnt_dscnt 0x0
	s_barrier_signal -1
	s_barrier_wait -1
	global_inv scope:SCOPE_SE
	s_and_b32 exec_lo, exec_lo, vcc_lo
	s_cbranch_execz .LBB110_203
; %bb.197:
	v_mul_lo_u32 v1, s1, v0
	v_dual_mov_b32 v11, 0 :: v_dual_mov_b32 v4, 0
	v_dual_mov_b32 v12, 0 :: v_dual_mov_b32 v5, 0
	s_delay_alu instid0(VALU_DEP_3)
	v_lshlrev_b32_e32 v1, 4, v1
.LBB110_198:                            ; =>This Inner Loop Header: Depth=1
	ds_load_b128 v[13:16], v1
	v_add_nc_u32_e32 v1, 16, v1
	s_add_co_i32 s1, s1, -1
	s_wait_alu 0xfffe
	s_cmp_eq_u32 s1, 0
	s_wait_dscnt 0x0
	v_add_f64_e32 v[4:5], v[4:5], v[13:14]
	v_add_f64_e32 v[11:12], v[11:12], v[15:16]
	s_cbranch_scc0 .LBB110_198
; %bb.199:
	v_ashrrev_i32_e32 v10, 31, v9
	v_lshlrev_b32_e32 v0, 4, v0
	s_lshl_b32 s0, s0, 4
	s_delay_alu instid0(VALU_DEP_2) | instskip(SKIP_1) | instid1(VALU_DEP_2)
	v_lshlrev_b64_e32 v[1:2], 4, v[9:10]
	s_wait_alu 0xfffe
	v_add3_u32 v0, 0x4000, s0, v0
	s_mov_b32 s0, 0
	s_delay_alu instid0(VALU_DEP_2)
	v_add_co_u32 v8, vcc_lo, s20, v1
	s_wait_alu 0xfffd
	v_add_co_ci_u32_e64 v9, null, s21, v2, vcc_lo
	ds_load_2addr_b64 v[0:3], v0 offset1:1
	global_load_b64 v[6:7], v[8:9], off
	s_wait_dscnt 0x0
	v_add_f64_e32 v[0:1], v[4:5], v[0:1]
.LBB110_200:                            ; =>This Inner Loop Header: Depth=1
	s_wait_loadcnt 0x0
	s_delay_alu instid0(VALU_DEP_1)
	v_add_f64_e32 v[4:5], v[6:7], v[0:1]
	global_atomic_cmpswap_b64 v[4:5], v[8:9], v[4:7], off th:TH_ATOMIC_RETURN scope:SCOPE_DEV
	s_wait_loadcnt 0x0
	v_cmp_eq_u64_e32 vcc_lo, v[4:5], v[6:7]
	v_dual_mov_b32 v7, v5 :: v_dual_mov_b32 v6, v4
	s_wait_alu 0xfffe
	s_or_b32 s0, vcc_lo, s0
	s_wait_alu 0xfffe
	s_and_not1_b32 exec_lo, exec_lo, s0
	s_cbranch_execnz .LBB110_200
; %bb.201:
	s_or_b32 exec_lo, exec_lo, s0
	global_load_b64 v[4:5], v[8:9], off offset:8
	v_add_f64_e32 v[0:1], v[11:12], v[2:3]
	s_mov_b32 s0, 0
.LBB110_202:                            ; =>This Inner Loop Header: Depth=1
	s_wait_loadcnt 0x0
	s_delay_alu instid0(VALU_DEP_1)
	v_add_f64_e32 v[2:3], v[4:5], v[0:1]
	global_atomic_cmpswap_b64 v[2:3], v[8:9], v[2:5], off offset:8 th:TH_ATOMIC_RETURN scope:SCOPE_DEV
	s_wait_loadcnt 0x0
	v_cmp_eq_u64_e32 vcc_lo, v[2:3], v[4:5]
	v_dual_mov_b32 v5, v3 :: v_dual_mov_b32 v4, v2
	s_wait_alu 0xfffe
	s_or_b32 s0, vcc_lo, s0
	s_wait_alu 0xfffe
	s_and_not1_b32 exec_lo, exec_lo, s0
	s_cbranch_execnz .LBB110_202
.LBB110_203:
	s_endpgm
	.section	.rodata,"a",@progbits
	.p2align	6, 0x0
	.amdhsa_kernel _ZN9rocsparseL27csrmvn_symm_adaptive_kernelIii21rocsparse_complex_numIfES1_IdES3_S3_EEvbT_S4_PKS4_NS_24const_host_device_scalarIT4_EES6_PKT0_PKT1_PKT2_S9_PT3_21rocsparse_index_base_b
		.amdhsa_group_segment_fixed_size 16384
		.amdhsa_private_segment_fixed_size 0
		.amdhsa_kernarg_size 360
		.amdhsa_user_sgpr_count 2
		.amdhsa_user_sgpr_dispatch_ptr 0
		.amdhsa_user_sgpr_queue_ptr 0
		.amdhsa_user_sgpr_kernarg_segment_ptr 1
		.amdhsa_user_sgpr_dispatch_id 0
		.amdhsa_user_sgpr_private_segment_size 0
		.amdhsa_wavefront_size32 1
		.amdhsa_uses_dynamic_stack 0
		.amdhsa_enable_private_segment 0
		.amdhsa_system_sgpr_workgroup_id_x 1
		.amdhsa_system_sgpr_workgroup_id_y 0
		.amdhsa_system_sgpr_workgroup_id_z 0
		.amdhsa_system_sgpr_workgroup_info 0
		.amdhsa_system_vgpr_workitem_id 0
		.amdhsa_next_free_vgpr 35
		.amdhsa_next_free_sgpr 32
		.amdhsa_reserve_vcc 1
		.amdhsa_float_round_mode_32 0
		.amdhsa_float_round_mode_16_64 0
		.amdhsa_float_denorm_mode_32 3
		.amdhsa_float_denorm_mode_16_64 3
		.amdhsa_fp16_overflow 0
		.amdhsa_workgroup_processor_mode 1
		.amdhsa_memory_ordered 1
		.amdhsa_forward_progress 1
		.amdhsa_inst_pref_size 86
		.amdhsa_round_robin_scheduling 0
		.amdhsa_exception_fp_ieee_invalid_op 0
		.amdhsa_exception_fp_denorm_src 0
		.amdhsa_exception_fp_ieee_div_zero 0
		.amdhsa_exception_fp_ieee_overflow 0
		.amdhsa_exception_fp_ieee_underflow 0
		.amdhsa_exception_fp_ieee_inexact 0
		.amdhsa_exception_int_div_zero 0
	.end_amdhsa_kernel
	.section	.text._ZN9rocsparseL27csrmvn_symm_adaptive_kernelIii21rocsparse_complex_numIfES1_IdES3_S3_EEvbT_S4_PKS4_NS_24const_host_device_scalarIT4_EES6_PKT0_PKT1_PKT2_S9_PT3_21rocsparse_index_base_b,"axG",@progbits,_ZN9rocsparseL27csrmvn_symm_adaptive_kernelIii21rocsparse_complex_numIfES1_IdES3_S3_EEvbT_S4_PKS4_NS_24const_host_device_scalarIT4_EES6_PKT0_PKT1_PKT2_S9_PT3_21rocsparse_index_base_b,comdat
.Lfunc_end110:
	.size	_ZN9rocsparseL27csrmvn_symm_adaptive_kernelIii21rocsparse_complex_numIfES1_IdES3_S3_EEvbT_S4_PKS4_NS_24const_host_device_scalarIT4_EES6_PKT0_PKT1_PKT2_S9_PT3_21rocsparse_index_base_b, .Lfunc_end110-_ZN9rocsparseL27csrmvn_symm_adaptive_kernelIii21rocsparse_complex_numIfES1_IdES3_S3_EEvbT_S4_PKS4_NS_24const_host_device_scalarIT4_EES6_PKT0_PKT1_PKT2_S9_PT3_21rocsparse_index_base_b
                                        ; -- End function
	.set _ZN9rocsparseL27csrmvn_symm_adaptive_kernelIii21rocsparse_complex_numIfES1_IdES3_S3_EEvbT_S4_PKS4_NS_24const_host_device_scalarIT4_EES6_PKT0_PKT1_PKT2_S9_PT3_21rocsparse_index_base_b.num_vgpr, 35
	.set _ZN9rocsparseL27csrmvn_symm_adaptive_kernelIii21rocsparse_complex_numIfES1_IdES3_S3_EEvbT_S4_PKS4_NS_24const_host_device_scalarIT4_EES6_PKT0_PKT1_PKT2_S9_PT3_21rocsparse_index_base_b.num_agpr, 0
	.set _ZN9rocsparseL27csrmvn_symm_adaptive_kernelIii21rocsparse_complex_numIfES1_IdES3_S3_EEvbT_S4_PKS4_NS_24const_host_device_scalarIT4_EES6_PKT0_PKT1_PKT2_S9_PT3_21rocsparse_index_base_b.numbered_sgpr, 32
	.set _ZN9rocsparseL27csrmvn_symm_adaptive_kernelIii21rocsparse_complex_numIfES1_IdES3_S3_EEvbT_S4_PKS4_NS_24const_host_device_scalarIT4_EES6_PKT0_PKT1_PKT2_S9_PT3_21rocsparse_index_base_b.num_named_barrier, 0
	.set _ZN9rocsparseL27csrmvn_symm_adaptive_kernelIii21rocsparse_complex_numIfES1_IdES3_S3_EEvbT_S4_PKS4_NS_24const_host_device_scalarIT4_EES6_PKT0_PKT1_PKT2_S9_PT3_21rocsparse_index_base_b.private_seg_size, 0
	.set _ZN9rocsparseL27csrmvn_symm_adaptive_kernelIii21rocsparse_complex_numIfES1_IdES3_S3_EEvbT_S4_PKS4_NS_24const_host_device_scalarIT4_EES6_PKT0_PKT1_PKT2_S9_PT3_21rocsparse_index_base_b.uses_vcc, 1
	.set _ZN9rocsparseL27csrmvn_symm_adaptive_kernelIii21rocsparse_complex_numIfES1_IdES3_S3_EEvbT_S4_PKS4_NS_24const_host_device_scalarIT4_EES6_PKT0_PKT1_PKT2_S9_PT3_21rocsparse_index_base_b.uses_flat_scratch, 0
	.set _ZN9rocsparseL27csrmvn_symm_adaptive_kernelIii21rocsparse_complex_numIfES1_IdES3_S3_EEvbT_S4_PKS4_NS_24const_host_device_scalarIT4_EES6_PKT0_PKT1_PKT2_S9_PT3_21rocsparse_index_base_b.has_dyn_sized_stack, 0
	.set _ZN9rocsparseL27csrmvn_symm_adaptive_kernelIii21rocsparse_complex_numIfES1_IdES3_S3_EEvbT_S4_PKS4_NS_24const_host_device_scalarIT4_EES6_PKT0_PKT1_PKT2_S9_PT3_21rocsparse_index_base_b.has_recursion, 0
	.set _ZN9rocsparseL27csrmvn_symm_adaptive_kernelIii21rocsparse_complex_numIfES1_IdES3_S3_EEvbT_S4_PKS4_NS_24const_host_device_scalarIT4_EES6_PKT0_PKT1_PKT2_S9_PT3_21rocsparse_index_base_b.has_indirect_call, 0
	.section	.AMDGPU.csdata,"",@progbits
; Kernel info:
; codeLenInByte = 10912
; TotalNumSgprs: 34
; NumVgprs: 35
; ScratchSize: 0
; MemoryBound: 0
; FloatMode: 240
; IeeeMode: 1
; LDSByteSize: 16384 bytes/workgroup (compile time only)
; SGPRBlocks: 0
; VGPRBlocks: 4
; NumSGPRsForWavesPerEU: 34
; NumVGPRsForWavesPerEU: 35
; Occupancy: 16
; WaveLimiterHint : 1
; COMPUTE_PGM_RSRC2:SCRATCH_EN: 0
; COMPUTE_PGM_RSRC2:USER_SGPR: 2
; COMPUTE_PGM_RSRC2:TRAP_HANDLER: 0
; COMPUTE_PGM_RSRC2:TGID_X_EN: 1
; COMPUTE_PGM_RSRC2:TGID_Y_EN: 0
; COMPUTE_PGM_RSRC2:TGID_Z_EN: 0
; COMPUTE_PGM_RSRC2:TIDIG_COMP_CNT: 0
	.section	.text._ZL33csrmvn_symm_large_adaptive_kernelIii21rocsparse_complex_numIfES0_IdES2_S2_EvbT_PKS3_N9rocsparse24const_host_device_scalarIT4_EES5_PKT0_PKT1_PKT2_S9_PT3_21rocsparse_index_base_b,"axG",@progbits,_ZL33csrmvn_symm_large_adaptive_kernelIii21rocsparse_complex_numIfES0_IdES2_S2_EvbT_PKS3_N9rocsparse24const_host_device_scalarIT4_EES5_PKT0_PKT1_PKT2_S9_PT3_21rocsparse_index_base_b,comdat
	.globl	_ZL33csrmvn_symm_large_adaptive_kernelIii21rocsparse_complex_numIfES0_IdES2_S2_EvbT_PKS3_N9rocsparse24const_host_device_scalarIT4_EES5_PKT0_PKT1_PKT2_S9_PT3_21rocsparse_index_base_b ; -- Begin function _ZL33csrmvn_symm_large_adaptive_kernelIii21rocsparse_complex_numIfES0_IdES2_S2_EvbT_PKS3_N9rocsparse24const_host_device_scalarIT4_EES5_PKT0_PKT1_PKT2_S9_PT3_21rocsparse_index_base_b
	.p2align	8
	.type	_ZL33csrmvn_symm_large_adaptive_kernelIii21rocsparse_complex_numIfES0_IdES2_S2_EvbT_PKS3_N9rocsparse24const_host_device_scalarIT4_EES5_PKT0_PKT1_PKT2_S9_PT3_21rocsparse_index_base_b,@function
_ZL33csrmvn_symm_large_adaptive_kernelIii21rocsparse_complex_numIfES0_IdES2_S2_EvbT_PKS3_N9rocsparse24const_host_device_scalarIT4_EES5_PKT0_PKT1_PKT2_S9_PT3_21rocsparse_index_base_b: ; @_ZL33csrmvn_symm_large_adaptive_kernelIii21rocsparse_complex_numIfES0_IdES2_S2_EvbT_PKS3_N9rocsparse24const_host_device_scalarIT4_EES5_PKT0_PKT1_PKT2_S9_PT3_21rocsparse_index_base_b
; %bb.0:
	s_clause 0x1
	s_load_b64 s[6:7], s[0:1], 0x58
	s_load_b64 s[4:5], s[0:1], 0x10
	s_add_nc_u64 s[8:9], s[0:1], 16
	s_wait_kmcnt 0x0
	s_bitcmp1_b32 s7, 0
	s_cselect_b32 s3, -1, 0
	s_delay_alu instid0(SALU_CYCLE_1) | instskip(SKIP_2) | instid1(SALU_CYCLE_1)
	s_and_b32 s2, s3, exec_lo
	s_cselect_b32 s2, s8, s4
	s_cselect_b32 s4, s9, s5
	v_dual_mov_b32 v1, s2 :: v_dual_mov_b32 v2, s4
	flat_load_b128 v[1:4], v[1:2]
	s_wait_loadcnt_dscnt 0x0
	v_cmp_eq_f64_e32 vcc_lo, 0, v[1:2]
	v_cmp_eq_f64_e64 s2, 0, v[3:4]
	s_and_b32 s5, vcc_lo, s2
	s_mov_b32 s2, -1
	s_wait_alu 0xfffe
	s_and_saveexec_b32 s4, s5
	s_cbranch_execz .LBB111_2
; %bb.1:
	s_load_b64 s[8:9], s[0:1], 0x40
	s_add_nc_u64 s[10:11], s[0:1], 64
	s_and_b32 s2, s3, exec_lo
	s_wait_kmcnt 0x0
	s_cselect_b32 s2, s10, s8
	s_cselect_b32 s3, s11, s9
	s_wait_alu 0xfffe
	v_dual_mov_b32 v5, s2 :: v_dual_mov_b32 v6, s3
	flat_load_b128 v[5:8], v[5:6]
	s_wait_loadcnt_dscnt 0x0
	v_cmp_neq_f64_e32 vcc_lo, 1.0, v[5:6]
	v_cmp_neq_f64_e64 s2, 0, v[7:8]
	s_or_b32 s2, vcc_lo, s2
	s_wait_alu 0xfffe
	s_or_not1_b32 s2, s2, exec_lo
.LBB111_2:
	s_wait_alu 0xfffe
	s_or_b32 exec_lo, exec_lo, s4
	s_and_saveexec_b32 s3, s2
	s_cbranch_execz .LBB111_43
; %bb.3:
	s_clause 0x1
	s_load_b32 s3, s[0:1], 0x0
	s_load_b64 s[4:5], s[0:1], 0x8
	s_mov_b32 s8, 0
	s_mov_b32 s2, ttmp9
	s_mov_b32 s9, s8
	s_mov_b32 s10, s8
	;; [unrolled: 1-line block ×3, first 2 shown]
	s_delay_alu instid0(SALU_CYCLE_1)
	v_dual_mov_b32 v5, s8 :: v_dual_mov_b32 v8, s11
	v_dual_mov_b32 v6, s9 :: v_dual_lshlrev_b32 v15, 4, v0
	v_mov_b32_e32 v7, s10
	ds_store_b128 v15, v[5:8]
	ds_store_b128 v15, v[5:8] offset:4096
	ds_store_b128 v15, v[5:8] offset:8192
	ds_store_b128 v15, v[5:8] offset:12288
	s_wait_dscnt 0x0
	s_barrier_signal -1
	s_barrier_wait -1
	s_wait_kmcnt 0x0
	s_bitcmp1_b32 s3, 0
	global_inv scope:SCOPE_SE
	s_cselect_b32 s7, -1, 0
	s_ashr_i32 s3, ttmp9, 31
	v_subrev_nc_u32_e32 v16, s6, v0
	s_wait_alu 0xfffe
	s_lshl_b64 s[2:3], s[2:3], 2
	s_wait_alu 0xfffe
	s_add_nc_u64 s[2:3], s[4:5], s[2:3]
	s_load_b64 s[16:17], s[2:3], 0x0
	s_clause 0x1
	s_load_b64 s[18:19], s[0:1], 0x50
	s_load_b256 s[8:15], s[0:1], 0x20
	s_wait_kmcnt 0x0
	s_cmp_ge_i32 s16, s17
	s_cbranch_scc1 .LBB111_31
; %bb.4:
	v_cmp_gt_u32_e32 vcc_lo, 64, v0
	v_cmp_gt_u32_e64 s0, 16, v0
	v_cmp_gt_u32_e64 s1, 4, v0
	v_cmp_eq_u32_e64 s2, 0, v0
	v_mov_b32_e32 v0, 0
	s_add_nc_u64 s[20:21], s[12:13], 4
	s_mov_b32 s22, s16
	s_branch .LBB111_6
.LBB111_5:                              ;   in Loop: Header=BB111_6 Depth=1
	s_wait_alu 0xfffe
	s_or_b32 exec_lo, exec_lo, s24
	s_add_co_i32 s22, s22, 1
	s_wait_alu 0xfffe
	s_cmp_ge_i32 s22, s17
	s_cbranch_scc1 .LBB111_31
.LBB111_6:                              ; =>This Loop Header: Depth=1
                                        ;     Child Loop BB111_8 Depth 2
                                        ;     Child Loop BB111_20 Depth 2
	;; [unrolled: 1-line block ×5, first 2 shown]
	s_ashr_i32 s23, s22, 31
	v_mov_b32_e32 v7, 0
	s_wait_alu 0xfffe
	s_lshl_b64 s[4:5], s[22:23], 2
	v_mov_b32_e32 v5, 0
	s_wait_alu 0xfffe
	s_add_nc_u64 s[4:5], s[8:9], s[4:5]
	v_mov_b32_e32 v6, 0
	s_load_b64 s[4:5], s[4:5], 0x0
	s_wait_kmcnt 0x0
	v_dual_mov_b32 v8, 0 :: v_dual_add_nc_u32 v9, s4, v16
	s_sub_co_i32 s24, s5, s6
	s_mov_b32 s5, exec_lo
	s_wait_alu 0xfffe
	s_delay_alu instid0(VALU_DEP_1)
	v_cmpx_gt_i32_e64 s24, v9
	s_cbranch_execz .LBB111_10
; %bb.7:                                ;   in Loop: Header=BB111_6 Depth=1
	v_ashrrev_i32_e32 v10, 31, v9
	v_mov_b32_e32 v7, 0
	v_mov_b32_e32 v8, 0
	s_mov_b32 s25, 0
	s_delay_alu instid0(VALU_DEP_3) | instskip(SKIP_1) | instid1(VALU_DEP_2)
	v_lshlrev_b64_e32 v[5:6], 2, v[9:10]
	v_lshlrev_b64_e32 v[12:13], 3, v[9:10]
	v_add_co_u32 v10, s3, s10, v5
	s_wait_alu 0xf1ff
	s_delay_alu instid0(VALU_DEP_3) | instskip(NEXT) | instid1(VALU_DEP_3)
	v_add_co_ci_u32_e64 v11, null, s11, v6, s3
	v_add_co_u32 v12, s3, s20, v12
	s_wait_alu 0xf1ff
	v_add_co_ci_u32_e64 v13, null, s21, v13, s3
	v_dual_mov_b32 v5, v7 :: v_dual_mov_b32 v6, v8
.LBB111_8:                              ;   Parent Loop BB111_6 Depth=1
                                        ; =>  This Inner Loop Header: Depth=2
	global_load_b32 v14, v[10:11], off
	global_load_b64 v[21:22], v[12:13], off offset:-4
	v_add_nc_u32_e32 v9, 0x100, v9
	v_add_co_u32 v12, s4, 0x800, v12
	s_wait_alu 0xf1ff
	v_add_co_ci_u32_e64 v13, null, 0, v13, s4
	s_wait_loadcnt 0x1
	v_subrev_nc_u32_e32 v17, s6, v14
	s_wait_loadcnt 0x0
	v_cndmask_b32_e64 v14, v22, -v22, s7
	v_cvt_f64_f32_e32 v[21:22], v21
	s_delay_alu instid0(VALU_DEP_3) | instskip(NEXT) | instid1(VALU_DEP_3)
	v_ashrrev_i32_e32 v18, 31, v17
	v_cvt_f64_f32_e32 v[23:24], v14
	s_delay_alu instid0(VALU_DEP_2) | instskip(NEXT) | instid1(VALU_DEP_1)
	v_lshlrev_b64_e32 v[17:18], 4, v[17:18]
	v_add_co_u32 v17, s3, s14, v17
	s_wait_alu 0xf1ff
	s_delay_alu instid0(VALU_DEP_2)
	v_add_co_ci_u32_e64 v18, null, s15, v18, s3
	v_add_co_u32 v10, s3, 0x400, v10
	s_wait_alu 0xf1ff
	v_add_co_ci_u32_e64 v11, null, 0, v11, s3
	global_load_b128 v[17:20], v[17:18], off
	v_cmp_le_i32_e64 s3, s24, v9
	s_wait_alu 0xfffe
	s_or_b32 s25, s3, s25
	s_wait_loadcnt 0x0
	v_fma_f64 v[5:6], v[21:22], v[17:18], v[5:6]
	v_fma_f64 v[7:8], v[23:24], v[17:18], v[7:8]
	s_delay_alu instid0(VALU_DEP_2) | instskip(NEXT) | instid1(VALU_DEP_2)
	v_fma_f64 v[5:6], -v[23:24], v[19:20], v[5:6]
	v_fma_f64 v[7:8], v[21:22], v[19:20], v[7:8]
	s_wait_alu 0xfffe
	s_and_not1_b32 exec_lo, exec_lo, s25
	s_cbranch_execnz .LBB111_8
; %bb.9:                                ;   in Loop: Header=BB111_6 Depth=1
	s_or_b32 exec_lo, exec_lo, s25
.LBB111_10:                             ;   in Loop: Header=BB111_6 Depth=1
	s_wait_alu 0xfffe
	s_or_b32 exec_lo, exec_lo, s5
	ds_store_b128 v15, v[5:8]
	s_wait_loadcnt_dscnt 0x0
	s_barrier_signal -1
	s_barrier_wait -1
	global_inv scope:SCOPE_SE
	ds_load_b128 v[5:8], v15 offset:4096
	ds_load_b128 v[9:12], v15 offset:8192
	;; [unrolled: 1-line block ×3, first 2 shown]
	ds_load_b128 v[21:24], v15
	s_wait_dscnt 0x2
	v_add_f64_e32 v[5:6], v[9:10], v[5:6]
	v_add_f64_e32 v[7:8], v[11:12], v[7:8]
	s_wait_dscnt 0x1
	s_delay_alu instid0(VALU_DEP_2) | instskip(NEXT) | instid1(VALU_DEP_2)
	v_add_f64_e32 v[5:6], v[5:6], v[17:18]
	v_add_f64_e32 v[7:8], v[7:8], v[19:20]
	s_wait_dscnt 0x0
	s_delay_alu instid0(VALU_DEP_2) | instskip(NEXT) | instid1(VALU_DEP_2)
	v_add_f64_e32 v[5:6], v[5:6], v[21:22]
	v_add_f64_e32 v[7:8], v[7:8], v[23:24]
	ds_store_b128 v15, v[5:8]
	s_wait_loadcnt_dscnt 0x0
	s_barrier_signal -1
	s_barrier_wait -1
	global_inv scope:SCOPE_SE
	s_and_saveexec_b32 s3, vcc_lo
	s_cbranch_execz .LBB111_12
; %bb.11:                               ;   in Loop: Header=BB111_6 Depth=1
	ds_load_b128 v[5:8], v15 offset:1024
	ds_load_b128 v[9:12], v15 offset:2048
	ds_load_b128 v[17:20], v15 offset:3072
	ds_load_b128 v[21:24], v15
	s_wait_dscnt 0x2
	v_add_f64_e32 v[5:6], v[9:10], v[5:6]
	v_add_f64_e32 v[7:8], v[11:12], v[7:8]
	s_wait_dscnt 0x1
	s_delay_alu instid0(VALU_DEP_2) | instskip(NEXT) | instid1(VALU_DEP_2)
	v_add_f64_e32 v[5:6], v[5:6], v[17:18]
	v_add_f64_e32 v[7:8], v[7:8], v[19:20]
	s_wait_dscnt 0x0
	s_delay_alu instid0(VALU_DEP_2) | instskip(NEXT) | instid1(VALU_DEP_2)
	v_add_f64_e32 v[5:6], v[5:6], v[21:22]
	v_add_f64_e32 v[7:8], v[7:8], v[23:24]
	ds_store_b128 v15, v[5:8]
.LBB111_12:                             ;   in Loop: Header=BB111_6 Depth=1
	s_wait_alu 0xfffe
	s_or_b32 exec_lo, exec_lo, s3
	s_wait_loadcnt_dscnt 0x0
	s_barrier_signal -1
	s_barrier_wait -1
	global_inv scope:SCOPE_SE
	s_and_saveexec_b32 s3, s0
	s_cbranch_execz .LBB111_14
; %bb.13:                               ;   in Loop: Header=BB111_6 Depth=1
	ds_load_b128 v[5:8], v15 offset:256
	ds_load_b128 v[9:12], v15 offset:512
	ds_load_b128 v[17:20], v15 offset:768
	ds_load_b128 v[21:24], v15
	s_wait_dscnt 0x2
	v_add_f64_e32 v[5:6], v[9:10], v[5:6]
	v_add_f64_e32 v[7:8], v[11:12], v[7:8]
	s_wait_dscnt 0x1
	s_delay_alu instid0(VALU_DEP_2) | instskip(NEXT) | instid1(VALU_DEP_2)
	v_add_f64_e32 v[5:6], v[5:6], v[17:18]
	v_add_f64_e32 v[7:8], v[7:8], v[19:20]
	s_wait_dscnt 0x0
	s_delay_alu instid0(VALU_DEP_2) | instskip(NEXT) | instid1(VALU_DEP_2)
	v_add_f64_e32 v[5:6], v[5:6], v[21:22]
	v_add_f64_e32 v[7:8], v[7:8], v[23:24]
	ds_store_b128 v15, v[5:8]
.LBB111_14:                             ;   in Loop: Header=BB111_6 Depth=1
	s_wait_alu 0xfffe
	s_or_b32 exec_lo, exec_lo, s3
	s_wait_loadcnt_dscnt 0x0
	s_barrier_signal -1
	s_barrier_wait -1
	global_inv scope:SCOPE_SE
	s_and_saveexec_b32 s3, s1
	;; [unrolled: 26-line block ×4, first 2 shown]
	s_cbranch_execz .LBB111_5
; %bb.19:                               ;   in Loop: Header=BB111_6 Depth=1
	ds_load_b128 v[5:8], v0
	v_mov_b32_e32 v13, 0
	v_bfrev_b32_e32 v14, 1
	s_mov_b32 s3, exec_lo
	s_wait_dscnt 0x0
	v_mul_f64_e64 v[9:10], v[7:8], -v[3:4]
	s_delay_alu instid0(VALU_DEP_1)
	v_fma_f64 v[9:10], v[1:2], v[5:6], v[9:10]
.LBB111_20:                             ;   Parent Loop BB111_6 Depth=1
                                        ; =>  This Inner Loop Header: Depth=2
	s_wait_alu 0xfffe
	s_ctz_i32_b32 s25, s3
	s_wait_alu 0xfffe
	s_delay_alu instid0(VALU_DEP_1) | instskip(NEXT) | instid1(VALU_DEP_2)
	v_readlane_b32 s5, v10, s25
	v_readlane_b32 s4, v9, s25
	s_wait_alu 0xf1ff
	s_delay_alu instid0(VALU_DEP_1)
	v_add_f64_e32 v[13:14], s[4:5], v[13:14]
	s_lshl_b32 s4, 1, s25
	s_wait_alu 0xfffe
	s_and_not1_b32 s3, s3, s4
	s_wait_alu 0xfffe
	s_cmp_lg_u32 s3, 0
	s_cbranch_scc1 .LBB111_20
; %bb.21:                               ;   in Loop: Header=BB111_6 Depth=1
	v_mbcnt_lo_u32_b32 v9, exec_lo, 0
	s_lshl_b64 s[4:5], s[22:23], 4
	s_mov_b32 s23, exec_lo
	s_wait_alu 0xfffe
	s_add_nc_u64 s[4:5], s[18:19], s[4:5]
	v_cmpx_eq_u32_e32 0, v9
	s_xor_b32 s23, exec_lo, s23
	s_cbranch_execz .LBB111_25
; %bb.22:                               ;   in Loop: Header=BB111_6 Depth=1
	global_load_b64 v[11:12], v0, s[4:5]
	s_mov_b32 s25, 0
.LBB111_23:                             ;   Parent Loop BB111_6 Depth=1
                                        ; =>  This Inner Loop Header: Depth=2
	s_wait_loadcnt 0x0
	v_add_f64_e32 v[9:10], v[11:12], v[13:14]
	global_atomic_cmpswap_b64 v[9:10], v0, v[9:12], s[4:5] th:TH_ATOMIC_RETURN scope:SCOPE_DEV
	s_wait_loadcnt 0x0
	v_cmp_eq_u64_e64 s3, v[9:10], v[11:12]
	v_dual_mov_b32 v12, v10 :: v_dual_mov_b32 v11, v9
	s_wait_alu 0xfffe
	s_or_b32 s25, s3, s25
	s_wait_alu 0xfffe
	s_and_not1_b32 exec_lo, exec_lo, s25
	s_cbranch_execnz .LBB111_23
; %bb.24:                               ;   in Loop: Header=BB111_6 Depth=1
	s_or_b32 exec_lo, exec_lo, s25
.LBB111_25:                             ;   in Loop: Header=BB111_6 Depth=1
	s_wait_alu 0xfffe
	s_or_b32 exec_lo, exec_lo, s23
	v_mul_f64_e32 v[7:8], v[1:2], v[7:8]
	v_mov_b32_e32 v9, 0
	v_bfrev_b32_e32 v10, 1
	s_mov_b32 s3, exec_lo
	s_delay_alu instid0(VALU_DEP_3)
	v_fma_f64 v[5:6], v[3:4], v[5:6], v[7:8]
.LBB111_26:                             ;   Parent Loop BB111_6 Depth=1
                                        ; =>  This Inner Loop Header: Depth=2
	s_wait_alu 0xfffe
	s_ctz_i32_b32 s23, s3
	s_wait_alu 0xfffe
	s_delay_alu instid0(VALU_DEP_1) | instskip(NEXT) | instid1(VALU_DEP_2)
	v_readlane_b32 s27, v6, s23
	v_readlane_b32 s26, v5, s23
	s_lshl_b32 s23, 1, s23
	s_wait_alu 0xfffe
	s_and_not1_b32 s3, s3, s23
	v_add_f64_e32 v[9:10], s[26:27], v[9:10]
	s_wait_alu 0xfffe
	s_cmp_lg_u32 s3, 0
	s_cbranch_scc1 .LBB111_26
; %bb.27:                               ;   in Loop: Header=BB111_6 Depth=1
	v_mbcnt_lo_u32_b32 v5, exec_lo, 0
	s_mov_b32 s23, exec_lo
	s_delay_alu instid0(VALU_DEP_1)
	v_cmpx_eq_u32_e32 0, v5
	s_wait_alu 0xfffe
	s_xor_b32 s23, exec_lo, s23
	s_cbranch_execz .LBB111_5
; %bb.28:                               ;   in Loop: Header=BB111_6 Depth=1
	global_load_b64 v[7:8], v0, s[4:5] offset:8
	s_mov_b32 s23, 0
.LBB111_29:                             ;   Parent Loop BB111_6 Depth=1
                                        ; =>  This Inner Loop Header: Depth=2
	s_wait_loadcnt 0x0
	v_add_f64_e32 v[5:6], v[7:8], v[9:10]
	global_atomic_cmpswap_b64 v[5:6], v0, v[5:8], s[4:5] offset:8 th:TH_ATOMIC_RETURN scope:SCOPE_DEV
	s_wait_loadcnt 0x0
	v_cmp_eq_u64_e64 s3, v[5:6], v[7:8]
	v_dual_mov_b32 v8, v6 :: v_dual_mov_b32 v7, v5
	s_wait_alu 0xfffe
	s_or_b32 s23, s3, s23
	s_wait_alu 0xfffe
	s_and_not1_b32 exec_lo, exec_lo, s23
	s_cbranch_execnz .LBB111_29
; %bb.30:                               ;   in Loop: Header=BB111_6 Depth=1
	s_or_b32 exec_lo, exec_lo, s23
	s_branch .LBB111_5
.LBB111_31:
	s_ashr_i32 s1, s16, 31
	s_mov_b32 s0, s16
	s_ashr_i32 s3, s17, 31
	s_lshl_b64 s[0:1], s[0:1], 2
	s_mov_b32 s2, s17
	s_add_nc_u64 s[0:1], s[8:9], s[0:1]
	s_wait_alu 0xfffe
	s_lshl_b64 s[2:3], s[2:3], 2
	s_load_b32 s4, s[0:1], 0x0
	s_add_nc_u64 s[0:1], s[8:9], s[2:3]
	s_load_b32 s0, s[0:1], 0x0
	s_wait_kmcnt 0x0
	v_add_nc_u32_e32 v13, s4, v16
	s_sub_co_i32 s1, s0, s6
	s_delay_alu instid0(VALU_DEP_1) | instid1(SALU_CYCLE_1)
	v_cmp_gt_i32_e32 vcc_lo, s1, v13
	s_and_b32 exec_lo, exec_lo, vcc_lo
	s_cbranch_execz .LBB111_43
; %bb.32:
	s_add_co_i32 s2, s17, -1
	s_mov_b32 s4, 0
	s_wait_alu 0xfffe
	s_cmp_lt_i32 s16, s2
	s_cselect_b32 s0, -1, 0
	s_add_co_i32 s3, s17, -2
	s_wait_alu 0xfffe
	s_cmp_lg_u32 s16, s3
	s_cselect_b32 s3, -1, 0
	s_wait_alu 0xfffe
	s_and_b32 s3, s0, s3
	s_branch .LBB111_34
.LBB111_33:                             ;   in Loop: Header=BB111_34 Depth=1
	s_wait_alu 0xfffe
	s_or_b32 exec_lo, exec_lo, s0
	v_add_nc_u32_e32 v13, 0x100, v13
	s_delay_alu instid0(VALU_DEP_1)
	v_cmp_le_i32_e32 vcc_lo, s1, v13
	s_or_b32 s4, vcc_lo, s4
	s_wait_alu 0xfffe
	s_and_not1_b32 exec_lo, exec_lo, s4
	s_cbranch_execz .LBB111_43
.LBB111_34:                             ; =>This Loop Header: Depth=1
                                        ;     Child Loop BB111_36 Depth 2
                                        ;     Child Loop BB111_40 Depth 2
	;; [unrolled: 1-line block ×3, first 2 shown]
	v_dual_mov_b32 v0, s16 :: v_dual_mov_b32 v5, s2
	s_wait_alu 0xfffe
	s_and_not1_b32 vcc_lo, exec_lo, s3
	s_wait_alu 0xfffe
	s_cbranch_vccnz .LBB111_38
; %bb.35:                               ;   in Loop: Header=BB111_34 Depth=1
	v_dual_mov_b32 v0, s16 :: v_dual_mov_b32 v5, s2
	s_mov_b32 s5, 0
.LBB111_36:                             ;   Parent Loop BB111_34 Depth=1
                                        ; =>  This Inner Loop Header: Depth=2
	s_delay_alu instid0(VALU_DEP_1) | instskip(NEXT) | instid1(VALU_DEP_1)
	v_add_nc_u32_e32 v6, v5, v0
	v_lshrrev_b32_e32 v7, 31, v6
	s_delay_alu instid0(VALU_DEP_1) | instskip(NEXT) | instid1(VALU_DEP_1)
	v_add_nc_u32_e32 v6, v6, v7
	v_ashrrev_i32_e32 v6, 1, v6
	s_delay_alu instid0(VALU_DEP_1) | instskip(NEXT) | instid1(VALU_DEP_1)
	v_ashrrev_i32_e32 v7, 31, v6
	v_lshlrev_b64_e32 v[7:8], 2, v[6:7]
	s_delay_alu instid0(VALU_DEP_1) | instskip(SKIP_1) | instid1(VALU_DEP_2)
	v_add_co_u32 v7, vcc_lo, s8, v7
	s_wait_alu 0xfffd
	v_add_co_ci_u32_e64 v8, null, s9, v8, vcc_lo
	global_load_b32 v7, v[7:8], off
	s_wait_loadcnt 0x0
	v_subrev_nc_u32_e32 v7, s6, v7
	s_delay_alu instid0(VALU_DEP_1) | instskip(SKIP_2) | instid1(VALU_DEP_1)
	v_cmp_lt_i32_e32 vcc_lo, v13, v7
	s_wait_alu 0xfffd
	v_dual_cndmask_b32 v5, v5, v6 :: v_dual_cndmask_b32 v0, v6, v0
	v_add_nc_u32_e32 v6, -1, v5
	s_delay_alu instid0(VALU_DEP_2) | instskip(NEXT) | instid1(VALU_DEP_2)
	v_cmp_ge_i32_e32 vcc_lo, v0, v5
	v_cmp_eq_u32_e64 s0, v0, v6
	s_or_b32 s0, vcc_lo, s0
	s_wait_alu 0xfffe
	s_and_b32 s0, exec_lo, s0
	s_wait_alu 0xfffe
	s_or_b32 s5, s0, s5
	s_wait_alu 0xfffe
	s_and_not1_b32 exec_lo, exec_lo, s5
	s_cbranch_execnz .LBB111_36
; %bb.37:                               ;   in Loop: Header=BB111_34 Depth=1
	s_or_b32 exec_lo, exec_lo, s5
.LBB111_38:                             ;   in Loop: Header=BB111_34 Depth=1
	v_ashrrev_i32_e32 v6, 31, v5
	v_ashrrev_i32_e32 v14, 31, v13
	s_mov_b32 s0, exec_lo
	s_delay_alu instid0(VALU_DEP_2) | instskip(NEXT) | instid1(VALU_DEP_2)
	v_lshlrev_b64_e32 v[6:7], 2, v[5:6]
	v_lshlrev_b64_e32 v[8:9], 2, v[13:14]
	s_delay_alu instid0(VALU_DEP_2) | instskip(SKIP_1) | instid1(VALU_DEP_3)
	v_add_co_u32 v6, vcc_lo, s8, v6
	s_wait_alu 0xfffd
	v_add_co_ci_u32_e64 v7, null, s9, v7, vcc_lo
	global_load_b32 v10, v[6:7], off
	v_add_co_u32 v6, vcc_lo, s10, v8
	s_wait_alu 0xfffd
	v_add_co_ci_u32_e64 v7, null, s11, v9, vcc_lo
	global_load_b32 v6, v[6:7], off
	s_wait_loadcnt 0x1
	v_subrev_nc_u32_e32 v7, s6, v10
	s_delay_alu instid0(VALU_DEP_1) | instskip(SKIP_4) | instid1(VALU_DEP_1)
	v_cmp_lt_i32_e32 vcc_lo, v13, v7
	s_wait_loadcnt 0x0
	v_subrev_nc_u32_e32 v9, s6, v6
	s_wait_alu 0xfffd
	v_cndmask_b32_e32 v5, v5, v0, vcc_lo
	v_cmpx_ne_u32_e64 v9, v5
	s_cbranch_execz .LBB111_33
; %bb.39:                               ;   in Loop: Header=BB111_34 Depth=1
	v_lshlrev_b64_e32 v[6:7], 3, v[13:14]
	v_ashrrev_i32_e32 v10, 31, v9
	s_mov_b32 s5, 0
	s_delay_alu instid0(VALU_DEP_1) | instskip(NEXT) | instid1(VALU_DEP_3)
	v_lshlrev_b64_e32 v[9:10], 4, v[9:10]
	v_add_co_u32 v6, vcc_lo, s12, v6
	s_wait_alu 0xfffd
	v_add_co_ci_u32_e64 v7, null, s13, v7, vcc_lo
	global_load_b64 v[16:17], v[6:7], off
	v_ashrrev_i32_e32 v6, 31, v5
	s_delay_alu instid0(VALU_DEP_1) | instskip(NEXT) | instid1(VALU_DEP_1)
	v_lshlrev_b64_e32 v[5:6], 4, v[5:6]
	v_add_co_u32 v5, vcc_lo, s14, v5
	s_wait_alu 0xfffd
	s_delay_alu instid0(VALU_DEP_2)
	v_add_co_ci_u32_e64 v6, null, s15, v6, vcc_lo
	v_add_co_u32 v14, vcc_lo, s18, v9
	s_wait_alu 0xfffd
	v_add_co_ci_u32_e64 v15, null, s19, v10, vcc_lo
	global_load_b128 v[5:8], v[5:6], off
	global_load_b64 v[11:12], v[14:15], off
	s_wait_loadcnt 0x2
	v_cndmask_b32_e64 v0, v17, -v17, s7
	v_cvt_f64_f32_e32 v[18:19], v16
	s_delay_alu instid0(VALU_DEP_2) | instskip(NEXT) | instid1(VALU_DEP_1)
	v_cvt_f64_f32_e32 v[9:10], v0
	v_mul_f64_e32 v[16:17], v[1:2], v[9:10]
	v_mul_f64_e64 v[9:10], -v[3:4], v[9:10]
	s_delay_alu instid0(VALU_DEP_2) | instskip(NEXT) | instid1(VALU_DEP_2)
	v_fma_f64 v[16:17], v[3:4], v[18:19], v[16:17]
	v_fma_f64 v[18:19], v[1:2], v[18:19], v[9:10]
	s_wait_loadcnt 0x1
	s_delay_alu instid0(VALU_DEP_2) | instskip(NEXT) | instid1(VALU_DEP_1)
	v_mul_f64_e64 v[9:10], v[7:8], -v[16:17]
	v_fma_f64 v[20:21], v[18:19], v[5:6], v[9:10]
.LBB111_40:                             ;   Parent Loop BB111_34 Depth=1
                                        ; =>  This Inner Loop Header: Depth=2
	s_wait_loadcnt 0x0
	s_delay_alu instid0(VALU_DEP_1)
	v_add_f64_e32 v[9:10], v[11:12], v[20:21]
	global_atomic_cmpswap_b64 v[9:10], v[14:15], v[9:12], off th:TH_ATOMIC_RETURN scope:SCOPE_DEV
	s_wait_loadcnt 0x0
	v_cmp_eq_u64_e32 vcc_lo, v[9:10], v[11:12]
	v_dual_mov_b32 v12, v10 :: v_dual_mov_b32 v11, v9
	s_wait_alu 0xfffe
	s_or_b32 s5, vcc_lo, s5
	s_wait_alu 0xfffe
	s_and_not1_b32 exec_lo, exec_lo, s5
	s_cbranch_execnz .LBB111_40
; %bb.41:                               ;   in Loop: Header=BB111_34 Depth=1
	s_or_b32 exec_lo, exec_lo, s5
	global_load_b64 v[9:10], v[14:15], off offset:8
	v_mul_f64_e32 v[7:8], v[7:8], v[18:19]
	s_mov_b32 s5, 0
	s_delay_alu instid0(VALU_DEP_1)
	v_fma_f64 v[5:6], v[16:17], v[5:6], v[7:8]
.LBB111_42:                             ;   Parent Loop BB111_34 Depth=1
                                        ; =>  This Inner Loop Header: Depth=2
	s_wait_loadcnt 0x0
	s_delay_alu instid0(VALU_DEP_1)
	v_add_f64_e32 v[7:8], v[9:10], v[5:6]
	global_atomic_cmpswap_b64 v[7:8], v[14:15], v[7:10], off offset:8 th:TH_ATOMIC_RETURN scope:SCOPE_DEV
	s_wait_loadcnt 0x0
	v_cmp_eq_u64_e32 vcc_lo, v[7:8], v[9:10]
	v_dual_mov_b32 v10, v8 :: v_dual_mov_b32 v9, v7
	s_wait_alu 0xfffe
	s_or_b32 s5, vcc_lo, s5
	s_wait_alu 0xfffe
	s_and_not1_b32 exec_lo, exec_lo, s5
	s_cbranch_execnz .LBB111_42
	s_branch .LBB111_33
.LBB111_43:
	s_endpgm
	.section	.rodata,"a",@progbits
	.p2align	6, 0x0
	.amdhsa_kernel _ZL33csrmvn_symm_large_adaptive_kernelIii21rocsparse_complex_numIfES0_IdES2_S2_EvbT_PKS3_N9rocsparse24const_host_device_scalarIT4_EES5_PKT0_PKT1_PKT2_S9_PT3_21rocsparse_index_base_b
		.amdhsa_group_segment_fixed_size 16384
		.amdhsa_private_segment_fixed_size 0
		.amdhsa_kernarg_size 96
		.amdhsa_user_sgpr_count 2
		.amdhsa_user_sgpr_dispatch_ptr 0
		.amdhsa_user_sgpr_queue_ptr 0
		.amdhsa_user_sgpr_kernarg_segment_ptr 1
		.amdhsa_user_sgpr_dispatch_id 0
		.amdhsa_user_sgpr_private_segment_size 0
		.amdhsa_wavefront_size32 1
		.amdhsa_uses_dynamic_stack 0
		.amdhsa_enable_private_segment 0
		.amdhsa_system_sgpr_workgroup_id_x 1
		.amdhsa_system_sgpr_workgroup_id_y 0
		.amdhsa_system_sgpr_workgroup_id_z 0
		.amdhsa_system_sgpr_workgroup_info 0
		.amdhsa_system_vgpr_workitem_id 0
		.amdhsa_next_free_vgpr 25
		.amdhsa_next_free_sgpr 28
		.amdhsa_reserve_vcc 1
		.amdhsa_float_round_mode_32 0
		.amdhsa_float_round_mode_16_64 0
		.amdhsa_float_denorm_mode_32 3
		.amdhsa_float_denorm_mode_16_64 3
		.amdhsa_fp16_overflow 0
		.amdhsa_workgroup_processor_mode 1
		.amdhsa_memory_ordered 1
		.amdhsa_forward_progress 1
		.amdhsa_inst_pref_size 23
		.amdhsa_round_robin_scheduling 0
		.amdhsa_exception_fp_ieee_invalid_op 0
		.amdhsa_exception_fp_denorm_src 0
		.amdhsa_exception_fp_ieee_div_zero 0
		.amdhsa_exception_fp_ieee_overflow 0
		.amdhsa_exception_fp_ieee_underflow 0
		.amdhsa_exception_fp_ieee_inexact 0
		.amdhsa_exception_int_div_zero 0
	.end_amdhsa_kernel
	.section	.text._ZL33csrmvn_symm_large_adaptive_kernelIii21rocsparse_complex_numIfES0_IdES2_S2_EvbT_PKS3_N9rocsparse24const_host_device_scalarIT4_EES5_PKT0_PKT1_PKT2_S9_PT3_21rocsparse_index_base_b,"axG",@progbits,_ZL33csrmvn_symm_large_adaptive_kernelIii21rocsparse_complex_numIfES0_IdES2_S2_EvbT_PKS3_N9rocsparse24const_host_device_scalarIT4_EES5_PKT0_PKT1_PKT2_S9_PT3_21rocsparse_index_base_b,comdat
.Lfunc_end111:
	.size	_ZL33csrmvn_symm_large_adaptive_kernelIii21rocsparse_complex_numIfES0_IdES2_S2_EvbT_PKS3_N9rocsparse24const_host_device_scalarIT4_EES5_PKT0_PKT1_PKT2_S9_PT3_21rocsparse_index_base_b, .Lfunc_end111-_ZL33csrmvn_symm_large_adaptive_kernelIii21rocsparse_complex_numIfES0_IdES2_S2_EvbT_PKS3_N9rocsparse24const_host_device_scalarIT4_EES5_PKT0_PKT1_PKT2_S9_PT3_21rocsparse_index_base_b
                                        ; -- End function
	.set _ZL33csrmvn_symm_large_adaptive_kernelIii21rocsparse_complex_numIfES0_IdES2_S2_EvbT_PKS3_N9rocsparse24const_host_device_scalarIT4_EES5_PKT0_PKT1_PKT2_S9_PT3_21rocsparse_index_base_b.num_vgpr, 25
	.set _ZL33csrmvn_symm_large_adaptive_kernelIii21rocsparse_complex_numIfES0_IdES2_S2_EvbT_PKS3_N9rocsparse24const_host_device_scalarIT4_EES5_PKT0_PKT1_PKT2_S9_PT3_21rocsparse_index_base_b.num_agpr, 0
	.set _ZL33csrmvn_symm_large_adaptive_kernelIii21rocsparse_complex_numIfES0_IdES2_S2_EvbT_PKS3_N9rocsparse24const_host_device_scalarIT4_EES5_PKT0_PKT1_PKT2_S9_PT3_21rocsparse_index_base_b.numbered_sgpr, 28
	.set _ZL33csrmvn_symm_large_adaptive_kernelIii21rocsparse_complex_numIfES0_IdES2_S2_EvbT_PKS3_N9rocsparse24const_host_device_scalarIT4_EES5_PKT0_PKT1_PKT2_S9_PT3_21rocsparse_index_base_b.num_named_barrier, 0
	.set _ZL33csrmvn_symm_large_adaptive_kernelIii21rocsparse_complex_numIfES0_IdES2_S2_EvbT_PKS3_N9rocsparse24const_host_device_scalarIT4_EES5_PKT0_PKT1_PKT2_S9_PT3_21rocsparse_index_base_b.private_seg_size, 0
	.set _ZL33csrmvn_symm_large_adaptive_kernelIii21rocsparse_complex_numIfES0_IdES2_S2_EvbT_PKS3_N9rocsparse24const_host_device_scalarIT4_EES5_PKT0_PKT1_PKT2_S9_PT3_21rocsparse_index_base_b.uses_vcc, 1
	.set _ZL33csrmvn_symm_large_adaptive_kernelIii21rocsparse_complex_numIfES0_IdES2_S2_EvbT_PKS3_N9rocsparse24const_host_device_scalarIT4_EES5_PKT0_PKT1_PKT2_S9_PT3_21rocsparse_index_base_b.uses_flat_scratch, 0
	.set _ZL33csrmvn_symm_large_adaptive_kernelIii21rocsparse_complex_numIfES0_IdES2_S2_EvbT_PKS3_N9rocsparse24const_host_device_scalarIT4_EES5_PKT0_PKT1_PKT2_S9_PT3_21rocsparse_index_base_b.has_dyn_sized_stack, 0
	.set _ZL33csrmvn_symm_large_adaptive_kernelIii21rocsparse_complex_numIfES0_IdES2_S2_EvbT_PKS3_N9rocsparse24const_host_device_scalarIT4_EES5_PKT0_PKT1_PKT2_S9_PT3_21rocsparse_index_base_b.has_recursion, 0
	.set _ZL33csrmvn_symm_large_adaptive_kernelIii21rocsparse_complex_numIfES0_IdES2_S2_EvbT_PKS3_N9rocsparse24const_host_device_scalarIT4_EES5_PKT0_PKT1_PKT2_S9_PT3_21rocsparse_index_base_b.has_indirect_call, 0
	.section	.AMDGPU.csdata,"",@progbits
; Kernel info:
; codeLenInByte = 2824
; TotalNumSgprs: 30
; NumVgprs: 25
; ScratchSize: 0
; MemoryBound: 0
; FloatMode: 240
; IeeeMode: 1
; LDSByteSize: 16384 bytes/workgroup (compile time only)
; SGPRBlocks: 0
; VGPRBlocks: 3
; NumSGPRsForWavesPerEU: 30
; NumVGPRsForWavesPerEU: 25
; Occupancy: 16
; WaveLimiterHint : 1
; COMPUTE_PGM_RSRC2:SCRATCH_EN: 0
; COMPUTE_PGM_RSRC2:USER_SGPR: 2
; COMPUTE_PGM_RSRC2:TRAP_HANDLER: 0
; COMPUTE_PGM_RSRC2:TGID_X_EN: 1
; COMPUTE_PGM_RSRC2:TGID_Y_EN: 0
; COMPUTE_PGM_RSRC2:TGID_Z_EN: 0
; COMPUTE_PGM_RSRC2:TIDIG_COMP_CNT: 0
	.section	.text._ZN9rocsparseL22csrmvn_adaptive_kernelIli21rocsparse_complex_numIfES1_IdES3_S3_EEvbT_PKS4_PjPKT0_NS_24const_host_device_scalarIT4_EES6_SA_PKT1_PKT2_SD_PT3_21rocsparse_index_base_b,"axG",@progbits,_ZN9rocsparseL22csrmvn_adaptive_kernelIli21rocsparse_complex_numIfES1_IdES3_S3_EEvbT_PKS4_PjPKT0_NS_24const_host_device_scalarIT4_EES6_SA_PKT1_PKT2_SD_PT3_21rocsparse_index_base_b,comdat
	.globl	_ZN9rocsparseL22csrmvn_adaptive_kernelIli21rocsparse_complex_numIfES1_IdES3_S3_EEvbT_PKS4_PjPKT0_NS_24const_host_device_scalarIT4_EES6_SA_PKT1_PKT2_SD_PT3_21rocsparse_index_base_b ; -- Begin function _ZN9rocsparseL22csrmvn_adaptive_kernelIli21rocsparse_complex_numIfES1_IdES3_S3_EEvbT_PKS4_PjPKT0_NS_24const_host_device_scalarIT4_EES6_SA_PKT1_PKT2_SD_PT3_21rocsparse_index_base_b
	.p2align	8
	.type	_ZN9rocsparseL22csrmvn_adaptive_kernelIli21rocsparse_complex_numIfES1_IdES3_S3_EEvbT_PKS4_PjPKT0_NS_24const_host_device_scalarIT4_EES6_SA_PKT1_PKT2_SD_PT3_21rocsparse_index_base_b,@function
_ZN9rocsparseL22csrmvn_adaptive_kernelIli21rocsparse_complex_numIfES1_IdES3_S3_EEvbT_PKS4_PjPKT0_NS_24const_host_device_scalarIT4_EES6_SA_PKT1_PKT2_SD_PT3_21rocsparse_index_base_b: ; @_ZN9rocsparseL22csrmvn_adaptive_kernelIli21rocsparse_complex_numIfES1_IdES3_S3_EEvbT_PKS4_PjPKT0_NS_24const_host_device_scalarIT4_EES6_SA_PKT1_PKT2_SD_PT3_21rocsparse_index_base_b
; %bb.0:
	s_clause 0x1
	s_load_b64 s[34:35], s[0:1], 0x70
	s_load_b64 s[2:3], s[0:1], 0x28
	s_add_nc_u64 s[4:5], s[0:1], 40
	s_load_b64 s[6:7], s[0:1], 0x58
	s_wait_kmcnt 0x0
	s_bitcmp1_b32 s35, 0
	s_cselect_b32 s2, s4, s2
	s_cselect_b32 s3, s5, s3
	s_delay_alu instid0(SALU_CYCLE_1)
	v_dual_mov_b32 v1, s2 :: v_dual_mov_b32 v2, s3
	s_add_nc_u64 s[2:3], s[0:1], 0x58
	s_wait_alu 0xfffe
	s_cselect_b32 s2, s2, s6
	s_cselect_b32 s3, s3, s7
	flat_load_b128 v[5:8], v[1:2]
	s_wait_alu 0xfffe
	v_dual_mov_b32 v1, s2 :: v_dual_mov_b32 v2, s3
	flat_load_b128 v[1:4], v[1:2]
	s_wait_loadcnt_dscnt 0x101
	v_cmp_eq_f64_e32 vcc_lo, 0, v[5:6]
	v_cmp_eq_f64_e64 s2, 0, v[7:8]
	s_and_b32 s4, vcc_lo, s2
	s_mov_b32 s2, -1
	s_and_saveexec_b32 s3, s4
	s_cbranch_execz .LBB112_2
; %bb.1:
	s_wait_loadcnt_dscnt 0x0
	v_cmp_neq_f64_e32 vcc_lo, 1.0, v[1:2]
	v_cmp_neq_f64_e64 s2, 0, v[3:4]
	s_wait_alu 0xfffe
	s_or_b32 s2, vcc_lo, s2
	s_wait_alu 0xfffe
	s_or_not1_b32 s2, s2, exec_lo
.LBB112_2:
	s_wait_alu 0xfffe
	s_or_b32 exec_lo, exec_lo, s3
	s_and_saveexec_b32 s3, s2
	s_cbranch_execz .LBB112_117
; %bb.3:
	s_clause 0x2
	s_load_b64 s[2:3], s[0:1], 0x20
	s_load_b32 s6, s[0:1], 0x0
	s_load_b64 s[4:5], s[0:1], 0x10
	s_mov_b32 s36, ttmp9
	s_wait_kmcnt 0x0
	s_bitcmp1_b32 s6, 0
	s_cselect_b32 s33, -1, 0
	s_ashr_i32 s37, ttmp9, 31
	s_delay_alu instid0(SALU_CYCLE_1)
	s_lshl_b64 s[6:7], s[36:37], 3
	s_lshl_b64 s[38:39], s[36:37], 2
	s_add_nc_u64 s[4:5], s[4:5], s[6:7]
	s_load_b128 s[20:23], s[4:5], 0x0
	s_clause 0x1
	s_load_b256 s[12:19], s[0:1], 0x38
	s_load_b64 s[24:25], s[0:1], 0x68
	s_add_nc_u64 s[2:3], s[2:3], s[38:39]
	s_wait_kmcnt 0x0
	s_lshl_b64 s[4:5], s[20:21], 3
	s_delay_alu instid0(SALU_CYCLE_1)
	s_add_nc_u64 s[28:29], s[12:13], s[4:5]
	s_load_b32 s26, s[2:3], 0x0
	s_load_b64 s[30:31], s[28:29], 0x0
	s_sub_co_i32 s3, s22, s20
	s_mov_b32 s2, -1
	s_wait_alu 0xfffe
	s_cmp_lt_i32 s3, 2
	s_cbranch_scc0 .LBB112_73
; %bb.4:
	s_cmp_lg_u32 s3, 1
	s_cselect_b32 s2, -1, 0
	s_wait_kmcnt 0x0
	s_cmp_lg_u32 s26, 0
	s_cselect_b32 s3, -1, 0
	s_wait_alu 0xfffe
	s_or_b32 s2, s2, s3
	s_wait_alu 0xfffe
	s_and_b32 vcc_lo, exec_lo, s2
	s_mov_b32 s2, -1
	s_cbranch_vccnz .LBB112_33
; %bb.5:
	v_cmp_le_i64_e64 s2, s[22:23], s[20:21]
	s_wait_alu 0xfffe
	s_and_b32 vcc_lo, exec_lo, s2
	s_cbranch_vccnz .LBB112_32
; %bb.6:
	s_wait_loadcnt_dscnt 0x0
	v_cmp_neq_f64_e32 vcc_lo, 0, v[1:2]
	v_cmp_neq_f64_e64 s10, 0, v[3:4]
	v_sub_co_u32 v20, s2, v0, s34
	v_dual_mov_b32 v19, 0 :: v_dual_lshlrev_b32 v22, 4, v0
	s_wait_alu 0xf1ff
	v_sub_co_ci_u32_e64 v21, null, 0, 0, s2
	v_cmp_gt_u32_e64 s2, 0x80, v0
	v_cmp_gt_u32_e64 s3, 64, v0
	;; [unrolled: 1-line block ×7, first 2 shown]
	v_cmp_eq_u32_e64 s9, 0, v0
	s_mov_b32 s35, 0
	s_add_nc_u64 s[40:41], s[16:17], 4
	s_mov_b64 s[42:43], s[20:21]
	s_or_b32 s11, vcc_lo, s10
	s_branch .LBB112_9
.LBB112_7:                              ;   in Loop: Header=BB112_9 Depth=1
	s_or_b32 exec_lo, exec_lo, s27
	s_lshl_b64 s[44:45], s[42:43], 4
	s_wait_alu 0xfffe
	s_add_nc_u64 s[44:45], s[24:25], s[44:45]
	s_wait_dscnt 0x0
	global_store_b128 v19, v[9:12], s[44:45]
.LBB112_8:                              ;   in Loop: Header=BB112_9 Depth=1
	s_wait_alu 0xfffe
	s_or_b32 exec_lo, exec_lo, s10
	s_add_nc_u64 s[42:43], s[42:43], 1
	s_wait_alu 0xfffe
	v_cmp_ge_i64_e64 s10, s[42:43], s[22:23]
	s_and_b32 vcc_lo, exec_lo, s10
	s_wait_alu 0xfffe
	s_cbranch_vccnz .LBB112_32
.LBB112_9:                              ; =>This Loop Header: Depth=1
                                        ;     Child Loop BB112_11 Depth 2
	s_lshl_b64 s[44:45], s[42:43], 3
	v_mov_b32_e32 v11, 0
	s_wait_alu 0xfffe
	s_add_nc_u64 s[44:45], s[12:13], s[44:45]
	v_dual_mov_b32 v12, 0 :: v_dual_mov_b32 v9, 0
	s_load_b128 s[44:47], s[44:45], 0x0
	v_mov_b32_e32 v10, 0
	s_mov_b32 s27, exec_lo
	s_wait_kmcnt 0x0
	v_add_co_u32 v13, vcc_lo, s44, v20
	s_wait_alu 0xfffd
	v_add_co_ci_u32_e64 v14, null, s45, v21, vcc_lo
	s_sub_nc_u64 s[44:45], s[46:47], s[34:35]
	s_wait_alu 0xfffe
	v_cmpx_gt_i64_e64 s[44:45], v[13:14]
	s_cbranch_execz .LBB112_13
; %bb.10:                               ;   in Loop: Header=BB112_9 Depth=1
	v_lshlrev_b64_e32 v[9:10], 3, v[13:14]
	v_lshlrev_b64_e32 v[17:18], 2, v[13:14]
	v_mov_b32_e32 v11, 0
	v_mov_b32_e32 v12, 0
	s_mov_b32 s37, 0
	s_delay_alu instid0(VALU_DEP_4)
	v_add_co_u32 v15, vcc_lo, s40, v9
	s_wait_alu 0xfffd
	v_add_co_ci_u32_e64 v16, null, s41, v10, vcc_lo
	v_add_co_u32 v17, vcc_lo, s14, v17
	s_wait_alu 0xfffd
	v_add_co_ci_u32_e64 v18, null, s15, v18, vcc_lo
	v_dual_mov_b32 v9, v11 :: v_dual_mov_b32 v10, v12
.LBB112_11:                             ;   Parent Loop BB112_9 Depth=1
                                        ; =>  This Inner Loop Header: Depth=2
	global_load_b32 v23, v[17:18], off
	global_load_b64 v[27:28], v[15:16], off offset:-4
	v_add_co_u32 v17, s10, 0x400, v17
	s_wait_alu 0xf1ff
	v_add_co_ci_u32_e64 v18, null, 0, v18, s10
	s_wait_loadcnt 0x1
	v_subrev_nc_u32_e32 v23, s34, v23
	s_wait_loadcnt 0x0
	v_cndmask_b32_e64 v28, v28, -v28, s33
	v_cvt_f64_f32_e32 v[30:31], v27
	s_delay_alu instid0(VALU_DEP_3) | instskip(NEXT) | instid1(VALU_DEP_3)
	v_ashrrev_i32_e32 v24, 31, v23
	v_cvt_f64_f32_e32 v[28:29], v28
	s_delay_alu instid0(VALU_DEP_2) | instskip(NEXT) | instid1(VALU_DEP_1)
	v_lshlrev_b64_e32 v[23:24], 4, v[23:24]
	v_add_co_u32 v23, vcc_lo, s18, v23
	s_wait_alu 0xfffd
	s_delay_alu instid0(VALU_DEP_2)
	v_add_co_ci_u32_e64 v24, null, s19, v24, vcc_lo
	v_add_co_u32 v13, vcc_lo, 0x100, v13
	s_wait_alu 0xfffd
	v_add_co_ci_u32_e64 v14, null, 0, v14, vcc_lo
	global_load_b128 v[23:26], v[23:24], off
	v_add_co_u32 v15, vcc_lo, 0x800, v15
	s_wait_alu 0xfffd
	v_add_co_ci_u32_e64 v16, null, 0, v16, vcc_lo
	v_cmp_le_i64_e32 vcc_lo, s[44:45], v[13:14]
	s_or_b32 s37, vcc_lo, s37
	v_mul_f64_e64 v[32:33], -v[7:8], v[28:29]
	v_mul_f64_e32 v[27:28], v[5:6], v[28:29]
	s_delay_alu instid0(VALU_DEP_2) | instskip(NEXT) | instid1(VALU_DEP_2)
	v_fma_f64 v[32:33], v[5:6], v[30:31], v[32:33]
	v_fma_f64 v[27:28], v[7:8], v[30:31], v[27:28]
	s_wait_loadcnt 0x0
	s_delay_alu instid0(VALU_DEP_2) | instskip(NEXT) | instid1(VALU_DEP_2)
	v_fma_f64 v[9:10], v[32:33], v[23:24], v[9:10]
	v_fma_f64 v[11:12], v[27:28], v[23:24], v[11:12]
	s_delay_alu instid0(VALU_DEP_2) | instskip(NEXT) | instid1(VALU_DEP_2)
	v_fma_f64 v[9:10], -v[27:28], v[25:26], v[9:10]
	v_fma_f64 v[11:12], v[32:33], v[25:26], v[11:12]
	s_and_not1_b32 exec_lo, exec_lo, s37
	s_cbranch_execnz .LBB112_11
; %bb.12:                               ;   in Loop: Header=BB112_9 Depth=1
	s_or_b32 exec_lo, exec_lo, s37
.LBB112_13:                             ;   in Loop: Header=BB112_9 Depth=1
	s_delay_alu instid0(SALU_CYCLE_1)
	s_or_b32 exec_lo, exec_lo, s27
	ds_store_b128 v22, v[9:12]
	s_wait_dscnt 0x0
	s_barrier_signal -1
	s_barrier_wait -1
	global_inv scope:SCOPE_SE
	s_and_saveexec_b32 s10, s2
	s_cbranch_execz .LBB112_15
; %bb.14:                               ;   in Loop: Header=BB112_9 Depth=1
	ds_load_b128 v[9:12], v22 offset:2048
	ds_load_b128 v[13:16], v22
	s_wait_dscnt 0x0
	v_add_f64_e32 v[9:10], v[9:10], v[13:14]
	v_add_f64_e32 v[11:12], v[11:12], v[15:16]
	ds_store_b128 v22, v[9:12]
.LBB112_15:                             ;   in Loop: Header=BB112_9 Depth=1
	s_wait_alu 0xfffe
	s_or_b32 exec_lo, exec_lo, s10
	s_wait_loadcnt_dscnt 0x0
	s_barrier_signal -1
	s_barrier_wait -1
	global_inv scope:SCOPE_SE
	s_and_saveexec_b32 s10, s3
	s_cbranch_execz .LBB112_17
; %bb.16:                               ;   in Loop: Header=BB112_9 Depth=1
	ds_load_b128 v[9:12], v22 offset:1024
	ds_load_b128 v[13:16], v22
	s_wait_dscnt 0x0
	v_add_f64_e32 v[9:10], v[9:10], v[13:14]
	v_add_f64_e32 v[11:12], v[11:12], v[15:16]
	ds_store_b128 v22, v[9:12]
.LBB112_17:                             ;   in Loop: Header=BB112_9 Depth=1
	s_wait_alu 0xfffe
	s_or_b32 exec_lo, exec_lo, s10
	s_wait_loadcnt_dscnt 0x0
	;; [unrolled: 16-line block ×6, first 2 shown]
	s_barrier_signal -1
	s_barrier_wait -1
	global_inv scope:SCOPE_SE
	s_and_saveexec_b32 s10, s8
	s_cbranch_execz .LBB112_27
; %bb.26:                               ;   in Loop: Header=BB112_9 Depth=1
	ds_load_b128 v[9:12], v22
	ds_load_b128 v[13:16], v22 offset:32
	s_wait_dscnt 0x0
	v_add_f64_e32 v[9:10], v[13:14], v[9:10]
	v_add_f64_e32 v[11:12], v[15:16], v[11:12]
	ds_store_b128 v22, v[9:12]
.LBB112_27:                             ;   in Loop: Header=BB112_9 Depth=1
	s_wait_alu 0xfffe
	s_or_b32 exec_lo, exec_lo, s10
	s_wait_loadcnt_dscnt 0x0
	s_barrier_signal -1
	s_barrier_wait -1
	global_inv scope:SCOPE_SE
	s_and_saveexec_b32 s10, s9
	s_cbranch_execz .LBB112_29
; %bb.28:                               ;   in Loop: Header=BB112_9 Depth=1
	ds_load_b128 v[9:12], v19
	ds_load_b128 v[13:16], v19 offset:16
	s_wait_dscnt 0x0
	v_add_f64_e32 v[9:10], v[13:14], v[9:10]
	v_add_f64_e32 v[11:12], v[15:16], v[11:12]
	ds_store_b128 v19, v[9:12]
.LBB112_29:                             ;   in Loop: Header=BB112_9 Depth=1
	s_wait_alu 0xfffe
	s_or_b32 exec_lo, exec_lo, s10
	s_wait_loadcnt_dscnt 0x0
	s_barrier_signal -1
	s_barrier_wait -1
	global_inv scope:SCOPE_SE
	s_and_saveexec_b32 s10, s9
	s_cbranch_execz .LBB112_8
; %bb.30:                               ;   in Loop: Header=BB112_9 Depth=1
	ds_load_b128 v[9:12], v19
	s_and_saveexec_b32 s27, s11
	s_cbranch_execz .LBB112_7
; %bb.31:                               ;   in Loop: Header=BB112_9 Depth=1
	s_lshl_b64 s[44:45], s[42:43], 4
	s_wait_alu 0xfffe
	s_add_nc_u64 s[44:45], s[24:25], s[44:45]
	global_load_b128 v[13:16], v19, s[44:45]
	s_wait_loadcnt_dscnt 0x0
	v_fma_f64 v[9:10], v[1:2], v[13:14], v[9:10]
	v_fma_f64 v[11:12], v[3:4], v[13:14], v[11:12]
	s_delay_alu instid0(VALU_DEP_2) | instskip(NEXT) | instid1(VALU_DEP_2)
	v_fma_f64 v[9:10], -v[3:4], v[15:16], v[9:10]
	v_fma_f64 v[11:12], v[1:2], v[15:16], v[11:12]
	s_branch .LBB112_7
.LBB112_32:
	s_mov_b32 s2, 0
.LBB112_33:
	s_wait_alu 0xfffe
	s_and_not1_b32 vcc_lo, exec_lo, s2
	s_wait_alu 0xfffe
	s_cbranch_vccnz .LBB112_72
; %bb.34:
	s_load_b64 s[6:7], s[0:1], 0x18
	v_mov_b32_e32 v13, 0
	v_mov_b32_e32 v9, 0
	v_dual_mov_b32 v10, 0 :: v_dual_mov_b32 v11, 0
	v_or_b32_e32 v14, s26, v0
	v_mov_b32_e32 v12, 0
	s_sub_co_i32 s8, s36, s26
	s_mov_b32 s35, 0
	s_mov_b32 s2, exec_lo
	s_wait_kmcnt 0x0
	s_add_nc_u64 s[4:5], s[6:7], s[38:39]
	global_load_b32 v19, v13, s[4:5]
	v_cmpx_eq_u32_e32 0, v14
	s_cbranch_execz .LBB112_38
; %bb.35:
	s_lshl_b64 s[10:11], s[20:21], 4
	s_wait_loadcnt_dscnt 0x100
	v_add_f64_e32 v[9:10], -1.0, v[1:2]
	s_wait_alu 0xfffe
	s_add_nc_u64 s[10:11], s[24:25], s[10:11]
	s_mov_b32 s3, exec_lo
	global_load_b128 v[11:14], v13, s[10:11]
	s_wait_alu 0xfffe
	v_mbcnt_lo_u32_b32 v17, s3, 0
	s_mov_b32 s10, exec_lo
	s_wait_loadcnt 0x0
	s_wait_storecnt 0x0
	global_inv scope:SCOPE_DEV
	v_mul_f64_e64 v[15:16], v[13:14], -v[3:4]
	v_mul_f64_e32 v[13:14], v[9:10], v[13:14]
	v_cmpx_eq_u32_e32 0, v17
	s_cbranch_execz .LBB112_37
; %bb.36:
	s_bcnt1_i32_b32 s3, s3
	s_ashr_i32 s9, s8, 31
	s_wait_alu 0xfffe
	s_and_b32 s3, s3, 1
	s_wait_alu 0xfffe
	v_dual_mov_b32 v17, 0 :: v_dual_mov_b32 v18, s3
	s_lshl_b64 s[36:37], s[8:9], 2
	s_delay_alu instid0(SALU_CYCLE_1)
	s_add_nc_u64 s[36:37], s[6:7], s[36:37]
	global_atomic_xor_b32 v17, v18, s[36:37] scope:SCOPE_DEV
.LBB112_37:
	s_wait_alu 0xfffe
	s_or_b32 exec_lo, exec_lo, s10
	s_delay_alu instid0(VALU_DEP_3) | instskip(NEXT) | instid1(VALU_DEP_3)
	v_fma_f64 v[9:10], v[9:10], v[11:12], v[15:16]
	v_fma_f64 v[11:12], v[3:4], v[11:12], v[13:14]
.LBB112_38:
	s_wait_alu 0xfffe
	s_or_b32 exec_lo, exec_lo, s2
	s_load_b64 s[2:3], s[28:29], 0x8
	s_ashr_i32 s27, s26, 31
	s_sub_nc_u64 s[36:37], s[30:31], s[34:35]
	s_wait_alu 0xfffe
	s_mul_u64 s[10:11], s[26:27], 0xc00
	s_wait_alu 0xfffe
	s_add_nc_u64 s[10:11], s[36:37], s[10:11]
	s_wait_alu 0xfffe
	v_add_co_u32 v13, s9, s10, v0
	s_delay_alu instid0(VALU_DEP_1)
	v_add_co_ci_u32_e64 v14, null, s11, 0, s9
	s_mov_b32 s9, exec_lo
	s_wait_kmcnt 0x0
	s_sub_nc_u64 s[2:3], s[2:3], s[34:35]
	s_wait_alu 0xfffe
	v_cmpx_gt_i64_e64 s[2:3], v[13:14]
	s_cbranch_execz .LBB112_42
; %bb.39:
	v_lshlrev_b64_e32 v[15:16], 3, v[13:14]
	v_lshlrev_b64_e32 v[17:18], 2, v[13:14]
	s_add_nc_u64 s[10:11], s[10:11], 0xc00
	s_wait_alu 0xfffe
	v_cmp_lt_i64_e64 s27, s[10:11], s[2:3]
	s_delay_alu instid0(VALU_DEP_3)
	v_add_co_u32 v15, vcc_lo, s16, v15
	s_wait_alu 0xfffd
	v_add_co_ci_u32_e64 v16, null, s17, v16, vcc_lo
	s_and_b32 s27, s27, exec_lo
	v_add_co_u32 v15, vcc_lo, v15, 4
	s_wait_alu 0xfffd
	v_add_co_ci_u32_e64 v16, null, 0, v16, vcc_lo
	v_add_co_u32 v17, vcc_lo, s14, v17
	s_wait_alu 0xfffd
	v_add_co_ci_u32_e64 v18, null, s15, v18, vcc_lo
	s_cselect_b32 s11, s11, s3
	s_cselect_b32 s10, s10, s2
	s_mov_b32 s3, 0
.LBB112_40:                             ; =>This Inner Loop Header: Depth=1
	global_load_b32 v20, v[17:18], off
	global_load_b64 v[24:25], v[15:16], off offset:-4
	v_add_co_u32 v17, s2, 0x400, v17
	s_wait_alu 0xf1ff
	v_add_co_ci_u32_e64 v18, null, 0, v18, s2
	s_wait_loadcnt 0x1
	v_subrev_nc_u32_e32 v20, s34, v20
	s_wait_loadcnt 0x0
	v_cndmask_b32_e64 v25, v25, -v25, s33
	v_cvt_f64_f32_e32 v[27:28], v24
	s_delay_alu instid0(VALU_DEP_3) | instskip(NEXT) | instid1(VALU_DEP_3)
	v_ashrrev_i32_e32 v21, 31, v20
	v_cvt_f64_f32_e32 v[25:26], v25
	s_delay_alu instid0(VALU_DEP_2) | instskip(NEXT) | instid1(VALU_DEP_1)
	v_lshlrev_b64_e32 v[20:21], 4, v[20:21]
	v_add_co_u32 v20, vcc_lo, s18, v20
	s_wait_alu 0xfffd
	s_delay_alu instid0(VALU_DEP_2)
	v_add_co_ci_u32_e64 v21, null, s19, v21, vcc_lo
	v_add_co_u32 v13, vcc_lo, 0x100, v13
	s_wait_alu 0xfffd
	v_add_co_ci_u32_e64 v14, null, 0, v14, vcc_lo
	global_load_b128 v[20:23], v[20:21], off
	v_add_co_u32 v15, vcc_lo, 0x800, v15
	s_wait_alu 0xfffd
	v_add_co_ci_u32_e64 v16, null, 0, v16, vcc_lo
	s_wait_alu 0xfffe
	v_cmp_le_i64_e32 vcc_lo, s[10:11], v[13:14]
	s_or_b32 s3, vcc_lo, s3
	v_mul_f64_e64 v[29:30], -v[7:8], v[25:26]
	v_mul_f64_e32 v[24:25], v[5:6], v[25:26]
	s_delay_alu instid0(VALU_DEP_2) | instskip(NEXT) | instid1(VALU_DEP_2)
	v_fma_f64 v[29:30], v[5:6], v[27:28], v[29:30]
	v_fma_f64 v[24:25], v[7:8], v[27:28], v[24:25]
	s_wait_loadcnt 0x0
	s_delay_alu instid0(VALU_DEP_2) | instskip(NEXT) | instid1(VALU_DEP_2)
	v_fma_f64 v[9:10], v[29:30], v[20:21], v[9:10]
	v_fma_f64 v[11:12], v[24:25], v[20:21], v[11:12]
	s_delay_alu instid0(VALU_DEP_2) | instskip(NEXT) | instid1(VALU_DEP_2)
	v_fma_f64 v[9:10], -v[24:25], v[22:23], v[9:10]
	v_fma_f64 v[11:12], v[29:30], v[22:23], v[11:12]
	s_wait_alu 0xfffe
	s_and_not1_b32 exec_lo, exec_lo, s3
	s_cbranch_execnz .LBB112_40
; %bb.41:
	s_or_b32 exec_lo, exec_lo, s3
.LBB112_42:
	s_delay_alu instid0(SALU_CYCLE_1)
	s_or_b32 exec_lo, exec_lo, s9
	v_lshlrev_b32_e32 v13, 4, v0
	s_mov_b32 s2, exec_lo
	ds_store_b128 v13, v[9:12]
	s_wait_storecnt 0x0
	s_wait_loadcnt_dscnt 0x0
	s_barrier_signal -1
	s_barrier_wait -1
	global_inv scope:SCOPE_SE
	v_cmpx_gt_u32_e32 0x80, v0
	s_cbranch_execz .LBB112_44
; %bb.43:
	ds_load_b128 v[9:12], v13 offset:2048
	ds_load_b128 v[14:17], v13
	s_wait_dscnt 0x0
	v_add_f64_e32 v[9:10], v[9:10], v[14:15]
	v_add_f64_e32 v[11:12], v[11:12], v[16:17]
	ds_store_b128 v13, v[9:12]
.LBB112_44:
	s_wait_alu 0xfffe
	s_or_b32 exec_lo, exec_lo, s2
	s_delay_alu instid0(SALU_CYCLE_1)
	s_mov_b32 s2, exec_lo
	s_wait_loadcnt_dscnt 0x0
	s_barrier_signal -1
	s_barrier_wait -1
	global_inv scope:SCOPE_SE
	v_cmpx_gt_u32_e32 64, v0
	s_cbranch_execz .LBB112_46
; %bb.45:
	ds_load_b128 v[9:12], v13 offset:1024
	ds_load_b128 v[14:17], v13
	s_wait_dscnt 0x0
	v_add_f64_e32 v[9:10], v[9:10], v[14:15]
	v_add_f64_e32 v[11:12], v[11:12], v[16:17]
	ds_store_b128 v13, v[9:12]
.LBB112_46:
	s_wait_alu 0xfffe
	s_or_b32 exec_lo, exec_lo, s2
	s_delay_alu instid0(SALU_CYCLE_1)
	s_mov_b32 s2, exec_lo
	;; [unrolled: 18-line block ×6, first 2 shown]
	s_wait_loadcnt_dscnt 0x0
	s_barrier_signal -1
	s_barrier_wait -1
	global_inv scope:SCOPE_SE
	v_cmpx_gt_u32_e32 2, v0
	s_cbranch_execz .LBB112_56
; %bb.55:
	ds_load_b128 v[9:12], v13
	ds_load_b128 v[14:17], v13 offset:32
	s_wait_dscnt 0x0
	v_add_f64_e32 v[9:10], v[14:15], v[9:10]
	v_add_f64_e32 v[11:12], v[16:17], v[11:12]
	ds_store_b128 v13, v[9:12]
.LBB112_56:
	s_wait_alu 0xfffe
	s_or_b32 exec_lo, exec_lo, s2
	v_cmp_eq_u32_e32 vcc_lo, 0, v0
	s_wait_loadcnt_dscnt 0x0
	s_barrier_signal -1
	s_barrier_wait -1
	global_inv scope:SCOPE_SE
	s_and_saveexec_b32 s2, vcc_lo
	s_cbranch_execz .LBB112_58
; %bb.57:
	v_mov_b32_e32 v17, 0
	ds_load_b128 v[9:12], v17
	ds_load_b128 v[13:16], v17 offset:16
	s_wait_dscnt 0x0
	v_add_f64_e32 v[9:10], v[13:14], v[9:10]
	v_add_f64_e32 v[11:12], v[15:16], v[11:12]
	ds_store_b128 v17, v[9:12]
.LBB112_58:
	s_wait_alu 0xfffe
	s_or_b32 exec_lo, exec_lo, s2
	s_wait_loadcnt_dscnt 0x0
	s_barrier_signal -1
	s_barrier_wait -1
	global_inv scope:SCOPE_SE
	s_and_saveexec_b32 s10, vcc_lo
	s_cbranch_execz .LBB112_71
; %bb.59:
	s_cmp_eq_u32 s26, 0
	s_cbranch_scc1 .LBB112_65
; %bb.60:
	s_ashr_i32 s9, s8, 31
	v_mov_b32_e32 v9, 0
	s_wait_alu 0xfffe
	s_lshl_b64 s[2:3], s[8:9], 2
	s_wait_alu 0xfffe
	s_add_nc_u64 s[2:3], s[6:7], s[2:3]
	s_branch .LBB112_62
.LBB112_61:                             ;   in Loop: Header=BB112_62 Depth=1
	s_wait_alu 0xfffe
	s_or_b32 exec_lo, exec_lo, s6
	s_wait_loadcnt 0x0
	v_readfirstlane_b32 s6, v10
	s_wait_alu 0xf1ff
	s_delay_alu instid0(VALU_DEP_1)
	v_cmp_eq_u32_e32 vcc_lo, s6, v19
	s_cbranch_vccz .LBB112_64
.LBB112_62:                             ; =>This Inner Loop Header: Depth=1
	v_mbcnt_lo_u32_b32 v10, exec_lo, 0
	s_delay_alu instid0(VALU_DEP_1)
	v_cmp_eq_u32_e32 vcc_lo, 0, v10
                                        ; implicit-def: $vgpr10
	s_and_saveexec_b32 s6, vcc_lo
	s_cbranch_execz .LBB112_61
; %bb.63:                               ;   in Loop: Header=BB112_62 Depth=1
	global_load_b32 v10, v9, s[2:3] scope:SCOPE_DEV
	s_branch .LBB112_61
.LBB112_64:
	v_mov_b32_e32 v9, 0
	global_load_u16 v10, v9, s[4:5]
	s_wait_loadcnt 0x0
	v_xor_b32_e32 v10, 1, v10
	global_store_b16 v9, v10, s[4:5]
.LBB112_65:
	v_mov_b32_e32 v17, 0
	s_mov_b32 s5, exec_lo
	s_lshl_b64 s[2:3], s[20:21], 4
	v_mbcnt_lo_u32_b32 v13, s5, 0
	s_wait_alu 0xfffe
	s_add_nc_u64 s[2:3], s[24:25], s[2:3]
	ds_load_b128 v[9:12], v17
	s_mov_b32 s4, exec_lo
	v_cmpx_eq_u32_e32 0, v13
	s_cbranch_execz .LBB112_68
; %bb.66:
	global_load_b64 v[15:16], v17, s[2:3]
	s_bcnt1_i32_b32 s5, s5
	s_wait_alu 0xfffe
	v_cvt_f64_u32_e32 v[13:14], s5
	s_mov_b32 s5, 0
	s_wait_dscnt 0x0
	s_delay_alu instid0(VALU_DEP_1)
	v_mul_f64_e32 v[9:10], v[9:10], v[13:14]
.LBB112_67:                             ; =>This Inner Loop Header: Depth=1
	s_wait_loadcnt 0x0
	s_delay_alu instid0(VALU_DEP_1)
	v_add_f64_e32 v[13:14], v[15:16], v[9:10]
	global_atomic_cmpswap_b64 v[13:14], v17, v[13:16], s[2:3] th:TH_ATOMIC_RETURN scope:SCOPE_DEV
	s_wait_loadcnt 0x0
	v_cmp_eq_u64_e32 vcc_lo, v[13:14], v[15:16]
	v_dual_mov_b32 v16, v14 :: v_dual_mov_b32 v15, v13
	s_wait_alu 0xfffe
	s_or_b32 s5, vcc_lo, s5
	s_wait_alu 0xfffe
	s_and_not1_b32 exec_lo, exec_lo, s5
	s_cbranch_execnz .LBB112_67
.LBB112_68:
	s_wait_alu 0xfffe
	s_or_b32 exec_lo, exec_lo, s4
	s_delay_alu instid0(SALU_CYCLE_1) | instskip(SKIP_4) | instid1(VALU_DEP_1)
	s_mov_b32 s5, exec_lo
	s_mov_b32 s4, 0
	s_wait_dscnt 0x0
	s_wait_alu 0xfffe
	v_mbcnt_lo_u32_b32 v9, s5, 0
	v_cmp_eq_u32_e32 vcc_lo, 0, v9
	s_and_b32 s6, exec_lo, vcc_lo
	s_wait_alu 0xfffe
	s_mov_b32 exec_lo, s6
	s_cbranch_execz .LBB112_71
; %bb.69:
	v_mov_b32_e32 v15, 0
	s_bcnt1_i32_b32 s5, s5
	s_wait_alu 0xfffe
	v_cvt_f64_u32_e32 v[9:10], s5
	global_load_b64 v[13:14], v15, s[2:3] offset:8
	v_mul_f64_e32 v[9:10], v[11:12], v[9:10]
.LBB112_70:                             ; =>This Inner Loop Header: Depth=1
	s_wait_loadcnt 0x0
	s_delay_alu instid0(VALU_DEP_1)
	v_add_f64_e32 v[11:12], v[13:14], v[9:10]
	global_atomic_cmpswap_b64 v[11:12], v15, v[11:14], s[2:3] offset:8 th:TH_ATOMIC_RETURN scope:SCOPE_DEV
	s_wait_loadcnt 0x0
	v_cmp_eq_u64_e32 vcc_lo, v[11:12], v[13:14]
	v_dual_mov_b32 v14, v12 :: v_dual_mov_b32 v13, v11
	s_or_b32 s4, vcc_lo, s4
	s_wait_alu 0xfffe
	s_and_not1_b32 exec_lo, exec_lo, s4
	s_cbranch_execnz .LBB112_70
.LBB112_71:
	s_wait_alu 0xfffe
	s_or_b32 exec_lo, exec_lo, s10
.LBB112_72:
	s_mov_b32 s2, 0
.LBB112_73:
	s_wait_alu 0xfffe
	s_and_not1_b32 vcc_lo, exec_lo, s2
	s_wait_alu 0xfffe
	s_cbranch_vccnz .LBB112_117
; %bb.74:
	s_load_b64 s[0:1], s[0:1], 0x8
	v_sub_co_u32 v9, s2, v0, s34
	s_wait_alu 0xf1ff
	v_sub_co_ci_u32_e64 v10, null, 0, 0, s2
	s_mov_b32 s35, 0
	s_wait_kmcnt 0x0
	v_add_co_u32 v9, vcc_lo, s30, v9
	s_wait_alu 0xfffd
	v_add_co_ci_u32_e64 v10, null, s31, v10, vcc_lo
	s_delay_alu instid0(VALU_DEP_2) | instskip(SKIP_1) | instid1(VALU_DEP_2)
	v_add_co_u32 v11, vcc_lo, 0x300, v9
	s_wait_alu 0xfffd
	v_add_co_ci_u32_e64 v12, null, 0, v10, vcc_lo
	s_delay_alu instid0(VALU_DEP_1)
	v_cmp_le_i64_e32 vcc_lo, s[0:1], v[11:12]
	s_and_saveexec_b32 s0, vcc_lo
	s_wait_alu 0xfffe
	s_xor_b32 s1, exec_lo, s0
	s_cbranch_execz .LBB112_79
; %bb.75:
	s_lshl_b64 s[2:3], s[22:23], 3
	s_mov_b32 s4, exec_lo
	s_wait_alu 0xfffe
	s_add_nc_u64 s[2:3], s[12:13], s[2:3]
	s_load_b64 s[2:3], s[2:3], 0x0
	s_wait_kmcnt 0x0
	s_sub_nc_u64 s[2:3], s[2:3], s[34:35]
	s_wait_alu 0xfffe
	v_cmpx_gt_i64_e64 s[2:3], v[9:10]
	s_cbranch_execz .LBB112_78
; %bb.76:
	v_lshlrev_b64_e32 v[11:12], 3, v[9:10]
	v_lshlrev_b64_e32 v[13:14], 2, v[9:10]
	v_lshlrev_b32_e32 v15, 4, v0
	s_mov_b32 s5, 0
	s_delay_alu instid0(VALU_DEP_3) | instskip(SKIP_2) | instid1(VALU_DEP_2)
	v_add_co_u32 v11, vcc_lo, s16, v11
	s_wait_alu 0xfffd
	v_add_co_ci_u32_e64 v12, null, s17, v12, vcc_lo
	v_add_co_u32 v11, vcc_lo, v11, 4
	s_wait_alu 0xfffd
	s_delay_alu instid0(VALU_DEP_2)
	v_add_co_ci_u32_e64 v12, null, 0, v12, vcc_lo
	v_add_co_u32 v13, vcc_lo, s14, v13
	s_wait_alu 0xfffd
	v_add_co_ci_u32_e64 v14, null, s15, v14, vcc_lo
.LBB112_77:                             ; =>This Inner Loop Header: Depth=1
	global_load_b32 v16, v[13:14], off
	global_load_b64 v[20:21], v[11:12], off offset:-4
	s_wait_loadcnt 0x1
	v_subrev_nc_u32_e32 v16, s34, v16
	s_wait_loadcnt 0x0
	v_cndmask_b32_e64 v21, v21, -v21, s33
	v_cvt_f64_f32_e32 v[23:24], v20
	s_delay_alu instid0(VALU_DEP_3) | instskip(NEXT) | instid1(VALU_DEP_3)
	v_ashrrev_i32_e32 v17, 31, v16
	v_cvt_f64_f32_e32 v[21:22], v21
	s_delay_alu instid0(VALU_DEP_2) | instskip(NEXT) | instid1(VALU_DEP_1)
	v_lshlrev_b64_e32 v[16:17], 4, v[16:17]
	v_add_co_u32 v16, vcc_lo, s18, v16
	s_wait_alu 0xfffd
	s_delay_alu instid0(VALU_DEP_2)
	v_add_co_ci_u32_e64 v17, null, s19, v17, vcc_lo
	v_add_co_u32 v9, vcc_lo, 0x100, v9
	s_wait_alu 0xfffd
	v_add_co_ci_u32_e64 v10, null, 0, v10, vcc_lo
	global_load_b128 v[16:19], v[16:17], off
	v_add_co_u32 v11, vcc_lo, 0x800, v11
	v_cmp_le_i64_e64 s0, s[2:3], v[9:10]
	s_wait_alu 0xfffd
	v_add_co_ci_u32_e64 v12, null, 0, v12, vcc_lo
	v_add_co_u32 v13, vcc_lo, 0x400, v13
	s_wait_alu 0xfffd
	v_add_co_ci_u32_e64 v14, null, 0, v14, vcc_lo
	s_wait_alu 0xfffe
	s_or_b32 s5, s0, s5
	v_mul_f64_e32 v[25:26], v[5:6], v[21:22]
	v_mul_f64_e64 v[20:21], -v[7:8], v[21:22]
	s_delay_alu instid0(VALU_DEP_2) | instskip(NEXT) | instid1(VALU_DEP_2)
	v_fma_f64 v[25:26], v[7:8], v[23:24], v[25:26]
	v_fma_f64 v[20:21], v[5:6], v[23:24], v[20:21]
	s_wait_loadcnt 0x0
	s_delay_alu instid0(VALU_DEP_2) | instskip(NEXT) | instid1(VALU_DEP_2)
	v_mul_f64_e64 v[22:23], v[18:19], -v[25:26]
	v_mul_f64_e32 v[27:28], v[18:19], v[20:21]
	s_delay_alu instid0(VALU_DEP_2) | instskip(NEXT) | instid1(VALU_DEP_2)
	v_fma_f64 v[18:19], v[20:21], v[16:17], v[22:23]
	v_fma_f64 v[20:21], v[25:26], v[16:17], v[27:28]
	ds_store_b128 v15, v[18:21]
	v_add_nc_u32_e32 v15, 0x1000, v15
	s_wait_alu 0xfffe
	s_and_not1_b32 exec_lo, exec_lo, s5
	s_cbranch_execnz .LBB112_77
.LBB112_78:
	s_or_b32 exec_lo, exec_lo, s4
                                        ; implicit-def: $vgpr9_vgpr10
                                        ; implicit-def: $vgpr7_vgpr8
.LBB112_79:
	s_wait_alu 0xfffe
	s_or_saveexec_b32 s0, s1
	v_lshlrev_b32_e32 v15, 4, v0
	s_wait_alu 0xfffe
	s_xor_b32 exec_lo, exec_lo, s0
	s_cbranch_execz .LBB112_81
; %bb.80:
	v_lshlrev_b64_e32 v[11:12], 2, v[9:10]
	v_lshlrev_b64_e32 v[9:10], 3, v[9:10]
	s_delay_alu instid0(VALU_DEP_2) | instskip(SKIP_1) | instid1(VALU_DEP_3)
	v_add_co_u32 v11, vcc_lo, s14, v11
	s_wait_alu 0xfffd
	v_add_co_ci_u32_e64 v12, null, s15, v12, vcc_lo
	s_delay_alu instid0(VALU_DEP_3)
	v_add_co_u32 v9, vcc_lo, s16, v9
	s_wait_alu 0xfffd
	v_add_co_ci_u32_e64 v10, null, s17, v10, vcc_lo
	s_clause 0x3
	global_load_b32 v16, v[11:12], off
	global_load_b32 v17, v[11:12], off offset:1024
	global_load_b32 v18, v[11:12], off offset:2048
	;; [unrolled: 1-line block ×3, first 2 shown]
	s_clause 0x3
	global_load_b64 v[13:14], v[9:10], off
	global_load_b64 v[28:29], v[9:10], off offset:2048
	global_load_b64 v[30:31], v[9:10], off offset:4096
	;; [unrolled: 1-line block ×3, first 2 shown]
	s_wait_loadcnt 0x7
	v_subrev_nc_u32_e32 v9, s34, v16
	s_wait_loadcnt 0x6
	v_subrev_nc_u32_e32 v11, s34, v17
	;; [unrolled: 2-line block ×4, first 2 shown]
	s_wait_loadcnt 0x3
	v_cndmask_b32_e64 v14, v14, -v14, s33
	v_ashrrev_i32_e32 v10, 31, v9
	v_ashrrev_i32_e32 v12, 31, v11
	v_ashrrev_i32_e32 v17, 31, v16
	v_ashrrev_i32_e32 v19, 31, v18
	s_wait_loadcnt 0x2
	v_cndmask_b32_e64 v29, v29, -v29, s33
	v_lshlrev_b64_e32 v[9:10], 4, v[9:10]
	v_lshlrev_b64_e32 v[11:12], 4, v[11:12]
	;; [unrolled: 1-line block ×4, first 2 shown]
	s_wait_loadcnt 0x1
	v_cndmask_b32_e64 v31, v31, -v31, s33
	v_cvt_f64_f32_e32 v[34:35], v14
	v_add_co_u32 v9, vcc_lo, s18, v9
	s_wait_alu 0xfffd
	v_add_co_ci_u32_e64 v10, null, s19, v10, vcc_lo
	v_add_co_u32 v20, vcc_lo, s18, v11
	s_wait_alu 0xfffd
	v_add_co_ci_u32_e64 v21, null, s19, v12, vcc_lo
	;; [unrolled: 3-line block ×3, first 2 shown]
	v_add_co_u32 v24, vcc_lo, s18, v18
	global_load_b128 v[9:12], v[9:10], off
	s_wait_alu 0xfffd
	v_add_co_ci_u32_e64 v25, null, s19, v19, vcc_lo
	s_clause 0x2
	global_load_b128 v[16:19], v[20:21], off
	global_load_b128 v[20:23], v[22:23], off
	;; [unrolled: 1-line block ×3, first 2 shown]
	s_wait_loadcnt 0x4
	v_cndmask_b32_e64 v14, v33, -v33, s33
	v_cvt_f64_f32_e32 v[36:37], v29
	v_cvt_f64_f32_e32 v[38:39], v31
	;; [unrolled: 1-line block ×7, first 2 shown]
	v_mul_f64_e32 v[42:43], v[5:6], v[34:35]
	v_mul_f64_e64 v[34:35], -v[7:8], v[34:35]
	v_mul_f64_e32 v[44:45], v[5:6], v[36:37]
	v_mul_f64_e64 v[36:37], -v[7:8], v[36:37]
	;; [unrolled: 2-line block ×4, first 2 shown]
	v_fma_f64 v[42:43], v[7:8], v[13:14], v[42:43]
	v_fma_f64 v[13:14], v[5:6], v[13:14], v[34:35]
	;; [unrolled: 1-line block ×8, first 2 shown]
	s_wait_loadcnt 0x3
	v_mul_f64_e64 v[5:6], v[11:12], -v[42:43]
	v_mul_f64_e32 v[7:8], v[11:12], v[13:14]
	s_wait_loadcnt 0x2
	v_mul_f64_e64 v[11:12], v[18:19], -v[34:35]
	v_mul_f64_e32 v[18:19], v[18:19], v[28:29]
	;; [unrolled: 3-line block ×4, first 2 shown]
	v_fma_f64 v[5:6], v[13:14], v[9:10], v[5:6]
	v_fma_f64 v[7:8], v[42:43], v[9:10], v[7:8]
	;; [unrolled: 1-line block ×8, first 2 shown]
	ds_store_b128 v15, v[5:8]
	ds_store_b128 v15, v[9:12] offset:4096
	ds_store_b128 v15, v[16:19] offset:8192
	;; [unrolled: 1-line block ×3, first 2 shown]
.LBB112_81:
	s_or_b32 exec_lo, exec_lo, s0
	s_cmp_lt_i32 s26, 2
	s_mov_b32 s0, -1
	s_wait_storecnt 0x0
	s_wait_loadcnt_dscnt 0x0
	s_barrier_signal -1
	s_barrier_wait -1
	global_inv scope:SCOPE_SE
	s_cbranch_scc0 .LBB112_92
; %bb.82:
	v_add_co_u32 v13, s0, s20, v0
	s_wait_alu 0xf1fe
	v_add_co_ci_u32_e64 v14, null, s21, 0, s0
	s_mov_b32 s1, exec_lo
	v_cmpx_gt_i64_e64 s[22:23], v[13:14]
	s_cbranch_execz .LBB112_91
; %bb.83:
	v_cmp_neq_f64_e32 vcc_lo, 0, v[1:2]
	v_cmp_neq_f64_e64 s0, 0, v[3:4]
	s_lshl_b32 s4, s30, 4
	s_mov_b32 s2, 0
	s_wait_alu 0xfffe
	s_sub_co_i32 s4, 0, s4
	s_or_b32 s3, vcc_lo, s0
	s_branch .LBB112_85
.LBB112_84:                             ;   in Loop: Header=BB112_85 Depth=1
	s_wait_alu 0xfffe
	s_or_b32 exec_lo, exec_lo, s0
	v_add_co_u32 v13, vcc_lo, 0x100, v13
	s_wait_alu 0xfffd
	v_add_co_ci_u32_e64 v14, null, 0, v14, vcc_lo
	v_add_co_u32 v9, s0, s24, v9
	s_wait_alu 0xf1ff
	v_add_co_ci_u32_e64 v10, null, s25, v10, s0
	s_delay_alu instid0(VALU_DEP_3)
	v_cmp_le_i64_e32 vcc_lo, s[22:23], v[13:14]
	global_store_b128 v[9:10], v[5:8], off
	s_or_b32 s2, vcc_lo, s2
	s_wait_alu 0xfffe
	s_and_not1_b32 exec_lo, exec_lo, s2
	s_cbranch_execz .LBB112_91
.LBB112_85:                             ; =>This Loop Header: Depth=1
                                        ;     Child Loop BB112_87 Depth 2
	v_lshlrev_b64_e32 v[5:6], 3, v[13:14]
	v_mov_b32_e32 v7, 0
	v_mov_b32_e32 v8, 0
	s_mov_b32 s0, exec_lo
	s_delay_alu instid0(VALU_DEP_3)
	v_add_co_u32 v5, vcc_lo, s12, v5
	s_wait_alu 0xfffd
	v_add_co_ci_u32_e64 v6, null, s13, v6, vcc_lo
	global_load_b128 v[9:12], v[5:6], off
	v_mov_b32_e32 v5, 0
	v_mov_b32_e32 v6, 0
	s_wait_loadcnt 0x0
	v_subrev_nc_u32_e32 v10, s30, v9
	v_subrev_nc_u32_e32 v11, s30, v11
	s_delay_alu instid0(VALU_DEP_1)
	v_cmpx_lt_i32_e64 v10, v11
	s_cbranch_execz .LBB112_89
; %bb.86:                               ;   in Loop: Header=BB112_85 Depth=1
	v_mov_b32_e32 v7, 0
	v_mov_b32_e32 v8, 0
	s_wait_alu 0xfffe
	v_lshl_add_u32 v9, v9, 4, s4
	s_delay_alu instid0(VALU_DEP_3)
	v_mov_b32_e32 v5, v7
	s_mov_b32 s5, 0
	v_mov_b32_e32 v6, v8
.LBB112_87:                             ;   Parent Loop BB112_85 Depth=1
                                        ; =>  This Inner Loop Header: Depth=2
	ds_load_b128 v[16:19], v9
	v_add_nc_u32_e32 v10, 1, v10
	v_add_nc_u32_e32 v9, 16, v9
	s_delay_alu instid0(VALU_DEP_2)
	v_cmp_ge_i32_e32 vcc_lo, v10, v11
	s_wait_alu 0xfffe
	s_or_b32 s5, vcc_lo, s5
	s_wait_dscnt 0x0
	v_add_f64_e32 v[5:6], v[5:6], v[16:17]
	v_add_f64_e32 v[7:8], v[7:8], v[18:19]
	s_wait_alu 0xfffe
	s_and_not1_b32 exec_lo, exec_lo, s5
	s_cbranch_execnz .LBB112_87
; %bb.88:                               ;   in Loop: Header=BB112_85 Depth=1
	s_or_b32 exec_lo, exec_lo, s5
.LBB112_89:                             ;   in Loop: Header=BB112_85 Depth=1
	s_wait_alu 0xfffe
	s_or_b32 exec_lo, exec_lo, s0
	v_lshlrev_b64_e32 v[9:10], 4, v[13:14]
	s_and_saveexec_b32 s0, s3
	s_cbranch_execz .LBB112_84
; %bb.90:                               ;   in Loop: Header=BB112_85 Depth=1
	s_delay_alu instid0(VALU_DEP_1) | instskip(SKIP_1) | instid1(VALU_DEP_2)
	v_add_co_u32 v11, vcc_lo, s24, v9
	s_wait_alu 0xfffd
	v_add_co_ci_u32_e64 v12, null, s25, v10, vcc_lo
	global_load_b128 v[16:19], v[11:12], off
	s_wait_loadcnt 0x0
	v_fma_f64 v[5:6], v[1:2], v[16:17], v[5:6]
	v_fma_f64 v[7:8], v[3:4], v[16:17], v[7:8]
	s_delay_alu instid0(VALU_DEP_2) | instskip(NEXT) | instid1(VALU_DEP_2)
	v_fma_f64 v[5:6], -v[3:4], v[18:19], v[5:6]
	v_fma_f64 v[7:8], v[1:2], v[18:19], v[7:8]
	s_branch .LBB112_84
.LBB112_91:
	s_wait_alu 0xfffe
	s_or_b32 exec_lo, exec_lo, s1
	s_mov_b32 s0, 0
.LBB112_92:
	s_wait_alu 0xfffe
	s_and_not1_b32 vcc_lo, exec_lo, s0
	s_wait_alu 0xfffe
	s_cbranch_vccnz .LBB112_117
; %bb.93:
	s_clz_i32_u32 s0, s26
	s_mov_b32 s1, exec_lo
	s_wait_alu 0xfffe
	s_xor_b32 s0, s0, 31
	s_wait_alu 0xfffe
	v_lshrrev_b32_e32 v11, s0, v0
	s_delay_alu instid0(VALU_DEP_1)
	v_add_co_u32 v9, s0, s20, v11
	s_wait_alu 0xf1ff
	v_add_co_ci_u32_e64 v10, null, s21, 0, s0
	s_add_co_i32 s0, s26, -1
	s_wait_alu 0xfffe
	v_dual_mov_b32 v5, 0 :: v_dual_and_b32 v0, s0, v0
	v_mov_b32_e32 v6, 0
	v_cmp_le_i64_e32 vcc_lo, s[22:23], v[9:10]
	s_delay_alu instid0(VALU_DEP_2)
	v_dual_mov_b32 v8, v6 :: v_dual_mov_b32 v7, v5
	v_cmpx_gt_i64_e64 s[22:23], v[9:10]
	s_cbranch_execz .LBB112_99
; %bb.94:
	v_lshlrev_b32_e32 v5, 3, v11
	v_mov_b32_e32 v7, 0
	v_mov_b32_e32 v8, 0
	s_mov_b32 s2, exec_lo
	s_clause 0x1
	global_load_b32 v6, v5, s[28:29]
	global_load_b32 v5, v5, s[28:29] offset:8
	s_wait_loadcnt 0x1
	v_subrev_nc_u32_e32 v6, s30, v6
	s_wait_loadcnt 0x0
	v_subrev_nc_u32_e32 v11, s30, v5
	s_delay_alu instid0(VALU_DEP_2) | instskip(SKIP_1) | instid1(VALU_DEP_2)
	v_dual_mov_b32 v5, 0 :: v_dual_add_nc_u32 v12, v0, v6
	v_mov_b32_e32 v6, 0
	v_cmpx_lt_i32_e64 v12, v11
	s_cbranch_execz .LBB112_98
; %bb.95:
	v_mov_b32_e32 v7, 0
	v_dual_mov_b32 v8, 0 :: v_dual_lshlrev_b32 v13, 4, v12
	s_delay_alu instid0(VALU_DEP_2) | instskip(SKIP_2) | instid1(VALU_DEP_2)
	v_mov_b32_e32 v5, v7
	s_lshl_b32 s4, s26, 4
	s_mov_b32 s3, 0
	v_mov_b32_e32 v6, v8
.LBB112_96:                             ; =>This Inner Loop Header: Depth=1
	ds_load_b128 v[16:19], v13
	v_add_nc_u32_e32 v12, s26, v12
	s_wait_alu 0xfffe
	v_add_nc_u32_e32 v13, s4, v13
	s_delay_alu instid0(VALU_DEP_2)
	v_cmp_ge_i32_e64 s0, v12, v11
	s_or_b32 s3, s0, s3
	s_wait_dscnt 0x0
	v_add_f64_e32 v[5:6], v[5:6], v[16:17]
	v_add_f64_e32 v[7:8], v[7:8], v[18:19]
	s_wait_alu 0xfffe
	s_and_not1_b32 exec_lo, exec_lo, s3
	s_cbranch_execnz .LBB112_96
; %bb.97:
	s_or_b32 exec_lo, exec_lo, s3
.LBB112_98:
	s_wait_alu 0xfffe
	s_or_b32 exec_lo, exec_lo, s2
.LBB112_99:
	s_delay_alu instid0(SALU_CYCLE_1)
	s_or_b32 exec_lo, exec_lo, s1
	s_cmp_lt_u32 s26, 0x81
	s_wait_loadcnt 0x0
	s_wait_storecnt 0x0
	s_barrier_signal -1
	s_barrier_wait -1
	global_inv scope:SCOPE_SE
	ds_store_b128 v15, v[5:8]
	s_wait_loadcnt_dscnt 0x0
	s_barrier_signal -1
	s_barrier_wait -1
	global_inv scope:SCOPE_SE
	s_cbranch_scc1 .LBB112_101
; %bb.100:
	ds_load_b128 v[11:14], v15 offset:2048
	s_wait_loadcnt_dscnt 0x0
	s_barrier_signal -1
	s_barrier_wait -1
	global_inv scope:SCOPE_SE
	v_add_f64_e32 v[5:6], v[5:6], v[11:12]
	v_add_f64_e32 v[7:8], v[7:8], v[13:14]
	ds_store_b128 v15, v[5:8]
.LBB112_101:
	s_cmp_lt_u32 s26, 0x41
	s_wait_loadcnt_dscnt 0x0
	s_barrier_signal -1
	s_barrier_wait -1
	global_inv scope:SCOPE_SE
	s_cbranch_scc1 .LBB112_103
; %bb.102:
	ds_load_b128 v[11:14], v15 offset:1024
	s_wait_loadcnt_dscnt 0x0
	s_barrier_signal -1
	s_barrier_wait -1
	global_inv scope:SCOPE_SE
	v_add_f64_e32 v[5:6], v[5:6], v[11:12]
	v_add_f64_e32 v[7:8], v[7:8], v[13:14]
	ds_store_b128 v15, v[5:8]
.LBB112_103:
	s_cmp_lt_u32 s26, 33
	;; [unrolled: 16-line block ×5, first 2 shown]
	s_wait_loadcnt_dscnt 0x0
	s_barrier_signal -1
	s_barrier_wait -1
	global_inv scope:SCOPE_SE
	s_cbranch_scc1 .LBB112_111
; %bb.110:
	ds_load_b128 v[11:14], v15 offset:64
	s_wait_loadcnt_dscnt 0x0
	s_barrier_signal -1
	s_barrier_wait -1
	global_inv scope:SCOPE_SE
	v_add_f64_e32 v[5:6], v[5:6], v[11:12]
	v_add_f64_e32 v[7:8], v[7:8], v[13:14]
	ds_store_b128 v15, v[5:8]
.LBB112_111:
	s_cmp_eq_u32 s26, 2
	s_wait_loadcnt_dscnt 0x0
	s_barrier_signal -1
	s_barrier_wait -1
	global_inv scope:SCOPE_SE
	s_cbranch_scc1 .LBB112_113
; %bb.112:
	ds_load_b128 v[11:14], v15 offset:32
	s_wait_loadcnt_dscnt 0x0
	s_barrier_signal -1
	s_barrier_wait -1
	global_inv scope:SCOPE_SE
	v_add_f64_e32 v[5:6], v[5:6], v[11:12]
	v_add_f64_e32 v[7:8], v[7:8], v[13:14]
	ds_store_b128 v15, v[5:8]
.LBB112_113:
	s_wait_loadcnt_dscnt 0x0
	s_barrier_signal -1
	s_barrier_wait -1
	global_inv scope:SCOPE_SE
	ds_load_b128 v[11:14], v15 offset:16
	v_cmp_eq_u32_e64 s0, 0, v0
	s_xor_b32 s1, vcc_lo, -1
	s_wait_loadcnt_dscnt 0x0
	s_barrier_signal -1
	s_barrier_wait -1
	s_wait_alu 0xfffe
	s_and_b32 s0, s0, s1
	global_inv scope:SCOPE_SE
	v_add_f64_e32 v[5:6], v[5:6], v[11:12]
	v_add_f64_e32 v[7:8], v[7:8], v[13:14]
	ds_store_b128 v15, v[5:8]
	s_wait_alu 0xfffe
	s_and_b32 exec_lo, exec_lo, s0
	s_cbranch_execz .LBB112_117
; %bb.114:
	v_cmp_neq_f64_e32 vcc_lo, 0, v[1:2]
	v_cmp_neq_f64_e64 s0, 0, v[3:4]
	v_lshlrev_b64_e32 v[9:10], 4, v[9:10]
	s_or_b32 s1, vcc_lo, s0
	s_wait_alu 0xfffe
	s_and_saveexec_b32 s0, s1
	s_cbranch_execz .LBB112_116
; %bb.115:
	s_delay_alu instid0(VALU_DEP_1)
	v_add_co_u32 v11, vcc_lo, s24, v9
	s_wait_alu 0xfffd
	v_add_co_ci_u32_e64 v12, null, s25, v10, vcc_lo
	global_load_b128 v[11:14], v[11:12], off
	s_wait_loadcnt 0x0
	v_fma_f64 v[5:6], v[1:2], v[11:12], v[5:6]
	v_fma_f64 v[7:8], v[3:4], v[11:12], v[7:8]
	s_delay_alu instid0(VALU_DEP_2) | instskip(NEXT) | instid1(VALU_DEP_2)
	v_fma_f64 v[5:6], -v[3:4], v[13:14], v[5:6]
	v_fma_f64 v[7:8], v[1:2], v[13:14], v[7:8]
.LBB112_116:
	s_wait_alu 0xfffe
	s_or_b32 exec_lo, exec_lo, s0
	v_add_co_u32 v0, vcc_lo, s24, v9
	s_wait_alu 0xfffd
	v_add_co_ci_u32_e64 v1, null, s25, v10, vcc_lo
	global_store_b128 v[0:1], v[5:8], off
.LBB112_117:
	s_endpgm
	.section	.rodata,"a",@progbits
	.p2align	6, 0x0
	.amdhsa_kernel _ZN9rocsparseL22csrmvn_adaptive_kernelIli21rocsparse_complex_numIfES1_IdES3_S3_EEvbT_PKS4_PjPKT0_NS_24const_host_device_scalarIT4_EES6_SA_PKT1_PKT2_SD_PT3_21rocsparse_index_base_b
		.amdhsa_group_segment_fixed_size 16384
		.amdhsa_private_segment_fixed_size 0
		.amdhsa_kernarg_size 120
		.amdhsa_user_sgpr_count 2
		.amdhsa_user_sgpr_dispatch_ptr 0
		.amdhsa_user_sgpr_queue_ptr 0
		.amdhsa_user_sgpr_kernarg_segment_ptr 1
		.amdhsa_user_sgpr_dispatch_id 0
		.amdhsa_user_sgpr_private_segment_size 0
		.amdhsa_wavefront_size32 1
		.amdhsa_uses_dynamic_stack 0
		.amdhsa_enable_private_segment 0
		.amdhsa_system_sgpr_workgroup_id_x 1
		.amdhsa_system_sgpr_workgroup_id_y 0
		.amdhsa_system_sgpr_workgroup_id_z 0
		.amdhsa_system_sgpr_workgroup_info 0
		.amdhsa_system_vgpr_workitem_id 0
		.amdhsa_next_free_vgpr 50
		.amdhsa_next_free_sgpr 48
		.amdhsa_reserve_vcc 1
		.amdhsa_float_round_mode_32 0
		.amdhsa_float_round_mode_16_64 0
		.amdhsa_float_denorm_mode_32 3
		.amdhsa_float_denorm_mode_16_64 3
		.amdhsa_fp16_overflow 0
		.amdhsa_workgroup_processor_mode 1
		.amdhsa_memory_ordered 1
		.amdhsa_forward_progress 1
		.amdhsa_inst_pref_size 52
		.amdhsa_round_robin_scheduling 0
		.amdhsa_exception_fp_ieee_invalid_op 0
		.amdhsa_exception_fp_denorm_src 0
		.amdhsa_exception_fp_ieee_div_zero 0
		.amdhsa_exception_fp_ieee_overflow 0
		.amdhsa_exception_fp_ieee_underflow 0
		.amdhsa_exception_fp_ieee_inexact 0
		.amdhsa_exception_int_div_zero 0
	.end_amdhsa_kernel
	.section	.text._ZN9rocsparseL22csrmvn_adaptive_kernelIli21rocsparse_complex_numIfES1_IdES3_S3_EEvbT_PKS4_PjPKT0_NS_24const_host_device_scalarIT4_EES6_SA_PKT1_PKT2_SD_PT3_21rocsparse_index_base_b,"axG",@progbits,_ZN9rocsparseL22csrmvn_adaptive_kernelIli21rocsparse_complex_numIfES1_IdES3_S3_EEvbT_PKS4_PjPKT0_NS_24const_host_device_scalarIT4_EES6_SA_PKT1_PKT2_SD_PT3_21rocsparse_index_base_b,comdat
.Lfunc_end112:
	.size	_ZN9rocsparseL22csrmvn_adaptive_kernelIli21rocsparse_complex_numIfES1_IdES3_S3_EEvbT_PKS4_PjPKT0_NS_24const_host_device_scalarIT4_EES6_SA_PKT1_PKT2_SD_PT3_21rocsparse_index_base_b, .Lfunc_end112-_ZN9rocsparseL22csrmvn_adaptive_kernelIli21rocsparse_complex_numIfES1_IdES3_S3_EEvbT_PKS4_PjPKT0_NS_24const_host_device_scalarIT4_EES6_SA_PKT1_PKT2_SD_PT3_21rocsparse_index_base_b
                                        ; -- End function
	.set _ZN9rocsparseL22csrmvn_adaptive_kernelIli21rocsparse_complex_numIfES1_IdES3_S3_EEvbT_PKS4_PjPKT0_NS_24const_host_device_scalarIT4_EES6_SA_PKT1_PKT2_SD_PT3_21rocsparse_index_base_b.num_vgpr, 50
	.set _ZN9rocsparseL22csrmvn_adaptive_kernelIli21rocsparse_complex_numIfES1_IdES3_S3_EEvbT_PKS4_PjPKT0_NS_24const_host_device_scalarIT4_EES6_SA_PKT1_PKT2_SD_PT3_21rocsparse_index_base_b.num_agpr, 0
	.set _ZN9rocsparseL22csrmvn_adaptive_kernelIli21rocsparse_complex_numIfES1_IdES3_S3_EEvbT_PKS4_PjPKT0_NS_24const_host_device_scalarIT4_EES6_SA_PKT1_PKT2_SD_PT3_21rocsparse_index_base_b.numbered_sgpr, 48
	.set _ZN9rocsparseL22csrmvn_adaptive_kernelIli21rocsparse_complex_numIfES1_IdES3_S3_EEvbT_PKS4_PjPKT0_NS_24const_host_device_scalarIT4_EES6_SA_PKT1_PKT2_SD_PT3_21rocsparse_index_base_b.num_named_barrier, 0
	.set _ZN9rocsparseL22csrmvn_adaptive_kernelIli21rocsparse_complex_numIfES1_IdES3_S3_EEvbT_PKS4_PjPKT0_NS_24const_host_device_scalarIT4_EES6_SA_PKT1_PKT2_SD_PT3_21rocsparse_index_base_b.private_seg_size, 0
	.set _ZN9rocsparseL22csrmvn_adaptive_kernelIli21rocsparse_complex_numIfES1_IdES3_S3_EEvbT_PKS4_PjPKT0_NS_24const_host_device_scalarIT4_EES6_SA_PKT1_PKT2_SD_PT3_21rocsparse_index_base_b.uses_vcc, 1
	.set _ZN9rocsparseL22csrmvn_adaptive_kernelIli21rocsparse_complex_numIfES1_IdES3_S3_EEvbT_PKS4_PjPKT0_NS_24const_host_device_scalarIT4_EES6_SA_PKT1_PKT2_SD_PT3_21rocsparse_index_base_b.uses_flat_scratch, 0
	.set _ZN9rocsparseL22csrmvn_adaptive_kernelIli21rocsparse_complex_numIfES1_IdES3_S3_EEvbT_PKS4_PjPKT0_NS_24const_host_device_scalarIT4_EES6_SA_PKT1_PKT2_SD_PT3_21rocsparse_index_base_b.has_dyn_sized_stack, 0
	.set _ZN9rocsparseL22csrmvn_adaptive_kernelIli21rocsparse_complex_numIfES1_IdES3_S3_EEvbT_PKS4_PjPKT0_NS_24const_host_device_scalarIT4_EES6_SA_PKT1_PKT2_SD_PT3_21rocsparse_index_base_b.has_recursion, 0
	.set _ZN9rocsparseL22csrmvn_adaptive_kernelIli21rocsparse_complex_numIfES1_IdES3_S3_EEvbT_PKS4_PjPKT0_NS_24const_host_device_scalarIT4_EES6_SA_PKT1_PKT2_SD_PT3_21rocsparse_index_base_b.has_indirect_call, 0
	.section	.AMDGPU.csdata,"",@progbits
; Kernel info:
; codeLenInByte = 6656
; TotalNumSgprs: 50
; NumVgprs: 50
; ScratchSize: 0
; MemoryBound: 0
; FloatMode: 240
; IeeeMode: 1
; LDSByteSize: 16384 bytes/workgroup (compile time only)
; SGPRBlocks: 0
; VGPRBlocks: 6
; NumSGPRsForWavesPerEU: 50
; NumVGPRsForWavesPerEU: 50
; Occupancy: 16
; WaveLimiterHint : 1
; COMPUTE_PGM_RSRC2:SCRATCH_EN: 0
; COMPUTE_PGM_RSRC2:USER_SGPR: 2
; COMPUTE_PGM_RSRC2:TRAP_HANDLER: 0
; COMPUTE_PGM_RSRC2:TGID_X_EN: 1
; COMPUTE_PGM_RSRC2:TGID_Y_EN: 0
; COMPUTE_PGM_RSRC2:TGID_Z_EN: 0
; COMPUTE_PGM_RSRC2:TIDIG_COMP_CNT: 0
	.section	.text._ZN9rocsparseL27csrmvn_symm_adaptive_kernelIli21rocsparse_complex_numIfES1_IdES3_S3_EEvbT_S4_PKS4_NS_24const_host_device_scalarIT4_EES6_PKT0_PKT1_PKT2_S9_PT3_21rocsparse_index_base_b,"axG",@progbits,_ZN9rocsparseL27csrmvn_symm_adaptive_kernelIli21rocsparse_complex_numIfES1_IdES3_S3_EEvbT_S4_PKS4_NS_24const_host_device_scalarIT4_EES6_PKT0_PKT1_PKT2_S9_PT3_21rocsparse_index_base_b,comdat
	.globl	_ZN9rocsparseL27csrmvn_symm_adaptive_kernelIli21rocsparse_complex_numIfES1_IdES3_S3_EEvbT_S4_PKS4_NS_24const_host_device_scalarIT4_EES6_PKT0_PKT1_PKT2_S9_PT3_21rocsparse_index_base_b ; -- Begin function _ZN9rocsparseL27csrmvn_symm_adaptive_kernelIli21rocsparse_complex_numIfES1_IdES3_S3_EEvbT_S4_PKS4_NS_24const_host_device_scalarIT4_EES6_PKT0_PKT1_PKT2_S9_PT3_21rocsparse_index_base_b
	.p2align	8
	.type	_ZN9rocsparseL27csrmvn_symm_adaptive_kernelIli21rocsparse_complex_numIfES1_IdES3_S3_EEvbT_S4_PKS4_NS_24const_host_device_scalarIT4_EES6_PKT0_PKT1_PKT2_S9_PT3_21rocsparse_index_base_b,@function
_ZN9rocsparseL27csrmvn_symm_adaptive_kernelIli21rocsparse_complex_numIfES1_IdES3_S3_EEvbT_S4_PKS4_NS_24const_host_device_scalarIT4_EES6_PKT0_PKT1_PKT2_S9_PT3_21rocsparse_index_base_b: ; @_ZN9rocsparseL27csrmvn_symm_adaptive_kernelIli21rocsparse_complex_numIfES1_IdES3_S3_EEvbT_S4_PKS4_NS_24const_host_device_scalarIT4_EES6_PKT0_PKT1_PKT2_S9_PT3_21rocsparse_index_base_b
; %bb.0:
	s_clause 0x1
	s_load_b64 s[24:25], s[0:1], 0x68
	s_load_b64 s[4:5], s[0:1], 0x20
	s_add_nc_u64 s[6:7], s[0:1], 32
	s_wait_kmcnt 0x0
	s_bitcmp1_b32 s25, 0
	s_cselect_b32 s3, -1, 0
	s_delay_alu instid0(SALU_CYCLE_1) | instskip(SKIP_2) | instid1(SALU_CYCLE_1)
	s_and_b32 s2, s3, exec_lo
	s_cselect_b32 s2, s6, s4
	s_cselect_b32 s4, s7, s5
	v_dual_mov_b32 v1, s2 :: v_dual_mov_b32 v2, s4
	flat_load_b128 v[2:5], v[1:2]
	s_wait_loadcnt_dscnt 0x0
	v_cmp_eq_f64_e32 vcc_lo, 0, v[2:3]
	v_cmp_eq_f64_e64 s2, 0, v[4:5]
	s_and_b32 s5, vcc_lo, s2
	s_mov_b32 s2, -1
	s_wait_alu 0xfffe
	s_and_saveexec_b32 s4, s5
	s_cbranch_execz .LBB113_2
; %bb.1:
	s_load_b64 s[6:7], s[0:1], 0x50
	s_add_nc_u64 s[8:9], s[0:1], 0x50
	s_and_b32 s2, s3, exec_lo
	s_wait_kmcnt 0x0
	s_cselect_b32 s2, s8, s6
	s_cselect_b32 s3, s9, s7
	s_wait_alu 0xfffe
	v_dual_mov_b32 v6, s2 :: v_dual_mov_b32 v7, s3
	flat_load_b128 v[6:9], v[6:7]
	s_wait_loadcnt_dscnt 0x0
	v_cmp_neq_f64_e32 vcc_lo, 1.0, v[6:7]
	v_cmp_neq_f64_e64 s2, 0, v[8:9]
	s_or_b32 s2, vcc_lo, s2
	s_wait_alu 0xfffe
	s_or_not1_b32 s2, s2, exec_lo
.LBB113_2:
	s_wait_alu 0xfffe
	s_or_b32 exec_lo, exec_lo, s4
	s_and_saveexec_b32 s3, s2
	s_cbranch_execz .LBB113_199
; %bb.3:
	s_clause 0x1
	s_load_b32 s3, s[0:1], 0x0
	s_load_b64 s[8:9], s[0:1], 0x18
	s_mov_b32 s25, 0
	s_mov_b32 s2, ttmp9
	s_mov_b32 s7, s25
	s_mov_b32 s4, s25
	;; [unrolled: 1-line block ×4, first 2 shown]
	v_dual_mov_b32 v9, s7 :: v_dual_lshlrev_b32 v26, 4, v0
	s_wait_alu 0xfffe
	v_dual_mov_b32 v8, s6 :: v_dual_mov_b32 v7, s5
	v_mov_b32_e32 v6, s4
	ds_store_b128 v26, v[6:9]
	ds_store_b128 v26, v[6:9] offset:4096
	ds_store_b128 v26, v[6:9] offset:8192
	;; [unrolled: 1-line block ×3, first 2 shown]
	s_wait_dscnt 0x0
	s_barrier_signal -1
	s_wait_kmcnt 0x0
	s_bitcmp1_b32 s3, 0
	s_barrier_wait -1
	s_cselect_b32 s33, -1, 0
	s_ashr_i32 s3, ttmp9, 31
	global_inv scope:SCOPE_SE
	s_wait_alu 0xfffe
	s_lshl_b64 s[2:3], s[2:3], 3
	s_wait_alu 0xfffe
	s_add_nc_u64 s[2:3], s[8:9], s[2:3]
	s_load_b128 s[16:19], s[2:3], 0x0
	s_clause 0x1
	s_load_b64 s[20:21], s[0:1], 0x60
	s_load_b256 s[8:15], s[0:1], 0x30
	s_wait_kmcnt 0x0
	s_sub_nc_u64 s[22:23], s[18:19], s[16:17]
	s_delay_alu instid0(SALU_CYCLE_1)
	v_cmp_gt_i64_e64 s2, s[22:23], 2
	s_and_b32 vcc_lo, exec_lo, s2
	s_mov_b32 s2, -1
	s_cbranch_vccnz .LBB113_47
; %bb.4:
	v_cmp_le_i64_e64 s2, s[18:19], s[16:17]
	v_sub_co_u32 v1, s3, v0, s24
	v_mov_b32_e32 v17, 0
	s_wait_alu 0xf1ff
	v_sub_co_ci_u32_e64 v16, null, 0, 0, s3
	s_wait_alu 0xfffe
	s_and_b32 vcc_lo, exec_lo, s2
	s_cbranch_vccnz .LBB113_34
; %bb.5:
	v_cmp_gt_u32_e64 s2, 0x100, v0
	v_cmp_gt_u32_e64 s3, 64, v0
	;; [unrolled: 1-line block ×4, first 2 shown]
	v_cmp_eq_u32_e64 s6, 0, v0
	s_add_nc_u64 s[26:27], s[12:13], 4
	s_mov_b64 s[28:29], s[16:17]
	s_branch .LBB113_7
.LBB113_6:                              ;   in Loop: Header=BB113_7 Depth=1
	s_wait_alu 0xfffe
	s_or_b32 exec_lo, exec_lo, s7
	s_add_nc_u64 s[28:29], s[28:29], 1
	s_wait_alu 0xfffe
	v_cmp_ge_i64_e64 s7, s[28:29], s[18:19]
	s_and_b32 vcc_lo, exec_lo, s7
	s_wait_alu 0xfffe
	s_cbranch_vccnz .LBB113_34
.LBB113_7:                              ; =>This Loop Header: Depth=1
                                        ;     Child Loop BB113_9 Depth 2
                                        ;     Child Loop BB113_23 Depth 2
	;; [unrolled: 1-line block ×5, first 2 shown]
	s_lshl_b64 s[30:31], s[28:29], 3
	v_mov_b32_e32 v8, 0
	s_wait_alu 0xfffe
	s_add_nc_u64 s[30:31], s[8:9], s[30:31]
	v_dual_mov_b32 v9, 0 :: v_dual_mov_b32 v6, 0
	s_load_b128 s[36:39], s[30:31], 0x0
	v_mov_b32_e32 v7, 0
	s_mov_b32 s34, exec_lo
	s_wait_kmcnt 0x0
	v_add_co_u32 v10, vcc_lo, s36, v1
	s_wait_alu 0xfffd
	v_add_co_ci_u32_e64 v11, null, s37, v16, vcc_lo
	s_sub_nc_u64 s[30:31], s[38:39], s[24:25]
	s_wait_alu 0xfffe
	v_cmpx_gt_i64_e64 s[30:31], v[10:11]
	s_cbranch_execz .LBB113_11
; %bb.8:                                ;   in Loop: Header=BB113_7 Depth=1
	v_lshlrev_b64_e32 v[6:7], 2, v[10:11]
	v_lshlrev_b64_e32 v[14:15], 3, v[10:11]
	v_mov_b32_e32 v8, 0
	v_mov_b32_e32 v9, 0
	s_mov_b32 s35, 0
	s_delay_alu instid0(VALU_DEP_4)
	v_add_co_u32 v12, vcc_lo, s10, v6
	s_wait_alu 0xfffd
	v_add_co_ci_u32_e64 v13, null, s11, v7, vcc_lo
	v_add_co_u32 v14, vcc_lo, s26, v14
	s_wait_alu 0xfffd
	v_add_co_ci_u32_e64 v15, null, s27, v15, vcc_lo
	v_dual_mov_b32 v6, v8 :: v_dual_mov_b32 v7, v9
.LBB113_9:                              ;   Parent Loop BB113_7 Depth=1
                                        ; =>  This Inner Loop Header: Depth=2
	global_load_b32 v18, v[12:13], off
	global_load_b64 v[22:23], v[14:15], off offset:-4
	v_add_co_u32 v14, s7, 0x800, v14
	s_wait_alu 0xf1ff
	v_add_co_ci_u32_e64 v15, null, 0, v15, s7
	s_wait_loadcnt 0x1
	v_subrev_nc_u32_e32 v18, s24, v18
	s_wait_loadcnt 0x0
	v_cndmask_b32_e64 v24, v23, -v23, s33
	v_cvt_f64_f32_e32 v[22:23], v22
	s_delay_alu instid0(VALU_DEP_3) | instskip(NEXT) | instid1(VALU_DEP_3)
	v_ashrrev_i32_e32 v19, 31, v18
	v_cvt_f64_f32_e32 v[24:25], v24
	s_delay_alu instid0(VALU_DEP_2) | instskip(NEXT) | instid1(VALU_DEP_1)
	v_lshlrev_b64_e32 v[18:19], 4, v[18:19]
	v_add_co_u32 v18, vcc_lo, s14, v18
	s_wait_alu 0xfffd
	s_delay_alu instid0(VALU_DEP_2)
	v_add_co_ci_u32_e64 v19, null, s15, v19, vcc_lo
	v_add_co_u32 v10, vcc_lo, 0x100, v10
	s_wait_alu 0xfffd
	v_add_co_ci_u32_e64 v11, null, 0, v11, vcc_lo
	global_load_b128 v[18:21], v[18:19], off
	v_add_co_u32 v12, vcc_lo, 0x400, v12
	s_wait_alu 0xfffd
	v_add_co_ci_u32_e64 v13, null, 0, v13, vcc_lo
	v_cmp_le_i64_e32 vcc_lo, s[30:31], v[10:11]
	s_wait_alu 0xfffe
	s_or_b32 s35, vcc_lo, s35
	s_wait_loadcnt 0x0
	v_fma_f64 v[6:7], v[22:23], v[18:19], v[6:7]
	v_fma_f64 v[8:9], v[24:25], v[18:19], v[8:9]
	s_delay_alu instid0(VALU_DEP_2) | instskip(NEXT) | instid1(VALU_DEP_2)
	v_fma_f64 v[6:7], -v[24:25], v[20:21], v[6:7]
	v_fma_f64 v[8:9], v[22:23], v[20:21], v[8:9]
	s_wait_alu 0xfffe
	s_and_not1_b32 exec_lo, exec_lo, s35
	s_cbranch_execnz .LBB113_9
; %bb.10:                               ;   in Loop: Header=BB113_7 Depth=1
	s_or_b32 exec_lo, exec_lo, s35
.LBB113_11:                             ;   in Loop: Header=BB113_7 Depth=1
	s_delay_alu instid0(SALU_CYCLE_1)
	s_or_b32 exec_lo, exec_lo, s34
	ds_store_b128 v26, v[6:9]
	s_wait_loadcnt_dscnt 0x0
	s_barrier_signal -1
	s_barrier_wait -1
	global_inv scope:SCOPE_SE
	s_and_saveexec_b32 s7, s2
	s_cbranch_execz .LBB113_13
; %bb.12:                               ;   in Loop: Header=BB113_7 Depth=1
	ds_load_b128 v[6:9], v26 offset:4096
	ds_load_b128 v[10:13], v26 offset:8192
	ds_load_b128 v[18:21], v26 offset:12288
	ds_load_b128 v[22:25], v26
	s_wait_dscnt 0x2
	v_add_f64_e32 v[6:7], v[10:11], v[6:7]
	v_add_f64_e32 v[8:9], v[12:13], v[8:9]
	s_wait_dscnt 0x1
	s_delay_alu instid0(VALU_DEP_2) | instskip(NEXT) | instid1(VALU_DEP_2)
	v_add_f64_e32 v[6:7], v[6:7], v[18:19]
	v_add_f64_e32 v[8:9], v[8:9], v[20:21]
	s_wait_dscnt 0x0
	s_delay_alu instid0(VALU_DEP_2) | instskip(NEXT) | instid1(VALU_DEP_2)
	v_add_f64_e32 v[6:7], v[6:7], v[22:23]
	v_add_f64_e32 v[8:9], v[8:9], v[24:25]
	ds_store_b128 v26, v[6:9]
.LBB113_13:                             ;   in Loop: Header=BB113_7 Depth=1
	s_wait_alu 0xfffe
	s_or_b32 exec_lo, exec_lo, s7
	s_wait_loadcnt_dscnt 0x0
	s_barrier_signal -1
	s_barrier_wait -1
	global_inv scope:SCOPE_SE
	s_and_saveexec_b32 s7, s3
	s_cbranch_execz .LBB113_15
; %bb.14:                               ;   in Loop: Header=BB113_7 Depth=1
	ds_load_b128 v[6:9], v26 offset:1024
	ds_load_b128 v[10:13], v26 offset:2048
	ds_load_b128 v[18:21], v26 offset:3072
	ds_load_b128 v[22:25], v26
	s_wait_dscnt 0x2
	v_add_f64_e32 v[6:7], v[10:11], v[6:7]
	v_add_f64_e32 v[8:9], v[12:13], v[8:9]
	s_wait_dscnt 0x1
	s_delay_alu instid0(VALU_DEP_2) | instskip(NEXT) | instid1(VALU_DEP_2)
	v_add_f64_e32 v[6:7], v[6:7], v[18:19]
	v_add_f64_e32 v[8:9], v[8:9], v[20:21]
	s_wait_dscnt 0x0
	s_delay_alu instid0(VALU_DEP_2) | instskip(NEXT) | instid1(VALU_DEP_2)
	v_add_f64_e32 v[6:7], v[6:7], v[22:23]
	v_add_f64_e32 v[8:9], v[8:9], v[24:25]
	ds_store_b128 v26, v[6:9]
.LBB113_15:                             ;   in Loop: Header=BB113_7 Depth=1
	s_wait_alu 0xfffe
	s_or_b32 exec_lo, exec_lo, s7
	s_wait_loadcnt_dscnt 0x0
	s_barrier_signal -1
	s_barrier_wait -1
	global_inv scope:SCOPE_SE
	s_and_saveexec_b32 s7, s4
	s_cbranch_execz .LBB113_17
; %bb.16:                               ;   in Loop: Header=BB113_7 Depth=1
	ds_load_b128 v[6:9], v26 offset:256
	ds_load_b128 v[10:13], v26 offset:512
	ds_load_b128 v[18:21], v26 offset:768
	ds_load_b128 v[22:25], v26
	s_wait_dscnt 0x2
	v_add_f64_e32 v[6:7], v[10:11], v[6:7]
	v_add_f64_e32 v[8:9], v[12:13], v[8:9]
	s_wait_dscnt 0x1
	s_delay_alu instid0(VALU_DEP_2) | instskip(NEXT) | instid1(VALU_DEP_2)
	v_add_f64_e32 v[6:7], v[6:7], v[18:19]
	v_add_f64_e32 v[8:9], v[8:9], v[20:21]
	s_wait_dscnt 0x0
	s_delay_alu instid0(VALU_DEP_2) | instskip(NEXT) | instid1(VALU_DEP_2)
	v_add_f64_e32 v[6:7], v[6:7], v[22:23]
	v_add_f64_e32 v[8:9], v[8:9], v[24:25]
	ds_store_b128 v26, v[6:9]
.LBB113_17:                             ;   in Loop: Header=BB113_7 Depth=1
	s_wait_alu 0xfffe
	s_or_b32 exec_lo, exec_lo, s7
	s_wait_loadcnt_dscnt 0x0
	s_barrier_signal -1
	s_barrier_wait -1
	global_inv scope:SCOPE_SE
	s_and_saveexec_b32 s7, s5
	s_cbranch_execz .LBB113_19
; %bb.18:                               ;   in Loop: Header=BB113_7 Depth=1
	ds_load_b128 v[6:9], v26 offset:64
	ds_load_b128 v[10:13], v26 offset:128
	ds_load_b128 v[18:21], v26 offset:192
	ds_load_b128 v[22:25], v26
	s_wait_dscnt 0x2
	v_add_f64_e32 v[6:7], v[10:11], v[6:7]
	v_add_f64_e32 v[8:9], v[12:13], v[8:9]
	s_wait_dscnt 0x1
	s_delay_alu instid0(VALU_DEP_2) | instskip(NEXT) | instid1(VALU_DEP_2)
	v_add_f64_e32 v[6:7], v[6:7], v[18:19]
	v_add_f64_e32 v[8:9], v[8:9], v[20:21]
	s_wait_dscnt 0x0
	s_delay_alu instid0(VALU_DEP_2) | instskip(NEXT) | instid1(VALU_DEP_2)
	v_add_f64_e32 v[6:7], v[6:7], v[22:23]
	v_add_f64_e32 v[8:9], v[8:9], v[24:25]
	ds_store_b128 v26, v[6:9]
.LBB113_19:                             ;   in Loop: Header=BB113_7 Depth=1
	s_wait_alu 0xfffe
	s_or_b32 exec_lo, exec_lo, s7
	s_wait_loadcnt_dscnt 0x0
	s_barrier_signal -1
	s_barrier_wait -1
	global_inv scope:SCOPE_SE
	s_and_saveexec_b32 s7, s6
	s_cbranch_execz .LBB113_21
; %bb.20:                               ;   in Loop: Header=BB113_7 Depth=1
	ds_load_b128 v[6:9], v17 offset:16
	ds_load_b128 v[10:13], v17 offset:32
	ds_load_b128 v[18:21], v17 offset:48
	ds_load_b128 v[22:25], v26
	s_wait_dscnt 0x2
	v_add_f64_e32 v[6:7], v[10:11], v[6:7]
	v_add_f64_e32 v[8:9], v[12:13], v[8:9]
	s_wait_dscnt 0x1
	s_delay_alu instid0(VALU_DEP_2) | instskip(NEXT) | instid1(VALU_DEP_2)
	v_add_f64_e32 v[6:7], v[6:7], v[18:19]
	v_add_f64_e32 v[8:9], v[8:9], v[20:21]
	s_wait_dscnt 0x0
	s_delay_alu instid0(VALU_DEP_2) | instskip(NEXT) | instid1(VALU_DEP_2)
	v_add_f64_e32 v[6:7], v[6:7], v[22:23]
	v_add_f64_e32 v[8:9], v[8:9], v[24:25]
	ds_store_b128 v26, v[6:9]
.LBB113_21:                             ;   in Loop: Header=BB113_7 Depth=1
	s_wait_alu 0xfffe
	s_or_b32 exec_lo, exec_lo, s7
	s_wait_loadcnt_dscnt 0x0
	s_barrier_signal -1
	s_barrier_wait -1
	global_inv scope:SCOPE_SE
	s_and_saveexec_b32 s7, s6
	s_cbranch_execz .LBB113_6
; %bb.22:                               ;   in Loop: Header=BB113_7 Depth=1
	ds_load_b128 v[6:9], v17
	v_mov_b32_e32 v14, 0
	v_bfrev_b32_e32 v15, 1
	s_mov_b32 s30, exec_lo
	s_wait_dscnt 0x0
	v_mul_f64_e64 v[10:11], v[8:9], -v[4:5]
	s_delay_alu instid0(VALU_DEP_1)
	v_fma_f64 v[10:11], v[2:3], v[6:7], v[10:11]
.LBB113_23:                             ;   Parent Loop BB113_7 Depth=1
                                        ; =>  This Inner Loop Header: Depth=2
	s_wait_alu 0xfffe
	s_ctz_i32_b32 s31, s30
	s_wait_alu 0xfffe
	s_delay_alu instid0(VALU_DEP_1) | instskip(NEXT) | instid1(VALU_DEP_2)
	v_readlane_b32 s35, v11, s31
	v_readlane_b32 s34, v10, s31
	s_lshl_b32 s31, 1, s31
	s_wait_alu 0xfffe
	s_and_not1_b32 s30, s30, s31
	v_add_f64_e32 v[14:15], s[34:35], v[14:15]
	s_wait_alu 0xfffe
	s_cmp_lg_u32 s30, 0
	s_cbranch_scc1 .LBB113_23
; %bb.24:                               ;   in Loop: Header=BB113_7 Depth=1
	v_mbcnt_lo_u32_b32 v10, exec_lo, 0
	s_lshl_b64 s[30:31], s[28:29], 4
	s_mov_b32 s34, exec_lo
	s_wait_alu 0xfffe
	s_add_nc_u64 s[30:31], s[20:21], s[30:31]
	v_cmpx_eq_u32_e32 0, v10
	s_xor_b32 s34, exec_lo, s34
	s_cbranch_execz .LBB113_28
; %bb.25:                               ;   in Loop: Header=BB113_7 Depth=1
	global_load_b64 v[12:13], v17, s[30:31]
	s_mov_b32 s35, 0
.LBB113_26:                             ;   Parent Loop BB113_7 Depth=1
                                        ; =>  This Inner Loop Header: Depth=2
	s_wait_loadcnt 0x0
	v_add_f64_e32 v[10:11], v[12:13], v[14:15]
	global_atomic_cmpswap_b64 v[10:11], v17, v[10:13], s[30:31] th:TH_ATOMIC_RETURN scope:SCOPE_DEV
	s_wait_loadcnt 0x0
	v_cmp_eq_u64_e32 vcc_lo, v[10:11], v[12:13]
	v_dual_mov_b32 v13, v11 :: v_dual_mov_b32 v12, v10
	s_wait_alu 0xfffe
	s_or_b32 s35, vcc_lo, s35
	s_wait_alu 0xfffe
	s_and_not1_b32 exec_lo, exec_lo, s35
	s_cbranch_execnz .LBB113_26
; %bb.27:                               ;   in Loop: Header=BB113_7 Depth=1
	s_or_b32 exec_lo, exec_lo, s35
.LBB113_28:                             ;   in Loop: Header=BB113_7 Depth=1
	s_wait_alu 0xfffe
	s_or_b32 exec_lo, exec_lo, s34
	v_mul_f64_e32 v[8:9], v[2:3], v[8:9]
	v_mov_b32_e32 v10, 0
	v_bfrev_b32_e32 v11, 1
	s_mov_b32 s34, exec_lo
	s_delay_alu instid0(VALU_DEP_3)
	v_fma_f64 v[6:7], v[4:5], v[6:7], v[8:9]
.LBB113_29:                             ;   Parent Loop BB113_7 Depth=1
                                        ; =>  This Inner Loop Header: Depth=2
	s_wait_alu 0xfffe
	s_ctz_i32_b32 s35, s34
	s_wait_alu 0xfffe
	s_delay_alu instid0(VALU_DEP_1) | instskip(NEXT) | instid1(VALU_DEP_2)
	v_readlane_b32 s37, v7, s35
	v_readlane_b32 s36, v6, s35
	s_lshl_b32 s35, 1, s35
	s_wait_alu 0xfffe
	s_and_not1_b32 s34, s34, s35
	v_add_f64_e32 v[10:11], s[36:37], v[10:11]
	s_wait_alu 0xfffe
	s_cmp_lg_u32 s34, 0
	s_cbranch_scc1 .LBB113_29
; %bb.30:                               ;   in Loop: Header=BB113_7 Depth=1
	v_mbcnt_lo_u32_b32 v6, exec_lo, 0
	s_mov_b32 s34, exec_lo
	s_delay_alu instid0(VALU_DEP_1)
	v_cmpx_eq_u32_e32 0, v6
	s_wait_alu 0xfffe
	s_xor_b32 s34, exec_lo, s34
	s_cbranch_execz .LBB113_6
; %bb.31:                               ;   in Loop: Header=BB113_7 Depth=1
	global_load_b64 v[8:9], v17, s[30:31] offset:8
	s_mov_b32 s34, 0
.LBB113_32:                             ;   Parent Loop BB113_7 Depth=1
                                        ; =>  This Inner Loop Header: Depth=2
	s_wait_loadcnt 0x0
	v_add_f64_e32 v[6:7], v[8:9], v[10:11]
	global_atomic_cmpswap_b64 v[6:7], v17, v[6:9], s[30:31] offset:8 th:TH_ATOMIC_RETURN scope:SCOPE_DEV
	s_wait_loadcnt 0x0
	v_cmp_eq_u64_e32 vcc_lo, v[6:7], v[8:9]
	v_dual_mov_b32 v9, v7 :: v_dual_mov_b32 v8, v6
	s_wait_alu 0xfffe
	s_or_b32 s34, vcc_lo, s34
	s_wait_alu 0xfffe
	s_and_not1_b32 exec_lo, exec_lo, s34
	s_cbranch_execnz .LBB113_32
; %bb.33:                               ;   in Loop: Header=BB113_7 Depth=1
	s_or_b32 exec_lo, exec_lo, s34
	s_branch .LBB113_6
.LBB113_34:
	s_lshl_b64 s[2:3], s[16:17], 3
	s_lshl_b64 s[4:5], s[18:19], 3
	s_wait_alu 0xfffe
	s_add_nc_u64 s[2:3], s[8:9], s[2:3]
	s_add_nc_u64 s[4:5], s[8:9], s[4:5]
	s_clause 0x1
	s_load_b64 s[2:3], s[2:3], 0x0
	s_load_b64 s[4:5], s[4:5], 0x0
	s_wait_kmcnt 0x0
	v_add_co_u32 v14, vcc_lo, s2, v1
	s_wait_alu 0xfffd
	v_add_co_ci_u32_e64 v15, null, s3, v16, vcc_lo
	s_sub_nc_u64 s[4:5], s[4:5], s[24:25]
	s_mov_b32 s3, exec_lo
	s_wait_alu 0xfffe
	v_cmpx_gt_i64_e64 s[4:5], v[14:15]
	s_cbranch_execz .LBB113_46
; %bb.35:
	s_add_nc_u64 s[6:7], s[18:19], -1
	s_add_nc_u64 s[26:27], s[18:19], -2
	s_wait_alu 0xfffe
	v_cmp_lt_i64_e64 s2, s[16:17], s[6:7]
	s_cmp_lg_u64 s[16:17], s[26:27]
	s_mov_b32 s26, 0
	s_cselect_b32 s25, -1, 0
	s_wait_alu 0xfffe
	s_and_b32 s25, s2, s25
	s_branch .LBB113_37
.LBB113_36:                             ;   in Loop: Header=BB113_37 Depth=1
	s_wait_alu 0xfffe
	s_or_b32 exec_lo, exec_lo, s2
	v_add_co_u32 v14, vcc_lo, 0x100, v14
	s_wait_alu 0xfffd
	v_add_co_ci_u32_e64 v15, null, 0, v15, vcc_lo
	s_delay_alu instid0(VALU_DEP_1)
	v_cmp_le_i64_e32 vcc_lo, s[4:5], v[14:15]
	s_or_b32 s26, vcc_lo, s26
	s_wait_alu 0xfffe
	s_and_not1_b32 exec_lo, exec_lo, s26
	s_cbranch_execz .LBB113_46
.LBB113_37:                             ; =>This Loop Header: Depth=1
                                        ;     Child Loop BB113_39 Depth 2
                                        ;     Child Loop BB113_43 Depth 2
	;; [unrolled: 1-line block ×3, first 2 shown]
	v_dual_mov_b32 v6, s16 :: v_dual_mov_b32 v7, s17
	v_dual_mov_b32 v9, s7 :: v_dual_mov_b32 v8, s6
	s_wait_alu 0xfffe
	s_and_not1_b32 vcc_lo, exec_lo, s25
	s_wait_alu 0xfffe
	s_cbranch_vccnz .LBB113_41
; %bb.38:                               ;   in Loop: Header=BB113_37 Depth=1
	v_dual_mov_b32 v6, s16 :: v_dual_mov_b32 v7, s17
	v_dual_mov_b32 v9, s7 :: v_dual_mov_b32 v8, s6
	s_mov_b32 s27, 0
.LBB113_39:                             ;   Parent Loop BB113_37 Depth=1
                                        ; =>  This Inner Loop Header: Depth=2
	s_delay_alu instid0(VALU_DEP_1) | instskip(SKIP_1) | instid1(VALU_DEP_2)
	v_add_co_u32 v1, vcc_lo, v8, v6
	s_wait_alu 0xfffd
	v_add_co_ci_u32_e64 v11, null, v9, v7, vcc_lo
	s_delay_alu instid0(VALU_DEP_1) | instskip(NEXT) | instid1(VALU_DEP_1)
	v_lshrrev_b32_e32 v10, 31, v11
	v_add_co_u32 v10, vcc_lo, v1, v10
	s_wait_alu 0xfffd
	v_add_co_ci_u32_e64 v11, null, 0, v11, vcc_lo
	s_delay_alu instid0(VALU_DEP_1) | instskip(NEXT) | instid1(VALU_DEP_1)
	v_ashrrev_i64 v[10:11], 1, v[10:11]
	v_lshlrev_b64_e32 v[12:13], 3, v[10:11]
	s_delay_alu instid0(VALU_DEP_1) | instskip(SKIP_1) | instid1(VALU_DEP_2)
	v_add_co_u32 v12, vcc_lo, s8, v12
	s_wait_alu 0xfffd
	v_add_co_ci_u32_e64 v13, null, s9, v13, vcc_lo
	global_load_b64 v[12:13], v[12:13], off
	s_wait_loadcnt 0x0
	v_sub_co_u32 v12, vcc_lo, v12, s24
	s_wait_alu 0xfffd
	v_subrev_co_ci_u32_e64 v13, null, 0, v13, vcc_lo
	s_delay_alu instid0(VALU_DEP_1) | instskip(SKIP_3) | instid1(VALU_DEP_2)
	v_cmp_lt_i64_e32 vcc_lo, v[14:15], v[12:13]
	s_wait_alu 0xfffd
	v_dual_cndmask_b32 v9, v9, v11 :: v_dual_cndmask_b32 v8, v8, v10
	v_dual_cndmask_b32 v7, v11, v7 :: v_dual_cndmask_b32 v6, v10, v6
	v_add_co_u32 v10, vcc_lo, v8, -1
	s_wait_alu 0xfffd
	s_delay_alu instid0(VALU_DEP_3) | instskip(NEXT) | instid1(VALU_DEP_3)
	v_add_co_ci_u32_e64 v11, null, -1, v9, vcc_lo
	v_cmp_ge_i64_e32 vcc_lo, v[6:7], v[8:9]
	s_delay_alu instid0(VALU_DEP_2)
	v_cmp_eq_u64_e64 s2, v[6:7], v[10:11]
	s_or_b32 s2, vcc_lo, s2
	s_wait_alu 0xfffe
	s_and_b32 s2, exec_lo, s2
	s_wait_alu 0xfffe
	s_or_b32 s27, s2, s27
	s_wait_alu 0xfffe
	s_and_not1_b32 exec_lo, exec_lo, s27
	s_cbranch_execnz .LBB113_39
; %bb.40:                               ;   in Loop: Header=BB113_37 Depth=1
	s_or_b32 exec_lo, exec_lo, s27
.LBB113_41:                             ;   in Loop: Header=BB113_37 Depth=1
	v_lshlrev_b64_e32 v[10:11], 3, v[8:9]
	v_lshlrev_b64_e32 v[12:13], 2, v[14:15]
	s_mov_b32 s2, exec_lo
	s_delay_alu instid0(VALU_DEP_2) | instskip(SKIP_1) | instid1(VALU_DEP_3)
	v_add_co_u32 v10, vcc_lo, s8, v10
	s_wait_alu 0xfffd
	v_add_co_ci_u32_e64 v11, null, s9, v11, vcc_lo
	s_delay_alu instid0(VALU_DEP_3)
	v_add_co_u32 v12, vcc_lo, s10, v12
	s_wait_alu 0xfffd
	v_add_co_ci_u32_e64 v13, null, s11, v13, vcc_lo
	global_load_b64 v[10:11], v[10:11], off
	global_load_b32 v1, v[12:13], off
	s_wait_loadcnt 0x1
	v_sub_co_u32 v10, vcc_lo, v10, s24
	s_wait_alu 0xfffd
	v_subrev_co_ci_u32_e64 v11, null, 0, v11, vcc_lo
	s_delay_alu instid0(VALU_DEP_1) | instskip(SKIP_2) | instid1(VALU_DEP_1)
	v_cmp_lt_i64_e32 vcc_lo, v[14:15], v[10:11]
	s_wait_loadcnt 0x0
	v_subrev_nc_u32_e32 v10, s24, v1
	v_ashrrev_i32_e32 v11, 31, v10
	s_wait_alu 0xfffd
	v_dual_cndmask_b32 v7, v9, v7 :: v_dual_cndmask_b32 v6, v8, v6
	s_delay_alu instid0(VALU_DEP_1)
	v_cmpx_ne_u64_e64 v[6:7], v[10:11]
	s_cbranch_execz .LBB113_36
; %bb.42:                               ;   in Loop: Header=BB113_37 Depth=1
	v_lshlrev_b64_e32 v[8:9], 3, v[14:15]
	v_lshlrev_b64_e32 v[6:7], 4, v[6:7]
	;; [unrolled: 1-line block ×3, first 2 shown]
	s_mov_b32 s27, 0
	s_delay_alu instid0(VALU_DEP_3)
	v_add_co_u32 v8, vcc_lo, s12, v8
	s_wait_alu 0xfffd
	v_add_co_ci_u32_e64 v9, null, s13, v9, vcc_lo
	v_add_co_u32 v6, vcc_lo, s14, v6
	s_wait_alu 0xfffd
	v_add_co_ci_u32_e64 v7, null, s15, v7, vcc_lo
	global_load_b64 v[18:19], v[8:9], off
	v_add_co_u32 v16, vcc_lo, s20, v10
	global_load_b128 v[6:9], v[6:7], off
	s_wait_alu 0xfffd
	v_add_co_ci_u32_e64 v17, null, s21, v11, vcc_lo
	global_load_b64 v[12:13], v[16:17], off
	s_wait_loadcnt 0x2
	v_cndmask_b32_e64 v1, v19, -v19, s33
	v_cvt_f64_f32_e32 v[20:21], v18
	s_delay_alu instid0(VALU_DEP_2) | instskip(NEXT) | instid1(VALU_DEP_1)
	v_cvt_f64_f32_e32 v[10:11], v1
	v_mul_f64_e32 v[18:19], v[2:3], v[10:11]
	v_mul_f64_e64 v[10:11], -v[4:5], v[10:11]
	s_delay_alu instid0(VALU_DEP_2) | instskip(NEXT) | instid1(VALU_DEP_2)
	v_fma_f64 v[18:19], v[4:5], v[20:21], v[18:19]
	v_fma_f64 v[20:21], v[2:3], v[20:21], v[10:11]
	s_wait_loadcnt 0x1
	s_delay_alu instid0(VALU_DEP_2) | instskip(NEXT) | instid1(VALU_DEP_1)
	v_mul_f64_e64 v[10:11], v[8:9], -v[18:19]
	v_fma_f64 v[22:23], v[20:21], v[6:7], v[10:11]
.LBB113_43:                             ;   Parent Loop BB113_37 Depth=1
                                        ; =>  This Inner Loop Header: Depth=2
	s_wait_loadcnt 0x0
	s_delay_alu instid0(VALU_DEP_1)
	v_add_f64_e32 v[10:11], v[12:13], v[22:23]
	global_atomic_cmpswap_b64 v[10:11], v[16:17], v[10:13], off th:TH_ATOMIC_RETURN scope:SCOPE_DEV
	s_wait_loadcnt 0x0
	v_cmp_eq_u64_e32 vcc_lo, v[10:11], v[12:13]
	v_dual_mov_b32 v13, v11 :: v_dual_mov_b32 v12, v10
	s_wait_alu 0xfffe
	s_or_b32 s27, vcc_lo, s27
	s_wait_alu 0xfffe
	s_and_not1_b32 exec_lo, exec_lo, s27
	s_cbranch_execnz .LBB113_43
; %bb.44:                               ;   in Loop: Header=BB113_37 Depth=1
	s_or_b32 exec_lo, exec_lo, s27
	global_load_b64 v[10:11], v[16:17], off offset:8
	v_mul_f64_e32 v[8:9], v[8:9], v[20:21]
	s_mov_b32 s27, 0
	s_delay_alu instid0(VALU_DEP_1)
	v_fma_f64 v[6:7], v[18:19], v[6:7], v[8:9]
.LBB113_45:                             ;   Parent Loop BB113_37 Depth=1
                                        ; =>  This Inner Loop Header: Depth=2
	s_wait_loadcnt 0x0
	s_delay_alu instid0(VALU_DEP_1)
	v_add_f64_e32 v[8:9], v[10:11], v[6:7]
	global_atomic_cmpswap_b64 v[8:9], v[16:17], v[8:11], off offset:8 th:TH_ATOMIC_RETURN scope:SCOPE_DEV
	s_wait_loadcnt 0x0
	v_cmp_eq_u64_e32 vcc_lo, v[8:9], v[10:11]
	v_dual_mov_b32 v11, v9 :: v_dual_mov_b32 v10, v8
	s_wait_alu 0xfffe
	s_or_b32 s27, vcc_lo, s27
	s_wait_alu 0xfffe
	s_and_not1_b32 exec_lo, exec_lo, s27
	s_cbranch_execnz .LBB113_45
	s_branch .LBB113_36
.LBB113_46:
	s_or_b32 exec_lo, exec_lo, s3
	s_mov_b32 s2, 0
.LBB113_47:
	s_wait_alu 0xfffe
	s_and_b32 vcc_lo, exec_lo, s2
	s_wait_alu 0xfffe
	s_cbranch_vccz .LBB113_199
; %bb.48:
	s_load_b32 s2, s[0:1], 0x7c
	s_mov_b32 s25, 0
	s_mov_b64 s[28:29], 0
	s_wait_alu 0xfffe
	s_mov_b32 s7, s25
	s_wait_kmcnt 0x0
	s_and_b32 s6, s2, 0xffff
	s_wait_alu 0xfffe
	v_cmp_lt_u64_e64 s2, s[6:7], s[22:23]
	s_and_b32 vcc_lo, exec_lo, s2
	s_wait_alu 0xfffe
	s_cbranch_vccnz .LBB113_50
; %bb.49:
	v_cvt_f32_u32_e32 v1, s22
	s_sub_co_i32 s3, 0, s22
	s_delay_alu instid0(VALU_DEP_1) | instskip(NEXT) | instid1(TRANS32_DEP_1)
	v_rcp_iflag_f32_e32 v1, v1
	v_mul_f32_e32 v1, 0x4f7ffffe, v1
	s_delay_alu instid0(VALU_DEP_1) | instskip(NEXT) | instid1(VALU_DEP_1)
	v_cvt_u32_f32_e32 v1, v1
	v_readfirstlane_b32 s2, v1
	s_wait_alu 0xfffe
	s_mul_i32 s3, s3, s2
	s_wait_alu 0xfffe
	s_mul_hi_u32 s3, s2, s3
	s_wait_alu 0xfffe
	s_add_co_i32 s2, s2, s3
	s_wait_alu 0xfffe
	s_mul_hi_u32 s2, s6, s2
	s_wait_alu 0xfffe
	s_mul_i32 s3, s2, s22
	s_add_co_i32 s4, s2, 1
	s_wait_alu 0xfffe
	s_sub_co_i32 s3, s6, s3
	s_wait_alu 0xfffe
	s_sub_co_i32 s5, s3, s22
	s_cmp_ge_u32 s3, s22
	s_cselect_b32 s2, s4, s2
	s_wait_alu 0xfffe
	s_cselect_b32 s3, s5, s3
	s_add_co_i32 s4, s2, 1
	s_wait_alu 0xfffe
	s_cmp_ge_u32 s3, s22
	s_cselect_b32 s28, s4, s2
.LBB113_50:
	s_lshl_b64 s[2:3], s[16:17], 3
	v_sub_co_u32 v1, s7, v0, s24
	s_wait_alu 0xfffe
	s_add_nc_u64 s[26:27], s[8:9], s[2:3]
	s_load_b64 s[4:5], s[26:27], 0x0
	s_load_b128 s[0:3], s[0:1], 0x8
	v_sub_co_ci_u32_e64 v6, null, 0, 0, s7
	s_wait_kmcnt 0x0
	v_add_co_u32 v14, vcc_lo, s4, v1
	s_wait_alu 0xfffd
	s_delay_alu instid0(VALU_DEP_2) | instskip(SKIP_1) | instid1(VALU_DEP_3)
	v_add_co_ci_u32_e64 v15, null, s5, v6, vcc_lo
	v_mov_b32_e32 v1, 0
	v_add_co_u32 v16, vcc_lo, 0x300, v14
	s_wait_alu 0xfffd
	s_delay_alu instid0(VALU_DEP_3) | instskip(NEXT) | instid1(VALU_DEP_1)
	v_add_co_ci_u32_e64 v17, null, 0, v15, vcc_lo
	v_cmp_le_i64_e32 vcc_lo, s[0:1], v[16:17]
	s_and_saveexec_b32 s0, vcc_lo
	s_wait_alu 0xfffe
	s_xor_b32 s7, exec_lo, s0
	s_cbranch_execnz .LBB113_53
; %bb.51:
	s_wait_alu 0xfffe
	s_and_not1_saveexec_b32 s1, s7
	s_cbranch_execnz .LBB113_57
.LBB113_52:
	s_wait_alu 0xfffe
	s_or_b32 exec_lo, exec_lo, s1
	s_delay_alu instid0(SALU_CYCLE_1)
	s_mov_b32 s1, exec_lo
	v_cmpx_gt_i64_e64 s[2:3], v[0:1]
	s_cbranch_execnz .LBB113_58
	s_branch .LBB113_60
.LBB113_53:
	s_lshl_b64 s[0:1], s[18:19], 3
	s_mov_b32 s29, exec_lo
	s_wait_alu 0xfffe
	s_add_nc_u64 s[0:1], s[8:9], s[0:1]
	s_load_b64 s[0:1], s[0:1], 0x0
	s_wait_kmcnt 0x0
	s_sub_nc_u64 s[30:31], s[0:1], s[4:5]
	s_wait_alu 0xfffe
	v_cmpx_gt_i64_e64 s[30:31], v[0:1]
	s_cbranch_execz .LBB113_56
; %bb.54:
	v_lshlrev_b64_e32 v[6:7], 3, v[14:15]
	v_dual_mov_b32 v10, v26 :: v_dual_mov_b32 v9, v1
	v_mov_b32_e32 v8, v0
	s_mov_b32 s34, 0
	s_delay_alu instid0(VALU_DEP_3) | instskip(SKIP_2) | instid1(VALU_DEP_2)
	v_add_co_u32 v6, s0, s12, v6
	s_wait_alu 0xf1ff
	v_add_co_ci_u32_e64 v7, null, s13, v7, s0
	v_add_co_u32 v6, s0, v6, 4
	s_wait_alu 0xf1ff
	s_delay_alu instid0(VALU_DEP_2)
	v_add_co_ci_u32_e64 v7, null, 0, v7, s0
.LBB113_55:                             ; =>This Inner Loop Header: Depth=1
	global_load_b64 v[11:12], v[6:7], off offset:-4
	v_add_co_u32 v8, s0, 0x100, v8
	s_wait_alu 0xf1ff
	v_add_co_ci_u32_e64 v9, null, 0, v9, s0
	v_add_co_u32 v6, s0, 0x800, v6
	s_wait_alu 0xf1ff
	v_add_co_ci_u32_e64 v7, null, 0, v7, s0
	s_delay_alu instid0(VALU_DEP_3)
	v_cmp_le_i64_e64 s1, s[30:31], v[8:9]
	s_wait_alu 0xfffe
	s_or_b32 s34, s1, s34
	s_wait_loadcnt 0x0
	v_cndmask_b32_e64 v12, v12, -v12, s33
	v_cvt_f64_f32_e32 v[20:21], v11
	s_delay_alu instid0(VALU_DEP_2) | instskip(NEXT) | instid1(VALU_DEP_1)
	v_cvt_f64_f32_e32 v[12:13], v12
	v_mul_f64_e64 v[18:19], -v[4:5], v[12:13]
	v_mul_f64_e32 v[11:12], v[2:3], v[12:13]
	s_delay_alu instid0(VALU_DEP_2) | instskip(NEXT) | instid1(VALU_DEP_2)
	v_fma_f64 v[18:19], v[2:3], v[20:21], v[18:19]
	v_fma_f64 v[20:21], v[4:5], v[20:21], v[11:12]
	ds_store_b128 v10, v[18:21]
	v_add_nc_u32_e32 v10, 0x1000, v10
	s_wait_alu 0xfffe
	s_and_not1_b32 exec_lo, exec_lo, s34
	s_cbranch_execnz .LBB113_55
.LBB113_56:
	s_or_b32 exec_lo, exec_lo, s29
                                        ; implicit-def: $vgpr4_vgpr5
	s_and_not1_saveexec_b32 s1, s7
	s_cbranch_execz .LBB113_52
.LBB113_57:
	v_lshlrev_b64_e32 v[6:7], 3, v[14:15]
	s_delay_alu instid0(VALU_DEP_1) | instskip(SKIP_1) | instid1(VALU_DEP_2)
	v_add_co_u32 v6, s0, s12, v6
	s_wait_alu 0xf1ff
	v_add_co_ci_u32_e64 v7, null, s13, v7, s0
	s_clause 0x3
	global_load_b64 v[8:9], v[6:7], off
	global_load_b64 v[10:11], v[6:7], off offset:2048
	global_load_b64 v[12:13], v[6:7], off offset:4096
	;; [unrolled: 1-line block ×3, first 2 shown]
	s_wait_loadcnt 0x3
	v_cndmask_b32_e64 v9, v9, -v9, s33
	s_wait_loadcnt 0x2
	v_cndmask_b32_e64 v11, v11, -v11, s33
	;; [unrolled: 2-line block ×4, first 2 shown]
	v_cvt_f64_f32_e32 v[27:28], v10
	v_cvt_f64_f32_e32 v[18:19], v9
	;; [unrolled: 1-line block ×8, first 2 shown]
	v_mul_f64_e64 v[6:7], -v[4:5], v[18:19]
	v_mul_f64_e32 v[10:11], v[2:3], v[18:19]
	v_mul_f64_e64 v[12:13], -v[4:5], v[20:21]
	v_mul_f64_e32 v[18:19], v[2:3], v[20:21]
	;; [unrolled: 2-line block ×4, first 2 shown]
	v_fma_f64 v[6:7], v[2:3], v[8:9], v[6:7]
	v_fma_f64 v[8:9], v[4:5], v[8:9], v[10:11]
	v_fma_f64 v[10:11], v[2:3], v[27:28], v[12:13]
	v_fma_f64 v[12:13], v[4:5], v[27:28], v[18:19]
	v_fma_f64 v[18:19], v[2:3], v[29:30], v[20:21]
	v_fma_f64 v[20:21], v[4:5], v[29:30], v[22:23]
	v_fma_f64 v[2:3], v[2:3], v[31:32], v[33:34]
	v_fma_f64 v[4:5], v[4:5], v[31:32], v[24:25]
	ds_store_b128 v26, v[6:9]
	ds_store_b128 v26, v[10:13] offset:4096
	ds_store_b128 v26, v[18:21] offset:8192
	;; [unrolled: 1-line block ×3, first 2 shown]
	s_wait_alu 0xfffe
	s_or_b32 exec_lo, exec_lo, s1
	s_delay_alu instid0(SALU_CYCLE_1)
	s_mov_b32 s1, exec_lo
	v_cmpx_gt_i64_e64 s[2:3], v[0:1]
	s_cbranch_execz .LBB113_60
.LBB113_58:
	s_mov_b32 s12, 0
	v_lshl_add_u32 v8, v0, 4, 0x4000
	s_wait_alu 0xfffe
	s_mov_b32 s13, s12
	s_mov_b32 s30, s12
	;; [unrolled: 1-line block ×3, first 2 shown]
	s_wait_alu 0xfffe
	v_dual_mov_b32 v2, s12 :: v_dual_mov_b32 v3, s13
	v_dual_mov_b32 v4, s30 :: v_dual_mov_b32 v5, s31
	;; [unrolled: 1-line block ×3, first 2 shown]
.LBB113_59:                             ; =>This Inner Loop Header: Depth=1
	s_delay_alu instid0(VALU_DEP_1) | instskip(SKIP_1) | instid1(VALU_DEP_2)
	v_add_co_u32 v6, s0, 0x100, v6
	s_wait_alu 0xf1ff
	v_add_co_ci_u32_e64 v7, null, 0, v7, s0
	ds_store_2addr_b64 v8, v[2:3], v[4:5] offset1:1
	v_add_nc_u32_e32 v8, 0x1000, v8
	v_cmp_le_i64_e64 s0, s[2:3], v[6:7]
	s_or_b32 s12, s0, s12
	s_wait_alu 0xfffe
	s_and_not1_b32 exec_lo, exec_lo, s12
	s_cbranch_execnz .LBB113_59
.LBB113_60:
	s_wait_alu 0xfffe
	s_or_b32 exec_lo, exec_lo, s1
	v_cmp_ge_i64_e64 s7, s[18:19], s[2:3]
	s_sub_nc_u64 s[0:1], s[18:19], s[2:3]
	s_wait_loadcnt_dscnt 0x0
	s_barrier_signal -1
	s_barrier_wait -1
	global_inv scope:SCOPE_SE
	s_and_b32 s7, s7, exec_lo
	s_wait_alu 0xfffe
	s_cselect_b32 s13, s1, 0
	s_cselect_b32 s12, s0, 0
	s_and_saveexec_b32 s0, vcc_lo
	s_wait_alu 0xfffe
	s_xor_b32 s7, exec_lo, s0
	s_cbranch_execz .LBB113_85
; %bb.61:
	s_lshl_b64 s[0:1], s[18:19], 3
	s_mov_b32 s29, exec_lo
	s_wait_alu 0xfffe
	s_add_nc_u64 s[0:1], s[8:9], s[0:1]
	s_load_b64 s[0:1], s[0:1], 0x0
	s_wait_kmcnt 0x0
	s_sub_nc_u64 s[30:31], s[0:1], s[4:5]
	s_wait_alu 0xfffe
	v_cmpx_gt_i64_e64 s[30:31], v[0:1]
	s_cbranch_execz .LBB113_84
; %bb.62:
	s_add_nc_u64 s[34:35], s[18:19], -2
	s_sub_nc_u64 s[36:37], s[0:1], s[24:25]
	s_wait_alu 0xfffe
	s_cmp_lg_u64 s[16:17], s[34:35]
	s_add_nc_u64 s[34:35], s[18:19], -1
	s_cselect_b32 s33, -1, 0
	s_mov_b64 s[38:39], 0
	s_mov_b32 s1, 0
	s_branch .LBB113_65
.LBB113_63:                             ;   in Loop: Header=BB113_65 Depth=1
	s_wait_alu 0xfffe
	s_or_b32 exec_lo, exec_lo, s0
.LBB113_64:                             ;   in Loop: Header=BB113_65 Depth=1
	s_delay_alu instid0(SALU_CYCLE_1) | instskip(SKIP_2) | instid1(VALU_DEP_1)
	s_or_b32 exec_lo, exec_lo, s40
	v_lshlrev_b64_e32 v[6:7], 4, v[16:17]
	s_add_nc_u64 s[38:39], s[38:39], 0x100
	v_add_co_u32 v6, vcc_lo, s14, v6
	s_wait_alu 0xfffd
	s_delay_alu instid0(VALU_DEP_2) | instskip(SKIP_4) | instid1(VALU_DEP_2)
	v_add_co_ci_u32_e64 v7, null, s15, v7, vcc_lo
	global_load_b128 v[6:9], v[6:7], off
	s_wait_loadcnt 0x0
	v_mul_f64_e32 v[10:11], v[8:9], v[18:19]
	v_mul_f64_e32 v[8:9], v[8:9], v[2:3]
	v_fma_f64 v[2:3], v[2:3], v[6:7], v[10:11]
	s_delay_alu instid0(VALU_DEP_2) | instskip(SKIP_4) | instid1(VALU_DEP_1)
	v_fma_f64 v[4:5], v[4:5], v[6:7], v[8:9]
	s_wait_alu 0xfffe
	v_add_co_u32 v6, s0, s38, v0
	s_wait_alu 0xf1ff
	v_add_co_ci_u32_e64 v7, null, s39, 0, s0
	v_cmp_le_i64_e32 vcc_lo, s[30:31], v[6:7]
	v_lshlrev_b32_e32 v6, 4, v24
	s_or_b32 s1, vcc_lo, s1
	ds_store_b128 v6, v[2:5]
	s_wait_alu 0xfffe
	s_and_not1_b32 exec_lo, exec_lo, s1
	s_cbranch_execz .LBB113_84
.LBB113_65:                             ; =>This Loop Header: Depth=1
                                        ;     Child Loop BB113_67 Depth 2
                                        ;     Child Loop BB113_74 Depth 2
	;; [unrolled: 1-line block ×5, first 2 shown]
	v_add_co_u32 v2, vcc_lo, s38, v14
	s_wait_alu 0xfffd
	v_add_co_ci_u32_e64 v3, null, s39, v15, vcc_lo
	v_dual_mov_b32 v4, s16 :: v_dual_mov_b32 v5, s17
	s_wait_alu 0xfffe
	v_dual_mov_b32 v6, s34 :: v_dual_mov_b32 v7, s35
	s_and_not1_b32 vcc_lo, exec_lo, s33
	s_wait_alu 0xfffe
	s_cbranch_vccnz .LBB113_69
; %bb.66:                               ;   in Loop: Header=BB113_65 Depth=1
	v_dual_mov_b32 v4, s16 :: v_dual_mov_b32 v5, s17
	v_dual_mov_b32 v6, s34 :: v_dual_mov_b32 v7, s35
	s_mov_b32 s40, 0
.LBB113_67:                             ;   Parent Loop BB113_65 Depth=1
                                        ; =>  This Inner Loop Header: Depth=2
	s_delay_alu instid0(VALU_DEP_1) | instskip(SKIP_1) | instid1(VALU_DEP_2)
	v_add_co_u32 v8, vcc_lo, v6, v4
	s_wait_alu 0xfffd
	v_add_co_ci_u32_e64 v9, null, v7, v5, vcc_lo
	s_delay_alu instid0(VALU_DEP_1) | instskip(NEXT) | instid1(VALU_DEP_1)
	v_lshrrev_b32_e32 v10, 31, v9
	v_add_co_u32 v8, vcc_lo, v8, v10
	s_wait_alu 0xfffd
	v_add_co_ci_u32_e64 v9, null, 0, v9, vcc_lo
	s_delay_alu instid0(VALU_DEP_1) | instskip(NEXT) | instid1(VALU_DEP_1)
	v_ashrrev_i64 v[8:9], 1, v[8:9]
	v_lshlrev_b64_e32 v[10:11], 3, v[8:9]
	s_delay_alu instid0(VALU_DEP_1) | instskip(SKIP_1) | instid1(VALU_DEP_2)
	v_add_co_u32 v10, vcc_lo, s8, v10
	s_wait_alu 0xfffd
	v_add_co_ci_u32_e64 v11, null, s9, v11, vcc_lo
	global_load_b64 v[10:11], v[10:11], off
	s_wait_loadcnt 0x0
	v_sub_co_u32 v10, vcc_lo, v10, s24
	s_wait_alu 0xfffd
	v_subrev_co_ci_u32_e64 v11, null, 0, v11, vcc_lo
	s_delay_alu instid0(VALU_DEP_1) | instskip(SKIP_3) | instid1(VALU_DEP_2)
	v_cmp_lt_i64_e32 vcc_lo, v[2:3], v[10:11]
	s_wait_alu 0xfffd
	v_dual_cndmask_b32 v7, v7, v9 :: v_dual_cndmask_b32 v6, v6, v8
	v_dual_cndmask_b32 v5, v9, v5 :: v_dual_cndmask_b32 v4, v8, v4
	v_add_co_u32 v8, vcc_lo, v6, -1
	s_wait_alu 0xfffd
	s_delay_alu instid0(VALU_DEP_3) | instskip(NEXT) | instid1(VALU_DEP_3)
	v_add_co_ci_u32_e64 v9, null, -1, v7, vcc_lo
	v_cmp_ge_i64_e32 vcc_lo, v[4:5], v[6:7]
	s_delay_alu instid0(VALU_DEP_2)
	v_cmp_eq_u64_e64 s0, v[4:5], v[8:9]
	s_or_b32 s0, vcc_lo, s0
	s_wait_alu 0xfffe
	s_and_b32 s0, exec_lo, s0
	s_wait_alu 0xfffe
	s_or_b32 s40, s0, s40
	s_delay_alu instid0(SALU_CYCLE_1)
	s_and_not1_b32 exec_lo, exec_lo, s40
	s_cbranch_execnz .LBB113_67
; %bb.68:                               ;   in Loop: Header=BB113_65 Depth=1
	s_or_b32 exec_lo, exec_lo, s40
.LBB113_69:                             ;   in Loop: Header=BB113_65 Depth=1
	s_delay_alu instid0(VALU_DEP_1) | instskip(SKIP_3) | instid1(VALU_DEP_4)
	v_lshlrev_b64_e32 v[8:9], 3, v[6:7]
	v_lshlrev_b64_e32 v[10:11], 2, v[2:3]
	v_add_co_u32 v24, null, s38, v0
	v_cmp_le_i64_e64 s0, s[36:37], v[2:3]
                                        ; implicit-def: $vgpr18_vgpr19
	v_add_co_u32 v8, vcc_lo, s8, v8
	s_wait_alu 0xfffd
	v_add_co_ci_u32_e64 v9, null, s9, v9, vcc_lo
	v_add_co_u32 v10, vcc_lo, s10, v10
	s_wait_alu 0xfffd
	v_add_co_ci_u32_e64 v11, null, s11, v11, vcc_lo
	global_load_b64 v[8:9], v[8:9], off
	global_load_b32 v10, v[10:11], off
	s_wait_loadcnt 0x1
	v_sub_co_u32 v8, vcc_lo, v8, s24
	s_wait_alu 0xfffd
	v_subrev_co_ci_u32_e64 v9, null, 0, v9, vcc_lo
	s_wait_loadcnt 0x0
	v_subrev_nc_u32_e32 v16, s24, v10
	v_lshlrev_b32_e32 v10, 4, v24
	s_delay_alu instid0(VALU_DEP_3) | instskip(NEXT) | instid1(VALU_DEP_3)
	v_cmp_lt_i64_e32 vcc_lo, v[2:3], v[8:9]
	v_ashrrev_i32_e32 v17, 31, v16
	s_wait_alu 0xfffd
	v_dual_cndmask_b32 v7, v7, v5 :: v_dual_cndmask_b32 v6, v6, v4
                                        ; implicit-def: $vgpr2_vgpr3
	s_delay_alu instid0(VALU_DEP_1) | instskip(SKIP_3) | instid1(SALU_CYCLE_1)
	v_cmp_eq_u64_e32 vcc_lo, v[6:7], v[16:17]
	s_or_b32 s0, vcc_lo, s0
	s_wait_alu 0xfffe
	s_and_saveexec_b32 s40, s0
	s_xor_b32 s0, exec_lo, s40
	s_cbranch_execz .LBB113_71
; %bb.70:                               ;   in Loop: Header=BB113_65 Depth=1
	ds_load_b128 v[2:5], v10
                                        ; implicit-def: $vgpr6_vgpr7
                                        ; implicit-def: $vgpr10
	s_wait_dscnt 0x0
	v_xor_b32_e32 v19, 0x80000000, v5
	v_mov_b32_e32 v18, v4
.LBB113_71:                             ;   in Loop: Header=BB113_65 Depth=1
	s_wait_alu 0xfffe
	s_and_not1_saveexec_b32 s40, s0
	s_cbranch_execz .LBB113_64
; %bb.72:                               ;   in Loop: Header=BB113_65 Depth=1
	v_cmp_gt_i64_e32 vcc_lo, s[12:13], v[16:17]
	v_cmp_le_i64_e64 s0, s[18:19], v[16:17]
	v_lshlrev_b64_e32 v[6:7], 4, v[6:7]
                                        ; implicit-def: $vgpr2_vgpr3
                                        ; implicit-def: $vgpr18_vgpr19
	s_or_b32 s0, vcc_lo, s0
	s_wait_alu 0xfffe
	s_and_saveexec_b32 s41, s0
	s_delay_alu instid0(SALU_CYCLE_1)
	s_xor_b32 s0, exec_lo, s41
	s_cbranch_execz .LBB113_78
; %bb.73:                               ;   in Loop: Header=BB113_65 Depth=1
	v_add_co_u32 v2, vcc_lo, s14, v6
	s_wait_alu 0xfffd
	v_add_co_ci_u32_e64 v3, null, s15, v7, vcc_lo
	s_mov_b32 s41, 0
	global_load_b128 v[6:9], v[2:3], off
	v_lshlrev_b64_e32 v[2:3], 4, v[16:17]
	s_delay_alu instid0(VALU_DEP_1) | instskip(SKIP_1) | instid1(VALU_DEP_2)
	v_add_co_u32 v20, vcc_lo, s20, v2
	s_wait_alu 0xfffd
	v_add_co_ci_u32_e64 v21, null, s21, v3, vcc_lo
	ds_load_b128 v[2:5], v10
	global_load_b64 v[12:13], v[20:21], off
	s_wait_dscnt 0x0
	v_xor_b32_e32 v19, 0x80000000, v5
	v_mov_b32_e32 v18, v4
	s_wait_loadcnt 0x1
	v_mul_f64_e64 v[10:11], v[8:9], -v[4:5]
	s_delay_alu instid0(VALU_DEP_1)
	v_fma_f64 v[22:23], v[2:3], v[6:7], v[10:11]
.LBB113_74:                             ;   Parent Loop BB113_65 Depth=1
                                        ; =>  This Inner Loop Header: Depth=2
	s_wait_loadcnt 0x0
	s_delay_alu instid0(VALU_DEP_1)
	v_add_f64_e32 v[10:11], v[12:13], v[22:23]
	global_atomic_cmpswap_b64 v[10:11], v[20:21], v[10:13], off th:TH_ATOMIC_RETURN scope:SCOPE_DEV
	s_wait_loadcnt 0x0
	v_cmp_eq_u64_e32 vcc_lo, v[10:11], v[12:13]
	v_dual_mov_b32 v13, v11 :: v_dual_mov_b32 v12, v10
	s_or_b32 s41, vcc_lo, s41
	s_delay_alu instid0(SALU_CYCLE_1)
	s_and_not1_b32 exec_lo, exec_lo, s41
	s_cbranch_execnz .LBB113_74
; %bb.75:                               ;   in Loop: Header=BB113_65 Depth=1
	s_or_b32 exec_lo, exec_lo, s41
	global_load_b64 v[10:11], v[20:21], off offset:8
	v_mul_f64_e32 v[8:9], v[8:9], v[2:3]
	s_mov_b32 s41, 0
	s_delay_alu instid0(VALU_DEP_1)
	v_fma_f64 v[6:7], v[4:5], v[6:7], v[8:9]
.LBB113_76:                             ;   Parent Loop BB113_65 Depth=1
                                        ; =>  This Inner Loop Header: Depth=2
	s_wait_loadcnt 0x0
	s_delay_alu instid0(VALU_DEP_1)
	v_add_f64_e32 v[8:9], v[10:11], v[6:7]
	global_atomic_cmpswap_b64 v[8:9], v[20:21], v[8:11], off offset:8 th:TH_ATOMIC_RETURN scope:SCOPE_DEV
	s_wait_loadcnt 0x0
	v_cmp_eq_u64_e32 vcc_lo, v[8:9], v[10:11]
	v_dual_mov_b32 v11, v9 :: v_dual_mov_b32 v10, v8
	s_or_b32 s41, vcc_lo, s41
	s_delay_alu instid0(SALU_CYCLE_1)
	s_and_not1_b32 exec_lo, exec_lo, s41
	s_cbranch_execnz .LBB113_76
; %bb.77:                               ;   in Loop: Header=BB113_65 Depth=1
	s_or_b32 exec_lo, exec_lo, s41
                                        ; implicit-def: $vgpr6_vgpr7
                                        ; implicit-def: $vgpr10
.LBB113_78:                             ;   in Loop: Header=BB113_65 Depth=1
	s_wait_alu 0xfffe
	s_and_not1_saveexec_b32 s0, s0
	s_cbranch_execz .LBB113_63
; %bb.79:                               ;   in Loop: Header=BB113_65 Depth=1
	v_add_co_u32 v2, vcc_lo, s14, v6
	s_wait_alu 0xfffd
	v_add_co_ci_u32_e64 v3, null, s15, v7, vcc_lo
	v_subrev_nc_u32_e32 v12, s12, v16
	s_mov_b32 s41, 0
	global_load_b128 v[6:9], v[2:3], off
	ds_load_b128 v[2:5], v10
	v_lshl_add_u32 v20, v12, 4, 0x4000
	ds_load_b64 v[12:13], v20
	s_wait_dscnt 0x1
	v_xor_b32_e32 v19, 0x80000000, v5
	v_mov_b32_e32 v18, v4
	s_wait_loadcnt 0x0
	v_mul_f64_e64 v[10:11], v[8:9], -v[4:5]
	s_delay_alu instid0(VALU_DEP_1)
	v_fma_f64 v[10:11], v[2:3], v[6:7], v[10:11]
.LBB113_80:                             ;   Parent Loop BB113_65 Depth=1
                                        ; =>  This Inner Loop Header: Depth=2
	s_wait_dscnt 0x0
	s_delay_alu instid0(VALU_DEP_1)
	v_add_f64_e32 v[21:22], v[12:13], v[10:11]
	ds_cmpstore_rtn_b64 v[21:22], v20, v[21:22], v[12:13]
	s_wait_dscnt 0x0
	v_cmp_eq_u64_e32 vcc_lo, v[21:22], v[12:13]
	v_dual_mov_b32 v12, v21 :: v_dual_mov_b32 v13, v22
	s_or_b32 s41, vcc_lo, s41
	s_delay_alu instid0(SALU_CYCLE_1)
	s_and_not1_b32 exec_lo, exec_lo, s41
	s_cbranch_execnz .LBB113_80
; %bb.81:                               ;   in Loop: Header=BB113_65 Depth=1
	s_or_b32 exec_lo, exec_lo, s41
	v_mul_f64_e32 v[8:9], v[8:9], v[2:3]
	s_mov_b32 s41, 0
	s_delay_alu instid0(VALU_DEP_1)
	v_fma_f64 v[6:7], v[4:5], v[6:7], v[8:9]
	ds_load_b64 v[8:9], v20 offset:8
.LBB113_82:                             ;   Parent Loop BB113_65 Depth=1
                                        ; =>  This Inner Loop Header: Depth=2
	s_wait_dscnt 0x0
	v_add_f64_e32 v[10:11], v[8:9], v[6:7]
	ds_cmpstore_rtn_b64 v[10:11], v20, v[10:11], v[8:9] offset:8
	s_wait_dscnt 0x0
	v_cmp_eq_u64_e32 vcc_lo, v[10:11], v[8:9]
	v_dual_mov_b32 v8, v10 :: v_dual_mov_b32 v9, v11
	s_or_b32 s41, vcc_lo, s41
	s_delay_alu instid0(SALU_CYCLE_1)
	s_and_not1_b32 exec_lo, exec_lo, s41
	s_cbranch_execnz .LBB113_82
; %bb.83:                               ;   in Loop: Header=BB113_65 Depth=1
	s_or_b32 exec_lo, exec_lo, s41
	s_branch .LBB113_63
.LBB113_84:
	s_or_b32 exec_lo, exec_lo, s29
                                        ; implicit-def: $vgpr16_vgpr17
                                        ; implicit-def: $vgpr14
.LBB113_85:
	s_wait_alu 0xfffe
	s_and_not1_saveexec_b32 s1, s7
	s_cbranch_execz .LBB113_159
; %bb.86:
	s_add_nc_u64 s[30:31], s[18:19], -1
	s_add_nc_u64 s[34:35], s[18:19], -2
	v_dual_mov_b32 v2, s16 :: v_dual_mov_b32 v3, s17
	s_wait_alu 0xfffe
	v_dual_mov_b32 v4, s30 :: v_dual_mov_b32 v5, s31
	s_cmp_lg_u64 s[16:17], s[34:35]
	s_cselect_b32 s7, -1, 0
	s_cmp_eq_u64 s[16:17], s[34:35]
	s_cbranch_scc1 .LBB113_90
; %bb.87:
	v_dual_mov_b32 v2, s16 :: v_dual_mov_b32 v3, s17
	v_dual_mov_b32 v4, s30 :: v_dual_mov_b32 v5, s31
	s_mov_b32 s29, 0
.LBB113_88:                             ; =>This Inner Loop Header: Depth=1
	s_delay_alu instid0(VALU_DEP_1) | instskip(SKIP_1) | instid1(VALU_DEP_2)
	v_add_co_u32 v6, vcc_lo, v4, v2
	s_wait_alu 0xfffd
	v_add_co_ci_u32_e64 v7, null, v5, v3, vcc_lo
	s_delay_alu instid0(VALU_DEP_1) | instskip(NEXT) | instid1(VALU_DEP_1)
	v_lshrrev_b32_e32 v8, 31, v7
	v_add_co_u32 v6, vcc_lo, v6, v8
	s_wait_alu 0xfffd
	v_add_co_ci_u32_e64 v7, null, 0, v7, vcc_lo
	s_delay_alu instid0(VALU_DEP_1) | instskip(NEXT) | instid1(VALU_DEP_1)
	v_ashrrev_i64 v[6:7], 1, v[6:7]
	v_lshlrev_b64_e32 v[8:9], 3, v[6:7]
	s_delay_alu instid0(VALU_DEP_1) | instskip(SKIP_1) | instid1(VALU_DEP_2)
	v_add_co_u32 v8, vcc_lo, s8, v8
	s_wait_alu 0xfffd
	v_add_co_ci_u32_e64 v9, null, s9, v9, vcc_lo
	global_load_b64 v[8:9], v[8:9], off
	s_wait_loadcnt 0x0
	v_sub_co_u32 v8, vcc_lo, v8, s24
	s_wait_alu 0xfffd
	v_subrev_co_ci_u32_e64 v9, null, 0, v9, vcc_lo
	s_delay_alu instid0(VALU_DEP_1) | instskip(SKIP_3) | instid1(VALU_DEP_2)
	v_cmp_lt_i64_e32 vcc_lo, v[14:15], v[8:9]
	s_wait_alu 0xfffd
	v_dual_cndmask_b32 v5, v5, v7 :: v_dual_cndmask_b32 v4, v4, v6
	v_dual_cndmask_b32 v3, v7, v3 :: v_dual_cndmask_b32 v2, v6, v2
	v_add_co_u32 v6, vcc_lo, v4, -1
	s_wait_alu 0xfffd
	s_delay_alu instid0(VALU_DEP_3) | instskip(NEXT) | instid1(VALU_DEP_3)
	v_add_co_ci_u32_e64 v7, null, -1, v5, vcc_lo
	v_cmp_ge_i64_e32 vcc_lo, v[2:3], v[4:5]
	s_delay_alu instid0(VALU_DEP_2)
	v_cmp_eq_u64_e64 s0, v[2:3], v[6:7]
	s_or_b32 s0, vcc_lo, s0
	s_wait_alu 0xfffe
	s_and_b32 s0, exec_lo, s0
	s_wait_alu 0xfffe
	s_or_b32 s29, s0, s29
	s_wait_alu 0xfffe
	s_and_not1_b32 exec_lo, exec_lo, s29
	s_cbranch_execnz .LBB113_88
; %bb.89:
	s_or_b32 exec_lo, exec_lo, s29
.LBB113_90:
	v_lshlrev_b64_e32 v[6:7], 3, v[4:5]
	v_lshlrev_b64_e32 v[8:9], 2, v[14:15]
	s_mov_b32 s29, exec_lo
	s_delay_alu instid0(VALU_DEP_2) | instskip(SKIP_1) | instid1(VALU_DEP_3)
	v_add_co_u32 v6, vcc_lo, s8, v6
	s_wait_alu 0xfffd
	v_add_co_ci_u32_e64 v7, null, s9, v7, vcc_lo
	s_delay_alu instid0(VALU_DEP_3)
	v_add_co_u32 v18, vcc_lo, s10, v8
	s_wait_alu 0xfffd
	v_add_co_ci_u32_e64 v19, null, s11, v9, vcc_lo
	global_load_b64 v[6:7], v[6:7], off
	s_lshl_b64 s[10:11], s[18:19], 3
	global_load_b32 v8, v[18:19], off
	s_wait_alu 0xfffe
	s_add_nc_u64 s[10:11], s[8:9], s[10:11]
	s_wait_loadcnt 0x1
	v_sub_co_u32 v6, vcc_lo, v6, s24
	s_wait_alu 0xfffd
	v_subrev_co_ci_u32_e64 v7, null, 0, v7, vcc_lo
	s_wait_loadcnt 0x0
	v_subrev_nc_u32_e32 v20, s24, v8
	s_delay_alu instid0(VALU_DEP_2) | instskip(NEXT) | instid1(VALU_DEP_2)
	v_cmp_lt_i64_e32 vcc_lo, v[14:15], v[6:7]
	v_ashrrev_i32_e32 v21, 31, v20
	s_wait_alu 0xfffd
	v_dual_cndmask_b32 v3, v5, v3 :: v_dual_cndmask_b32 v2, v4, v2
	s_delay_alu instid0(VALU_DEP_1)
	v_cmpx_ne_u64_e64 v[2:3], v[20:21]
	s_cbranch_execz .LBB113_104
; %bb.91:
	s_load_b64 s[34:35], s[10:11], 0x0
	s_wait_kmcnt 0x0
	s_sub_nc_u64 s[34:35], s[34:35], s[24:25]
	s_wait_alu 0xfffe
	v_cmp_gt_i64_e32 vcc_lo, s[34:35], v[14:15]
	s_and_b32 exec_lo, exec_lo, vcc_lo
	s_cbranch_execz .LBB113_104
; %bb.92:
	v_cmp_gt_i64_e32 vcc_lo, s[12:13], v[20:21]
	v_cmp_le_i64_e64 s0, s[18:19], v[20:21]
	v_lshlrev_b64_e32 v[2:3], 4, v[2:3]
	s_or_b32 s0, vcc_lo, s0
	s_wait_alu 0xfffe
	s_and_saveexec_b32 s33, s0
	s_wait_alu 0xfffe
	s_xor_b32 s0, exec_lo, s33
	s_cbranch_execz .LBB113_98
; %bb.93:
	v_add_co_u32 v2, vcc_lo, s14, v2
	s_wait_alu 0xfffd
	v_add_co_ci_u32_e64 v3, null, s15, v3, vcc_lo
	v_lshlrev_b64_e32 v[6:7], 4, v[20:21]
	s_mov_b32 s33, 0
	global_load_b128 v[2:5], v[2:3], off
	v_add_co_u32 v22, vcc_lo, s20, v6
	s_wait_alu 0xfffd
	v_add_co_ci_u32_e64 v23, null, s21, v7, vcc_lo
	ds_load_b128 v[6:9], v26
	global_load_b64 v[12:13], v[22:23], off
	s_wait_loadcnt_dscnt 0x100
	v_mul_f64_e64 v[10:11], v[4:5], -v[8:9]
	s_delay_alu instid0(VALU_DEP_1)
	v_fma_f64 v[24:25], v[6:7], v[2:3], v[10:11]
.LBB113_94:                             ; =>This Inner Loop Header: Depth=1
	s_wait_loadcnt 0x0
	s_delay_alu instid0(VALU_DEP_1)
	v_add_f64_e32 v[10:11], v[12:13], v[24:25]
	global_atomic_cmpswap_b64 v[10:11], v[22:23], v[10:13], off th:TH_ATOMIC_RETURN scope:SCOPE_DEV
	s_wait_loadcnt 0x0
	v_cmp_eq_u64_e32 vcc_lo, v[10:11], v[12:13]
	v_dual_mov_b32 v13, v11 :: v_dual_mov_b32 v12, v10
	s_wait_alu 0xfffe
	s_or_b32 s33, vcc_lo, s33
	s_wait_alu 0xfffe
	s_and_not1_b32 exec_lo, exec_lo, s33
	s_cbranch_execnz .LBB113_94
; %bb.95:
	s_or_b32 exec_lo, exec_lo, s33
	global_load_b64 v[10:11], v[22:23], off offset:8
	v_mul_f64_e32 v[4:5], v[4:5], v[6:7]
	s_mov_b32 s33, 0
	s_delay_alu instid0(VALU_DEP_1)
	v_fma_f64 v[2:3], v[8:9], v[2:3], v[4:5]
.LBB113_96:                             ; =>This Inner Loop Header: Depth=1
	s_wait_loadcnt 0x0
	s_delay_alu instid0(VALU_DEP_1)
	v_add_f64_e32 v[8:9], v[10:11], v[2:3]
	global_atomic_cmpswap_b64 v[4:5], v[22:23], v[8:11], off offset:8 th:TH_ATOMIC_RETURN scope:SCOPE_DEV
	s_wait_loadcnt 0x0
	v_cmp_eq_u64_e32 vcc_lo, v[4:5], v[10:11]
	v_dual_mov_b32 v11, v5 :: v_dual_mov_b32 v10, v4
	s_wait_alu 0xfffe
	s_or_b32 s33, vcc_lo, s33
	s_wait_alu 0xfffe
	s_and_not1_b32 exec_lo, exec_lo, s33
	s_cbranch_execnz .LBB113_96
; %bb.97:
	s_or_b32 exec_lo, exec_lo, s33
                                        ; implicit-def: $vgpr2_vgpr3
.LBB113_98:
	s_wait_alu 0xfffe
	s_and_not1_saveexec_b32 s0, s0
	s_cbranch_execz .LBB113_104
; %bb.99:
	v_add_co_u32 v2, vcc_lo, s14, v2
	s_wait_alu 0xfffd
	v_add_co_ci_u32_e64 v3, null, s15, v3, vcc_lo
	ds_load_b128 v[6:9], v26
	v_subrev_nc_u32_e32 v12, s12, v20
	s_mov_b32 s0, 0
	global_load_b128 v[2:5], v[2:3], off
	v_lshl_add_u32 v22, v12, 4, 0x4000
	ds_load_b64 v[12:13], v22
	s_wait_loadcnt_dscnt 0x1
	v_mul_f64_e64 v[10:11], v[4:5], -v[8:9]
	s_delay_alu instid0(VALU_DEP_1)
	v_fma_f64 v[10:11], v[6:7], v[2:3], v[10:11]
.LBB113_100:                            ; =>This Inner Loop Header: Depth=1
	s_wait_dscnt 0x0
	s_delay_alu instid0(VALU_DEP_1)
	v_add_f64_e32 v[23:24], v[12:13], v[10:11]
	ds_cmpstore_rtn_b64 v[23:24], v22, v[23:24], v[12:13]
	s_wait_dscnt 0x0
	v_cmp_eq_u64_e32 vcc_lo, v[23:24], v[12:13]
	v_dual_mov_b32 v12, v23 :: v_dual_mov_b32 v13, v24
	s_wait_alu 0xfffe
	s_or_b32 s0, vcc_lo, s0
	s_wait_alu 0xfffe
	s_and_not1_b32 exec_lo, exec_lo, s0
	s_cbranch_execnz .LBB113_100
; %bb.101:
	s_or_b32 exec_lo, exec_lo, s0
	v_mul_f64_e32 v[4:5], v[4:5], v[6:7]
	s_mov_b32 s0, 0
	s_delay_alu instid0(VALU_DEP_1)
	v_fma_f64 v[2:3], v[8:9], v[2:3], v[4:5]
	ds_load_b64 v[4:5], v22 offset:8
.LBB113_102:                            ; =>This Inner Loop Header: Depth=1
	s_wait_dscnt 0x0
	v_add_f64_e32 v[6:7], v[4:5], v[2:3]
	ds_cmpstore_rtn_b64 v[6:7], v22, v[6:7], v[4:5] offset:8
	s_wait_dscnt 0x0
	v_cmp_eq_u64_e32 vcc_lo, v[6:7], v[4:5]
	v_dual_mov_b32 v4, v6 :: v_dual_mov_b32 v5, v7
	s_wait_alu 0xfffe
	s_or_b32 s0, vcc_lo, s0
	s_wait_alu 0xfffe
	s_and_not1_b32 exec_lo, exec_lo, s0
	s_cbranch_execnz .LBB113_102
; %bb.103:
	s_or_b32 exec_lo, exec_lo, s0
.LBB113_104:
	s_delay_alu instid0(SALU_CYCLE_1)
	s_or_b32 exec_lo, exec_lo, s29
	v_lshlrev_b64_e32 v[2:3], 4, v[20:21]
	ds_load_b128 v[6:9], v26
	v_cndmask_b32_e64 v27, 0, 1, s7
	v_add_co_u32 v2, vcc_lo, s14, v2
	s_wait_alu 0xfffd
	v_add_co_ci_u32_e64 v3, null, s15, v3, vcc_lo
	global_load_b128 v[2:5], v[2:3], off
	s_wait_loadcnt_dscnt 0x0
	v_mul_f64_e64 v[10:11], v[4:5], -v[8:9]
	v_mul_f64_e32 v[4:5], v[4:5], v[6:7]
	s_delay_alu instid0(VALU_DEP_2) | instskip(NEXT) | instid1(VALU_DEP_2)
	v_fma_f64 v[10:11], v[6:7], v[2:3], v[10:11]
	v_fma_f64 v[12:13], v[8:9], v[2:3], v[4:5]
	v_add_co_u32 v2, vcc_lo, 0x100, v14
	s_wait_alu 0xfffd
	v_add_co_ci_u32_e64 v3, null, 0, v15, vcc_lo
	v_dual_mov_b32 v4, s16 :: v_dual_mov_b32 v5, s17
	v_dual_mov_b32 v6, s30 :: v_dual_mov_b32 v7, s31
	s_and_not1_b32 vcc_lo, exec_lo, s7
	ds_store_b128 v26, v[10:13]
	s_wait_alu 0xfffe
	s_cbranch_vccnz .LBB113_108
; %bb.105:
	v_dual_mov_b32 v4, s16 :: v_dual_mov_b32 v5, s17
	v_dual_mov_b32 v6, s30 :: v_dual_mov_b32 v7, s31
	s_mov_b32 s7, 0
.LBB113_106:                            ; =>This Inner Loop Header: Depth=1
	s_delay_alu instid0(VALU_DEP_1) | instskip(SKIP_1) | instid1(VALU_DEP_2)
	v_add_co_u32 v8, vcc_lo, v6, v4
	s_wait_alu 0xfffd
	v_add_co_ci_u32_e64 v9, null, v7, v5, vcc_lo
	s_delay_alu instid0(VALU_DEP_1) | instskip(NEXT) | instid1(VALU_DEP_1)
	v_lshrrev_b32_e32 v10, 31, v9
	v_add_co_u32 v8, vcc_lo, v8, v10
	s_wait_alu 0xfffd
	v_add_co_ci_u32_e64 v9, null, 0, v9, vcc_lo
	s_delay_alu instid0(VALU_DEP_1) | instskip(NEXT) | instid1(VALU_DEP_1)
	v_ashrrev_i64 v[8:9], 1, v[8:9]
	v_lshlrev_b64_e32 v[10:11], 3, v[8:9]
	s_delay_alu instid0(VALU_DEP_1) | instskip(SKIP_1) | instid1(VALU_DEP_2)
	v_add_co_u32 v10, vcc_lo, s8, v10
	s_wait_alu 0xfffd
	v_add_co_ci_u32_e64 v11, null, s9, v11, vcc_lo
	global_load_b64 v[10:11], v[10:11], off
	s_wait_loadcnt 0x0
	v_sub_co_u32 v10, vcc_lo, v10, s24
	s_wait_alu 0xfffd
	v_subrev_co_ci_u32_e64 v11, null, 0, v11, vcc_lo
	s_delay_alu instid0(VALU_DEP_1) | instskip(SKIP_3) | instid1(VALU_DEP_2)
	v_cmp_lt_i64_e32 vcc_lo, v[2:3], v[10:11]
	s_wait_alu 0xfffd
	v_dual_cndmask_b32 v7, v7, v9 :: v_dual_cndmask_b32 v6, v6, v8
	v_dual_cndmask_b32 v5, v9, v5 :: v_dual_cndmask_b32 v4, v8, v4
	v_add_co_u32 v8, vcc_lo, v6, -1
	s_wait_alu 0xfffd
	s_delay_alu instid0(VALU_DEP_3) | instskip(NEXT) | instid1(VALU_DEP_3)
	v_add_co_ci_u32_e64 v9, null, -1, v7, vcc_lo
	v_cmp_ge_i64_e32 vcc_lo, v[4:5], v[6:7]
	s_delay_alu instid0(VALU_DEP_2)
	v_cmp_eq_u64_e64 s0, v[4:5], v[8:9]
	s_or_b32 s0, vcc_lo, s0
	s_wait_alu 0xfffe
	s_and_b32 s0, exec_lo, s0
	s_wait_alu 0xfffe
	s_or_b32 s7, s0, s7
	s_wait_alu 0xfffe
	s_and_not1_b32 exec_lo, exec_lo, s7
	s_cbranch_execnz .LBB113_106
; %bb.107:
	s_or_b32 exec_lo, exec_lo, s7
.LBB113_108:
	v_lshlrev_b64_e32 v[8:9], 3, v[6:7]
	s_mov_b32 s7, exec_lo
	s_delay_alu instid0(VALU_DEP_1) | instskip(SKIP_1) | instid1(VALU_DEP_2)
	v_add_co_u32 v8, vcc_lo, s8, v8
	s_wait_alu 0xfffd
	v_add_co_ci_u32_e64 v9, null, s9, v9, vcc_lo
	global_load_b64 v[8:9], v[8:9], off
	global_load_b32 v10, v[18:19], off offset:1024
	s_wait_loadcnt 0x1
	v_sub_co_u32 v8, vcc_lo, v8, s24
	s_wait_alu 0xfffd
	v_subrev_co_ci_u32_e64 v9, null, 0, v9, vcc_lo
	s_wait_loadcnt 0x0
	v_subrev_nc_u32_e32 v20, s24, v10
	s_delay_alu instid0(VALU_DEP_2) | instskip(NEXT) | instid1(VALU_DEP_2)
	v_cmp_lt_i64_e32 vcc_lo, v[2:3], v[8:9]
	v_ashrrev_i32_e32 v21, 31, v20
	s_wait_alu 0xfffd
	v_dual_cndmask_b32 v5, v7, v5 :: v_dual_cndmask_b32 v4, v6, v4
	s_delay_alu instid0(VALU_DEP_1)
	v_cmpx_ne_u64_e64 v[4:5], v[20:21]
	s_cbranch_execz .LBB113_122
; %bb.109:
	s_load_b64 s[34:35], s[10:11], 0x0
	s_wait_kmcnt 0x0
	s_sub_nc_u64 s[34:35], s[34:35], s[24:25]
	s_wait_alu 0xfffe
	v_cmp_gt_i64_e32 vcc_lo, s[34:35], v[2:3]
	s_and_b32 exec_lo, exec_lo, vcc_lo
	s_cbranch_execz .LBB113_122
; %bb.110:
	v_cmp_gt_i64_e32 vcc_lo, s[12:13], v[20:21]
	v_cmp_le_i64_e64 s0, s[18:19], v[20:21]
	v_lshlrev_b64_e32 v[2:3], 4, v[4:5]
	s_or_b32 s0, vcc_lo, s0
	s_wait_alu 0xfffe
	s_and_saveexec_b32 s29, s0
	s_wait_alu 0xfffe
	s_xor_b32 s0, exec_lo, s29
	s_cbranch_execz .LBB113_116
; %bb.111:
	v_add_co_u32 v2, vcc_lo, s14, v2
	s_wait_alu 0xfffd
	v_add_co_ci_u32_e64 v3, null, s15, v3, vcc_lo
	v_lshlrev_b64_e32 v[6:7], 4, v[20:21]
	s_mov_b32 s29, 0
	global_load_b128 v[2:5], v[2:3], off
	v_add_co_u32 v22, vcc_lo, s20, v6
	s_wait_alu 0xfffd
	v_add_co_ci_u32_e64 v23, null, s21, v7, vcc_lo
	ds_load_b128 v[6:9], v26 offset:4096
	global_load_b64 v[12:13], v[22:23], off
	s_wait_loadcnt_dscnt 0x100
	v_mul_f64_e64 v[10:11], v[4:5], -v[8:9]
	s_delay_alu instid0(VALU_DEP_1)
	v_fma_f64 v[24:25], v[6:7], v[2:3], v[10:11]
.LBB113_112:                            ; =>This Inner Loop Header: Depth=1
	s_wait_loadcnt 0x0
	s_delay_alu instid0(VALU_DEP_1)
	v_add_f64_e32 v[10:11], v[12:13], v[24:25]
	global_atomic_cmpswap_b64 v[10:11], v[22:23], v[10:13], off th:TH_ATOMIC_RETURN scope:SCOPE_DEV
	s_wait_loadcnt 0x0
	v_cmp_eq_u64_e32 vcc_lo, v[10:11], v[12:13]
	v_dual_mov_b32 v13, v11 :: v_dual_mov_b32 v12, v10
	s_wait_alu 0xfffe
	s_or_b32 s29, vcc_lo, s29
	s_wait_alu 0xfffe
	s_and_not1_b32 exec_lo, exec_lo, s29
	s_cbranch_execnz .LBB113_112
; %bb.113:
	s_or_b32 exec_lo, exec_lo, s29
	global_load_b64 v[10:11], v[22:23], off offset:8
	v_mul_f64_e32 v[4:5], v[4:5], v[6:7]
	s_mov_b32 s29, 0
	s_delay_alu instid0(VALU_DEP_1)
	v_fma_f64 v[2:3], v[8:9], v[2:3], v[4:5]
.LBB113_114:                            ; =>This Inner Loop Header: Depth=1
	s_wait_loadcnt 0x0
	s_delay_alu instid0(VALU_DEP_1)
	v_add_f64_e32 v[8:9], v[10:11], v[2:3]
	global_atomic_cmpswap_b64 v[4:5], v[22:23], v[8:11], off offset:8 th:TH_ATOMIC_RETURN scope:SCOPE_DEV
	s_wait_loadcnt 0x0
	v_cmp_eq_u64_e32 vcc_lo, v[4:5], v[10:11]
	v_dual_mov_b32 v11, v5 :: v_dual_mov_b32 v10, v4
	s_wait_alu 0xfffe
	s_or_b32 s29, vcc_lo, s29
	s_wait_alu 0xfffe
	s_and_not1_b32 exec_lo, exec_lo, s29
	s_cbranch_execnz .LBB113_114
; %bb.115:
	s_or_b32 exec_lo, exec_lo, s29
                                        ; implicit-def: $vgpr2_vgpr3
.LBB113_116:
	s_wait_alu 0xfffe
	s_and_not1_saveexec_b32 s0, s0
	s_cbranch_execz .LBB113_122
; %bb.117:
	v_add_co_u32 v2, vcc_lo, s14, v2
	s_wait_alu 0xfffd
	v_add_co_ci_u32_e64 v3, null, s15, v3, vcc_lo
	ds_load_b128 v[6:9], v26 offset:4096
	v_subrev_nc_u32_e32 v12, s12, v20
	s_mov_b32 s0, 0
	global_load_b128 v[2:5], v[2:3], off
	v_lshl_add_u32 v22, v12, 4, 0x4000
	ds_load_b64 v[12:13], v22
	s_wait_loadcnt_dscnt 0x1
	v_mul_f64_e64 v[10:11], v[4:5], -v[8:9]
	s_delay_alu instid0(VALU_DEP_1)
	v_fma_f64 v[10:11], v[6:7], v[2:3], v[10:11]
.LBB113_118:                            ; =>This Inner Loop Header: Depth=1
	s_wait_dscnt 0x0
	s_delay_alu instid0(VALU_DEP_1)
	v_add_f64_e32 v[23:24], v[12:13], v[10:11]
	ds_cmpstore_rtn_b64 v[23:24], v22, v[23:24], v[12:13]
	s_wait_dscnt 0x0
	v_cmp_eq_u64_e32 vcc_lo, v[23:24], v[12:13]
	v_dual_mov_b32 v12, v23 :: v_dual_mov_b32 v13, v24
	s_wait_alu 0xfffe
	s_or_b32 s0, vcc_lo, s0
	s_wait_alu 0xfffe
	s_and_not1_b32 exec_lo, exec_lo, s0
	s_cbranch_execnz .LBB113_118
; %bb.119:
	s_or_b32 exec_lo, exec_lo, s0
	v_mul_f64_e32 v[4:5], v[4:5], v[6:7]
	s_mov_b32 s0, 0
	s_delay_alu instid0(VALU_DEP_1)
	v_fma_f64 v[2:3], v[8:9], v[2:3], v[4:5]
	ds_load_b64 v[4:5], v22 offset:8
.LBB113_120:                            ; =>This Inner Loop Header: Depth=1
	s_wait_dscnt 0x0
	v_add_f64_e32 v[6:7], v[4:5], v[2:3]
	ds_cmpstore_rtn_b64 v[6:7], v22, v[6:7], v[4:5] offset:8
	s_wait_dscnt 0x0
	v_cmp_eq_u64_e32 vcc_lo, v[6:7], v[4:5]
	v_dual_mov_b32 v4, v6 :: v_dual_mov_b32 v5, v7
	s_wait_alu 0xfffe
	s_or_b32 s0, vcc_lo, s0
	s_wait_alu 0xfffe
	s_and_not1_b32 exec_lo, exec_lo, s0
	s_cbranch_execnz .LBB113_120
; %bb.121:
	s_or_b32 exec_lo, exec_lo, s0
.LBB113_122:
	s_wait_alu 0xfffe
	s_or_b32 exec_lo, exec_lo, s7
	v_lshlrev_b64_e32 v[2:3], 4, v[20:21]
	ds_load_b128 v[6:9], v26 offset:4096
	v_add_co_u32 v2, vcc_lo, s14, v2
	s_wait_alu 0xfffd
	v_add_co_ci_u32_e64 v3, null, s15, v3, vcc_lo
	v_cmp_ne_u32_e32 vcc_lo, 1, v27
	global_load_b128 v[2:5], v[2:3], off
	s_and_b32 vcc_lo, exec_lo, vcc_lo
	s_wait_loadcnt_dscnt 0x0
	v_mul_f64_e64 v[10:11], v[4:5], -v[8:9]
	v_mul_f64_e32 v[4:5], v[4:5], v[6:7]
	s_delay_alu instid0(VALU_DEP_2) | instskip(NEXT) | instid1(VALU_DEP_2)
	v_fma_f64 v[10:11], v[6:7], v[2:3], v[10:11]
	v_fma_f64 v[12:13], v[8:9], v[2:3], v[4:5]
	v_add_co_u32 v2, s0, 0x200, v14
	s_wait_alu 0xf1ff
	v_add_co_ci_u32_e64 v3, null, 0, v15, s0
	v_dual_mov_b32 v4, s16 :: v_dual_mov_b32 v5, s17
	v_dual_mov_b32 v6, s30 :: v_dual_mov_b32 v7, s31
	ds_store_b128 v26, v[10:13] offset:4096
	s_wait_alu 0xfffe
	s_cbranch_vccnz .LBB113_126
; %bb.123:
	v_dual_mov_b32 v4, s16 :: v_dual_mov_b32 v5, s17
	v_dual_mov_b32 v6, s30 :: v_dual_mov_b32 v7, s31
	s_mov_b32 s7, 0
.LBB113_124:                            ; =>This Inner Loop Header: Depth=1
	s_delay_alu instid0(VALU_DEP_1) | instskip(SKIP_1) | instid1(VALU_DEP_2)
	v_add_co_u32 v8, vcc_lo, v6, v4
	s_wait_alu 0xfffd
	v_add_co_ci_u32_e64 v9, null, v7, v5, vcc_lo
	s_delay_alu instid0(VALU_DEP_1) | instskip(NEXT) | instid1(VALU_DEP_1)
	v_lshrrev_b32_e32 v10, 31, v9
	v_add_co_u32 v8, vcc_lo, v8, v10
	s_wait_alu 0xfffd
	v_add_co_ci_u32_e64 v9, null, 0, v9, vcc_lo
	s_delay_alu instid0(VALU_DEP_1) | instskip(NEXT) | instid1(VALU_DEP_1)
	v_ashrrev_i64 v[8:9], 1, v[8:9]
	v_lshlrev_b64_e32 v[10:11], 3, v[8:9]
	s_delay_alu instid0(VALU_DEP_1) | instskip(SKIP_1) | instid1(VALU_DEP_2)
	v_add_co_u32 v10, vcc_lo, s8, v10
	s_wait_alu 0xfffd
	v_add_co_ci_u32_e64 v11, null, s9, v11, vcc_lo
	global_load_b64 v[10:11], v[10:11], off
	s_wait_loadcnt 0x0
	v_sub_co_u32 v10, vcc_lo, v10, s24
	s_wait_alu 0xfffd
	v_subrev_co_ci_u32_e64 v11, null, 0, v11, vcc_lo
	s_delay_alu instid0(VALU_DEP_1) | instskip(SKIP_3) | instid1(VALU_DEP_2)
	v_cmp_lt_i64_e32 vcc_lo, v[2:3], v[10:11]
	s_wait_alu 0xfffd
	v_dual_cndmask_b32 v7, v7, v9 :: v_dual_cndmask_b32 v6, v6, v8
	v_dual_cndmask_b32 v5, v9, v5 :: v_dual_cndmask_b32 v4, v8, v4
	v_add_co_u32 v8, vcc_lo, v6, -1
	s_wait_alu 0xfffd
	s_delay_alu instid0(VALU_DEP_3) | instskip(NEXT) | instid1(VALU_DEP_3)
	v_add_co_ci_u32_e64 v9, null, -1, v7, vcc_lo
	v_cmp_ge_i64_e32 vcc_lo, v[4:5], v[6:7]
	s_delay_alu instid0(VALU_DEP_2)
	v_cmp_eq_u64_e64 s0, v[4:5], v[8:9]
	s_or_b32 s0, vcc_lo, s0
	s_wait_alu 0xfffe
	s_and_b32 s0, exec_lo, s0
	s_wait_alu 0xfffe
	s_or_b32 s7, s0, s7
	s_wait_alu 0xfffe
	s_and_not1_b32 exec_lo, exec_lo, s7
	s_cbranch_execnz .LBB113_124
; %bb.125:
	s_or_b32 exec_lo, exec_lo, s7
.LBB113_126:
	v_lshlrev_b64_e32 v[8:9], 3, v[6:7]
	s_mov_b32 s7, exec_lo
	s_delay_alu instid0(VALU_DEP_1) | instskip(SKIP_1) | instid1(VALU_DEP_2)
	v_add_co_u32 v8, vcc_lo, s8, v8
	s_wait_alu 0xfffd
	v_add_co_ci_u32_e64 v9, null, s9, v9, vcc_lo
	global_load_b64 v[8:9], v[8:9], off
	global_load_b32 v10, v[18:19], off offset:2048
	s_wait_loadcnt 0x1
	v_sub_co_u32 v8, vcc_lo, v8, s24
	s_wait_alu 0xfffd
	v_subrev_co_ci_u32_e64 v9, null, 0, v9, vcc_lo
	s_wait_loadcnt 0x0
	v_subrev_nc_u32_e32 v14, s24, v10
	s_delay_alu instid0(VALU_DEP_2) | instskip(NEXT) | instid1(VALU_DEP_2)
	v_cmp_lt_i64_e32 vcc_lo, v[2:3], v[8:9]
	v_ashrrev_i32_e32 v15, 31, v14
	s_wait_alu 0xfffd
	v_dual_cndmask_b32 v5, v7, v5 :: v_dual_cndmask_b32 v4, v6, v4
	s_delay_alu instid0(VALU_DEP_1)
	v_cmpx_ne_u64_e64 v[4:5], v[14:15]
	s_cbranch_execz .LBB113_140
; %bb.127:
	s_load_b64 s[34:35], s[10:11], 0x0
	s_wait_kmcnt 0x0
	s_sub_nc_u64 s[34:35], s[34:35], s[24:25]
	s_wait_alu 0xfffe
	v_cmp_gt_i64_e32 vcc_lo, s[34:35], v[2:3]
	s_and_b32 exec_lo, exec_lo, vcc_lo
	s_cbranch_execz .LBB113_140
; %bb.128:
	v_cmp_gt_i64_e32 vcc_lo, s[12:13], v[14:15]
	v_cmp_le_i64_e64 s0, s[18:19], v[14:15]
	v_lshlrev_b64_e32 v[2:3], 4, v[4:5]
	s_or_b32 s0, vcc_lo, s0
	s_wait_alu 0xfffe
	s_and_saveexec_b32 s29, s0
	s_wait_alu 0xfffe
	s_xor_b32 s0, exec_lo, s29
	s_cbranch_execz .LBB113_134
; %bb.129:
	v_add_co_u32 v2, vcc_lo, s14, v2
	s_wait_alu 0xfffd
	v_add_co_ci_u32_e64 v3, null, s15, v3, vcc_lo
	v_lshlrev_b64_e32 v[6:7], 4, v[14:15]
	s_mov_b32 s29, 0
	global_load_b128 v[2:5], v[2:3], off
	v_add_co_u32 v20, vcc_lo, s20, v6
	s_wait_alu 0xfffd
	v_add_co_ci_u32_e64 v21, null, s21, v7, vcc_lo
	ds_load_b128 v[6:9], v26 offset:8192
	global_load_b64 v[12:13], v[20:21], off
	s_wait_loadcnt_dscnt 0x100
	v_mul_f64_e64 v[10:11], v[4:5], -v[8:9]
	s_delay_alu instid0(VALU_DEP_1)
	v_fma_f64 v[22:23], v[6:7], v[2:3], v[10:11]
.LBB113_130:                            ; =>This Inner Loop Header: Depth=1
	s_wait_loadcnt 0x0
	s_delay_alu instid0(VALU_DEP_1)
	v_add_f64_e32 v[10:11], v[12:13], v[22:23]
	global_atomic_cmpswap_b64 v[10:11], v[20:21], v[10:13], off th:TH_ATOMIC_RETURN scope:SCOPE_DEV
	s_wait_loadcnt 0x0
	v_cmp_eq_u64_e32 vcc_lo, v[10:11], v[12:13]
	v_dual_mov_b32 v13, v11 :: v_dual_mov_b32 v12, v10
	s_wait_alu 0xfffe
	s_or_b32 s29, vcc_lo, s29
	s_wait_alu 0xfffe
	s_and_not1_b32 exec_lo, exec_lo, s29
	s_cbranch_execnz .LBB113_130
; %bb.131:
	s_or_b32 exec_lo, exec_lo, s29
	global_load_b64 v[10:11], v[20:21], off offset:8
	v_mul_f64_e32 v[4:5], v[4:5], v[6:7]
	s_mov_b32 s29, 0
	s_delay_alu instid0(VALU_DEP_1)
	v_fma_f64 v[2:3], v[8:9], v[2:3], v[4:5]
.LBB113_132:                            ; =>This Inner Loop Header: Depth=1
	s_wait_loadcnt 0x0
	s_delay_alu instid0(VALU_DEP_1)
	v_add_f64_e32 v[8:9], v[10:11], v[2:3]
	global_atomic_cmpswap_b64 v[4:5], v[20:21], v[8:11], off offset:8 th:TH_ATOMIC_RETURN scope:SCOPE_DEV
	s_wait_loadcnt 0x0
	v_cmp_eq_u64_e32 vcc_lo, v[4:5], v[10:11]
	v_dual_mov_b32 v11, v5 :: v_dual_mov_b32 v10, v4
	s_wait_alu 0xfffe
	s_or_b32 s29, vcc_lo, s29
	s_wait_alu 0xfffe
	s_and_not1_b32 exec_lo, exec_lo, s29
	s_cbranch_execnz .LBB113_132
; %bb.133:
	s_or_b32 exec_lo, exec_lo, s29
                                        ; implicit-def: $vgpr2_vgpr3
.LBB113_134:
	s_wait_alu 0xfffe
	s_and_not1_saveexec_b32 s0, s0
	s_cbranch_execz .LBB113_140
; %bb.135:
	v_add_co_u32 v2, vcc_lo, s14, v2
	s_wait_alu 0xfffd
	v_add_co_ci_u32_e64 v3, null, s15, v3, vcc_lo
	ds_load_b128 v[6:9], v26 offset:8192
	v_subrev_nc_u32_e32 v12, s12, v14
	s_mov_b32 s0, 0
	global_load_b128 v[2:5], v[2:3], off
	v_lshl_add_u32 v20, v12, 4, 0x4000
	ds_load_b64 v[12:13], v20
	s_wait_loadcnt_dscnt 0x1
	v_mul_f64_e64 v[10:11], v[4:5], -v[8:9]
	s_delay_alu instid0(VALU_DEP_1)
	v_fma_f64 v[10:11], v[6:7], v[2:3], v[10:11]
.LBB113_136:                            ; =>This Inner Loop Header: Depth=1
	s_wait_dscnt 0x0
	s_delay_alu instid0(VALU_DEP_1)
	v_add_f64_e32 v[21:22], v[12:13], v[10:11]
	ds_cmpstore_rtn_b64 v[21:22], v20, v[21:22], v[12:13]
	s_wait_dscnt 0x0
	v_cmp_eq_u64_e32 vcc_lo, v[21:22], v[12:13]
	v_dual_mov_b32 v12, v21 :: v_dual_mov_b32 v13, v22
	s_wait_alu 0xfffe
	s_or_b32 s0, vcc_lo, s0
	s_wait_alu 0xfffe
	s_and_not1_b32 exec_lo, exec_lo, s0
	s_cbranch_execnz .LBB113_136
; %bb.137:
	s_or_b32 exec_lo, exec_lo, s0
	v_mul_f64_e32 v[4:5], v[4:5], v[6:7]
	s_mov_b32 s0, 0
	s_delay_alu instid0(VALU_DEP_1)
	v_fma_f64 v[2:3], v[8:9], v[2:3], v[4:5]
	ds_load_b64 v[4:5], v20 offset:8
.LBB113_138:                            ; =>This Inner Loop Header: Depth=1
	s_wait_dscnt 0x0
	v_add_f64_e32 v[6:7], v[4:5], v[2:3]
	ds_cmpstore_rtn_b64 v[6:7], v20, v[6:7], v[4:5] offset:8
	s_wait_dscnt 0x0
	v_cmp_eq_u64_e32 vcc_lo, v[6:7], v[4:5]
	v_dual_mov_b32 v4, v6 :: v_dual_mov_b32 v5, v7
	s_wait_alu 0xfffe
	s_or_b32 s0, vcc_lo, s0
	s_wait_alu 0xfffe
	s_and_not1_b32 exec_lo, exec_lo, s0
	s_cbranch_execnz .LBB113_138
; %bb.139:
	s_or_b32 exec_lo, exec_lo, s0
.LBB113_140:
	s_wait_alu 0xfffe
	s_or_b32 exec_lo, exec_lo, s7
	v_lshlrev_b64_e32 v[2:3], 4, v[14:15]
	ds_load_b128 v[6:9], v26 offset:8192
	v_add_co_u32 v2, vcc_lo, s14, v2
	s_wait_alu 0xfffd
	v_add_co_ci_u32_e64 v3, null, s15, v3, vcc_lo
	v_cmp_ne_u32_e32 vcc_lo, 1, v27
	global_load_b128 v[2:5], v[2:3], off
	s_and_b32 vcc_lo, exec_lo, vcc_lo
	s_wait_loadcnt_dscnt 0x0
	v_mul_f64_e64 v[10:11], v[4:5], -v[8:9]
	v_mul_f64_e32 v[4:5], v[4:5], v[6:7]
	s_delay_alu instid0(VALU_DEP_2) | instskip(NEXT) | instid1(VALU_DEP_2)
	v_fma_f64 v[6:7], v[6:7], v[2:3], v[10:11]
	v_fma_f64 v[8:9], v[8:9], v[2:3], v[4:5]
	v_dual_mov_b32 v2, s16 :: v_dual_mov_b32 v3, s17
	v_dual_mov_b32 v4, s30 :: v_dual_mov_b32 v5, s31
	ds_store_b128 v26, v[6:9] offset:8192
	s_wait_alu 0xfffe
	s_cbranch_vccnz .LBB113_144
; %bb.141:
	v_dual_mov_b32 v2, s16 :: v_dual_mov_b32 v3, s17
	v_dual_mov_b32 v4, s30 :: v_dual_mov_b32 v5, s31
	s_mov_b32 s7, 0
.LBB113_142:                            ; =>This Inner Loop Header: Depth=1
	s_delay_alu instid0(VALU_DEP_1) | instskip(SKIP_1) | instid1(VALU_DEP_2)
	v_add_co_u32 v6, vcc_lo, v4, v2
	s_wait_alu 0xfffd
	v_add_co_ci_u32_e64 v7, null, v5, v3, vcc_lo
	s_delay_alu instid0(VALU_DEP_1) | instskip(NEXT) | instid1(VALU_DEP_1)
	v_lshrrev_b32_e32 v8, 31, v7
	v_add_co_u32 v6, vcc_lo, v6, v8
	s_wait_alu 0xfffd
	v_add_co_ci_u32_e64 v7, null, 0, v7, vcc_lo
	s_delay_alu instid0(VALU_DEP_1) | instskip(NEXT) | instid1(VALU_DEP_1)
	v_ashrrev_i64 v[6:7], 1, v[6:7]
	v_lshlrev_b64_e32 v[8:9], 3, v[6:7]
	s_delay_alu instid0(VALU_DEP_1) | instskip(SKIP_1) | instid1(VALU_DEP_2)
	v_add_co_u32 v8, vcc_lo, s8, v8
	s_wait_alu 0xfffd
	v_add_co_ci_u32_e64 v9, null, s9, v9, vcc_lo
	global_load_b64 v[8:9], v[8:9], off
	s_wait_loadcnt 0x0
	v_sub_co_u32 v8, vcc_lo, v8, s24
	s_wait_alu 0xfffd
	v_subrev_co_ci_u32_e64 v9, null, 0, v9, vcc_lo
	s_delay_alu instid0(VALU_DEP_1) | instskip(SKIP_3) | instid1(VALU_DEP_2)
	v_cmp_lt_i64_e32 vcc_lo, v[16:17], v[8:9]
	s_wait_alu 0xfffd
	v_dual_cndmask_b32 v5, v5, v7 :: v_dual_cndmask_b32 v4, v4, v6
	v_dual_cndmask_b32 v3, v7, v3 :: v_dual_cndmask_b32 v2, v6, v2
	v_add_co_u32 v6, vcc_lo, v4, -1
	s_wait_alu 0xfffd
	s_delay_alu instid0(VALU_DEP_3) | instskip(NEXT) | instid1(VALU_DEP_3)
	v_add_co_ci_u32_e64 v7, null, -1, v5, vcc_lo
	v_cmp_ge_i64_e32 vcc_lo, v[2:3], v[4:5]
	s_delay_alu instid0(VALU_DEP_2)
	v_cmp_eq_u64_e64 s0, v[2:3], v[6:7]
	s_or_b32 s0, vcc_lo, s0
	s_wait_alu 0xfffe
	s_and_b32 s0, exec_lo, s0
	s_wait_alu 0xfffe
	s_or_b32 s7, s0, s7
	s_wait_alu 0xfffe
	s_and_not1_b32 exec_lo, exec_lo, s7
	s_cbranch_execnz .LBB113_142
; %bb.143:
	s_or_b32 exec_lo, exec_lo, s7
.LBB113_144:
	v_lshlrev_b64_e32 v[6:7], 3, v[4:5]
	s_mov_b32 s7, exec_lo
	s_delay_alu instid0(VALU_DEP_1) | instskip(SKIP_1) | instid1(VALU_DEP_2)
	v_add_co_u32 v6, vcc_lo, s8, v6
	s_wait_alu 0xfffd
	v_add_co_ci_u32_e64 v7, null, s9, v7, vcc_lo
	global_load_b64 v[6:7], v[6:7], off
	global_load_b32 v8, v[18:19], off offset:3072
	s_wait_loadcnt 0x1
	v_sub_co_u32 v6, vcc_lo, v6, s24
	s_wait_alu 0xfffd
	v_subrev_co_ci_u32_e64 v7, null, 0, v7, vcc_lo
	s_wait_loadcnt 0x0
	v_subrev_nc_u32_e32 v14, s24, v8
	s_delay_alu instid0(VALU_DEP_2) | instskip(NEXT) | instid1(VALU_DEP_2)
	v_cmp_lt_i64_e32 vcc_lo, v[16:17], v[6:7]
	v_ashrrev_i32_e32 v15, 31, v14
	s_wait_alu 0xfffd
	v_dual_cndmask_b32 v3, v5, v3 :: v_dual_cndmask_b32 v2, v4, v2
	s_delay_alu instid0(VALU_DEP_1)
	v_cmpx_ne_u64_e64 v[2:3], v[14:15]
	s_cbranch_execz .LBB113_158
; %bb.145:
	s_load_b64 s[10:11], s[10:11], 0x0
	s_wait_kmcnt 0x0
	s_sub_nc_u64 s[10:11], s[10:11], s[24:25]
	s_wait_alu 0xfffe
	v_cmp_gt_i64_e32 vcc_lo, s[10:11], v[16:17]
	s_and_b32 exec_lo, exec_lo, vcc_lo
	s_cbranch_execz .LBB113_158
; %bb.146:
	v_cmp_gt_i64_e32 vcc_lo, s[12:13], v[14:15]
	v_cmp_le_i64_e64 s0, s[18:19], v[14:15]
	v_lshlrev_b64_e32 v[2:3], 4, v[2:3]
	s_or_b32 s0, vcc_lo, s0
	s_wait_alu 0xfffe
	s_and_saveexec_b32 s10, s0
	s_wait_alu 0xfffe
	s_xor_b32 s0, exec_lo, s10
	s_cbranch_execz .LBB113_152
; %bb.147:
	v_add_co_u32 v2, vcc_lo, s14, v2
	s_wait_alu 0xfffd
	v_add_co_ci_u32_e64 v3, null, s15, v3, vcc_lo
	v_lshlrev_b64_e32 v[6:7], 4, v[14:15]
	s_mov_b32 s10, 0
	global_load_b128 v[2:5], v[2:3], off
	v_add_co_u32 v16, vcc_lo, s20, v6
	s_wait_alu 0xfffd
	v_add_co_ci_u32_e64 v17, null, s21, v7, vcc_lo
	ds_load_b128 v[6:9], v26 offset:12288
	global_load_b64 v[12:13], v[16:17], off
	s_wait_loadcnt_dscnt 0x100
	v_mul_f64_e64 v[10:11], v[4:5], -v[8:9]
	s_delay_alu instid0(VALU_DEP_1)
	v_fma_f64 v[18:19], v[6:7], v[2:3], v[10:11]
.LBB113_148:                            ; =>This Inner Loop Header: Depth=1
	s_wait_loadcnt 0x0
	s_delay_alu instid0(VALU_DEP_1)
	v_add_f64_e32 v[10:11], v[12:13], v[18:19]
	global_atomic_cmpswap_b64 v[10:11], v[16:17], v[10:13], off th:TH_ATOMIC_RETURN scope:SCOPE_DEV
	s_wait_loadcnt 0x0
	v_cmp_eq_u64_e32 vcc_lo, v[10:11], v[12:13]
	v_dual_mov_b32 v13, v11 :: v_dual_mov_b32 v12, v10
	s_wait_alu 0xfffe
	s_or_b32 s10, vcc_lo, s10
	s_wait_alu 0xfffe
	s_and_not1_b32 exec_lo, exec_lo, s10
	s_cbranch_execnz .LBB113_148
; %bb.149:
	s_or_b32 exec_lo, exec_lo, s10
	global_load_b64 v[10:11], v[16:17], off offset:8
	v_mul_f64_e32 v[4:5], v[4:5], v[6:7]
	s_mov_b32 s10, 0
	s_delay_alu instid0(VALU_DEP_1)
	v_fma_f64 v[2:3], v[8:9], v[2:3], v[4:5]
.LBB113_150:                            ; =>This Inner Loop Header: Depth=1
	s_wait_loadcnt 0x0
	s_delay_alu instid0(VALU_DEP_1)
	v_add_f64_e32 v[8:9], v[10:11], v[2:3]
	global_atomic_cmpswap_b64 v[4:5], v[16:17], v[8:11], off offset:8 th:TH_ATOMIC_RETURN scope:SCOPE_DEV
	s_wait_loadcnt 0x0
	v_cmp_eq_u64_e32 vcc_lo, v[4:5], v[10:11]
	v_dual_mov_b32 v11, v5 :: v_dual_mov_b32 v10, v4
	s_wait_alu 0xfffe
	s_or_b32 s10, vcc_lo, s10
	s_wait_alu 0xfffe
	s_and_not1_b32 exec_lo, exec_lo, s10
	s_cbranch_execnz .LBB113_150
; %bb.151:
	s_or_b32 exec_lo, exec_lo, s10
                                        ; implicit-def: $vgpr2_vgpr3
.LBB113_152:
	s_wait_alu 0xfffe
	s_and_not1_saveexec_b32 s0, s0
	s_cbranch_execz .LBB113_158
; %bb.153:
	v_add_co_u32 v2, vcc_lo, s14, v2
	s_wait_alu 0xfffd
	v_add_co_ci_u32_e64 v3, null, s15, v3, vcc_lo
	ds_load_b128 v[6:9], v26 offset:12288
	v_subrev_nc_u32_e32 v12, s12, v14
	s_mov_b32 s0, 0
	global_load_b128 v[2:5], v[2:3], off
	v_lshl_add_u32 v16, v12, 4, 0x4000
	ds_load_b64 v[12:13], v16
	s_wait_loadcnt_dscnt 0x1
	v_mul_f64_e64 v[10:11], v[4:5], -v[8:9]
	s_delay_alu instid0(VALU_DEP_1)
	v_fma_f64 v[10:11], v[6:7], v[2:3], v[10:11]
.LBB113_154:                            ; =>This Inner Loop Header: Depth=1
	s_wait_dscnt 0x0
	s_delay_alu instid0(VALU_DEP_1)
	v_add_f64_e32 v[17:18], v[12:13], v[10:11]
	ds_cmpstore_rtn_b64 v[17:18], v16, v[17:18], v[12:13]
	s_wait_dscnt 0x0
	v_cmp_eq_u64_e32 vcc_lo, v[17:18], v[12:13]
	v_dual_mov_b32 v12, v17 :: v_dual_mov_b32 v13, v18
	s_wait_alu 0xfffe
	s_or_b32 s0, vcc_lo, s0
	s_wait_alu 0xfffe
	s_and_not1_b32 exec_lo, exec_lo, s0
	s_cbranch_execnz .LBB113_154
; %bb.155:
	s_or_b32 exec_lo, exec_lo, s0
	v_mul_f64_e32 v[4:5], v[4:5], v[6:7]
	s_mov_b32 s0, 0
	s_delay_alu instid0(VALU_DEP_1)
	v_fma_f64 v[2:3], v[8:9], v[2:3], v[4:5]
	ds_load_b64 v[4:5], v16 offset:8
.LBB113_156:                            ; =>This Inner Loop Header: Depth=1
	s_wait_dscnt 0x0
	v_add_f64_e32 v[6:7], v[4:5], v[2:3]
	ds_cmpstore_rtn_b64 v[6:7], v16, v[6:7], v[4:5] offset:8
	s_wait_dscnt 0x0
	v_cmp_eq_u64_e32 vcc_lo, v[6:7], v[4:5]
	v_dual_mov_b32 v4, v6 :: v_dual_mov_b32 v5, v7
	s_wait_alu 0xfffe
	s_or_b32 s0, vcc_lo, s0
	s_wait_alu 0xfffe
	s_and_not1_b32 exec_lo, exec_lo, s0
	s_cbranch_execnz .LBB113_156
; %bb.157:
	s_or_b32 exec_lo, exec_lo, s0
.LBB113_158:
	s_wait_alu 0xfffe
	s_or_b32 exec_lo, exec_lo, s7
	v_lshlrev_b64_e32 v[2:3], 4, v[14:15]
	ds_load_b128 v[6:9], v26 offset:12288
	v_add_co_u32 v2, vcc_lo, s14, v2
	s_wait_alu 0xfffd
	v_add_co_ci_u32_e64 v3, null, s15, v3, vcc_lo
	global_load_b128 v[2:5], v[2:3], off
	s_wait_loadcnt_dscnt 0x0
	v_mul_f64_e64 v[10:11], v[4:5], -v[8:9]
	v_mul_f64_e32 v[12:13], v[4:5], v[6:7]
	s_delay_alu instid0(VALU_DEP_2) | instskip(NEXT) | instid1(VALU_DEP_2)
	v_fma_f64 v[4:5], v[6:7], v[2:3], v[10:11]
	v_fma_f64 v[6:7], v[8:9], v[2:3], v[12:13]
	ds_store_b128 v26, v[4:7] offset:12288
.LBB113_159:
	s_wait_alu 0xfffe
	s_or_b32 exec_lo, exec_lo, s1
	v_cmp_lt_i64_e64 s0, s[18:19], s[2:3]
	s_wait_loadcnt_dscnt 0x0
	s_barrier_signal -1
	s_barrier_wait -1
	global_inv scope:SCOPE_SE
	s_and_b32 s0, s0, exec_lo
	s_cselect_b32 s1, s19, s3
	s_cselect_b32 s0, s18, s2
	s_wait_alu 0xfffe
	s_sub_nc_u64 s[2:3], s[0:1], s[22:23]
	s_mov_b32 s1, exec_lo
	s_wait_alu 0xfffe
	v_cmpx_gt_i64_e64 s[2:3], v[0:1]
	s_cbranch_execz .LBB113_166
; %bb.160:
	v_dual_mov_b32 v11, v1 :: v_dual_mov_b32 v10, v0
	s_lshl_b64 s[10:11], s[12:13], 4
	s_mov_b32 s7, 0
	s_wait_alu 0xfffe
	s_add_nc_u64 s[10:11], s[20:21], s[10:11]
.LBB113_161:                            ; =>This Loop Header: Depth=1
                                        ;     Child Loop BB113_162 Depth 2
                                        ;     Child Loop BB113_164 Depth 2
	v_lshlrev_b64_e32 v[2:3], 4, v[10:11]
	s_mov_b32 s12, 0
	s_wait_alu 0xfffe
	s_delay_alu instid0(VALU_DEP_1) | instskip(SKIP_1) | instid1(VALU_DEP_2)
	v_add_co_u32 v12, vcc_lo, s10, v2
	s_wait_alu 0xfffd
	v_add_co_ci_u32_e64 v13, null, s11, v3, vcc_lo
	v_lshl_add_u32 v2, v10, 4, 0x4000
	global_load_b64 v[8:9], v[12:13], off
	ds_load_2addr_b64 v[2:5], v2 offset1:1
.LBB113_162:                            ;   Parent Loop BB113_161 Depth=1
                                        ; =>  This Inner Loop Header: Depth=2
	s_wait_loadcnt_dscnt 0x0
	v_add_f64_e32 v[6:7], v[8:9], v[2:3]
	global_atomic_cmpswap_b64 v[6:7], v[12:13], v[6:9], off th:TH_ATOMIC_RETURN scope:SCOPE_DEV
	s_wait_loadcnt 0x0
	v_cmp_eq_u64_e32 vcc_lo, v[6:7], v[8:9]
	v_dual_mov_b32 v9, v7 :: v_dual_mov_b32 v8, v6
	s_or_b32 s12, vcc_lo, s12
	s_wait_alu 0xfffe
	s_and_not1_b32 exec_lo, exec_lo, s12
	s_cbranch_execnz .LBB113_162
; %bb.163:                              ;   in Loop: Header=BB113_161 Depth=1
	s_or_b32 exec_lo, exec_lo, s12
	global_load_b64 v[8:9], v[12:13], off offset:8
	s_mov_b32 s12, 0
.LBB113_164:                            ;   Parent Loop BB113_161 Depth=1
                                        ; =>  This Inner Loop Header: Depth=2
	s_wait_loadcnt 0x0
	v_add_f64_e32 v[6:7], v[8:9], v[4:5]
	global_atomic_cmpswap_b64 v[2:3], v[12:13], v[6:9], off offset:8 th:TH_ATOMIC_RETURN scope:SCOPE_DEV
	s_wait_loadcnt 0x0
	v_cmp_eq_u64_e32 vcc_lo, v[2:3], v[8:9]
	v_dual_mov_b32 v9, v3 :: v_dual_mov_b32 v8, v2
	s_wait_alu 0xfffe
	s_or_b32 s12, vcc_lo, s12
	s_wait_alu 0xfffe
	s_and_not1_b32 exec_lo, exec_lo, s12
	s_cbranch_execnz .LBB113_164
; %bb.165:                              ;   in Loop: Header=BB113_161 Depth=1
	s_or_b32 exec_lo, exec_lo, s12
	v_add_co_u32 v10, vcc_lo, 0x100, v10
	s_wait_alu 0xfffd
	v_add_co_ci_u32_e64 v11, null, 0, v11, vcc_lo
	s_delay_alu instid0(VALU_DEP_1)
	v_cmp_le_i64_e32 vcc_lo, s[2:3], v[10:11]
	s_or_b32 s7, vcc_lo, s7
	s_wait_alu 0xfffe
	s_and_not1_b32 exec_lo, exec_lo, s7
	s_cbranch_execnz .LBB113_161
.LBB113_166:
	s_or_b32 exec_lo, exec_lo, s1
	s_add_co_i32 s1, s28, -1
	v_add_co_u32 v10, s7, s16, v0
	s_wait_alu 0xfffe
	s_ashr_i32 s3, s1, 1
	v_add_co_ci_u32_e64 v11, null, s17, 0, s7
	s_wait_alu 0xfffe
	s_or_b32 s1, s3, s1
	s_wait_loadcnt 0x0
	s_wait_alu 0xfffe
	s_ashr_i32 s3, s1, 2
	s_barrier_signal -1
	s_wait_alu 0xfffe
	s_or_b32 s1, s3, s1
	s_barrier_wait -1
	s_wait_alu 0xfffe
	s_ashr_i32 s3, s1, 4
	global_inv scope:SCOPE_SE
	s_wait_alu 0xfffe
	s_or_b32 s1, s3, s1
	s_wait_alu 0xfffe
	s_ashr_i32 s3, s1, 8
	s_wait_alu 0xfffe
	s_or_b32 s1, s3, s1
	s_wait_alu 0xfffe
	s_ashr_i32 s3, s1, 16
	s_wait_alu 0xfffe
	s_or_b32 s3, s3, s1
	s_mov_b32 s1, -1
	s_wait_alu 0xfffe
	s_add_co_i32 s3, s3, 1
	s_wait_alu 0xfffe
	s_ashr_i32 s10, s3, 1
	s_wait_alu 0xfffe
	s_cmp_gt_i32 s10, 1
	s_cbranch_scc1 .LBB113_179
; %bb.167:
	s_mov_b32 s1, exec_lo
	v_cmpx_gt_i64_e64 s[18:19], v[10:11]
	s_cbranch_execz .LBB113_178
; %bb.168:
	s_sub_co_i32 s0, s0, s18
	v_dual_mov_b32 v13, v11 :: v_dual_mov_b32 v12, v10
	s_lshl_b32 s7, s4, 4
	s_wait_alu 0xfffe
	s_lshl_b32 s0, s0, 4
	s_mov_b32 s3, 0
	s_wait_alu 0xfffe
	s_addk_co_i32 s0, 0x4000
	s_sub_co_i32 s7, 0, s7
.LBB113_169:                            ; =>This Loop Header: Depth=1
                                        ;     Child Loop BB113_171 Depth 2
                                        ;     Child Loop BB113_174 Depth 2
	;; [unrolled: 1-line block ×3, first 2 shown]
	v_lshlrev_b64_e32 v[2:3], 3, v[12:13]
	v_mov_b32_e32 v14, 0
	v_dual_mov_b32 v15, 0 :: v_dual_mov_b32 v6, 0
	v_mov_b32_e32 v7, 0
	s_mov_b32 s11, exec_lo
	s_delay_alu instid0(VALU_DEP_4)
	v_add_co_u32 v2, vcc_lo, s8, v2
	s_wait_alu 0xfffd
	v_add_co_ci_u32_e64 v3, null, s9, v3, vcc_lo
	global_load_b128 v[2:5], v[2:3], off
	s_wait_loadcnt 0x0
	v_cmpx_lt_i64_e64 v[2:3], v[4:5]
	s_cbranch_execz .LBB113_173
; %bb.170:                              ;   in Loop: Header=BB113_169 Depth=1
	v_sub_co_u32 v4, vcc_lo, v4, s4
	s_wait_alu 0xfffd
	v_subrev_co_ci_u32_e64 v5, null, s5, v5, vcc_lo
	v_sub_co_u32 v8, vcc_lo, v2, s4
	v_mov_b32_e32 v14, 0
	v_dual_mov_b32 v15, 0 :: v_dual_mov_b32 v6, 0
	s_wait_alu 0xfffd
	v_subrev_co_ci_u32_e64 v9, null, s5, v3, vcc_lo
	v_mov_b32_e32 v7, 0
	s_wait_alu 0xfffe
	v_lshl_add_u32 v2, v2, 4, s7
	s_mov_b32 s12, 0
.LBB113_171:                            ;   Parent Loop BB113_169 Depth=1
                                        ; =>  This Inner Loop Header: Depth=2
	ds_load_b128 v[16:19], v2
	v_add_co_u32 v8, vcc_lo, v8, 1
	s_wait_alu 0xfffd
	v_add_co_ci_u32_e64 v9, null, 0, v9, vcc_lo
	v_add_nc_u32_e32 v2, 16, v2
	s_delay_alu instid0(VALU_DEP_2)
	v_cmp_ge_i64_e32 vcc_lo, v[8:9], v[4:5]
	s_wait_alu 0xfffe
	s_or_b32 s12, vcc_lo, s12
	s_wait_dscnt 0x0
	v_add_f64_e32 v[6:7], v[6:7], v[16:17]
	v_add_f64_e32 v[14:15], v[14:15], v[18:19]
	s_wait_alu 0xfffe
	s_and_not1_b32 exec_lo, exec_lo, s12
	s_cbranch_execnz .LBB113_171
; %bb.172:                              ;   in Loop: Header=BB113_169 Depth=1
	s_or_b32 exec_lo, exec_lo, s12
.LBB113_173:                            ;   in Loop: Header=BB113_169 Depth=1
	s_wait_alu 0xfffe
	s_or_b32 exec_lo, exec_lo, s11
	v_lshlrev_b64_e32 v[2:3], 4, v[12:13]
	s_mov_b32 s11, 0
	s_delay_alu instid0(VALU_DEP_1) | instskip(SKIP_1) | instid1(VALU_DEP_2)
	v_add_co_u32 v16, vcc_lo, s20, v2
	s_wait_alu 0xfffd
	v_add_co_ci_u32_e64 v17, null, s21, v3, vcc_lo
	v_lshl_add_u32 v2, v12, 4, s0
	global_load_b64 v[8:9], v[16:17], off
	ds_load_2addr_b64 v[2:5], v2 offset1:1
	s_wait_dscnt 0x0
	v_add_f64_e32 v[2:3], v[6:7], v[2:3]
.LBB113_174:                            ;   Parent Loop BB113_169 Depth=1
                                        ; =>  This Inner Loop Header: Depth=2
	s_wait_loadcnt 0x0
	s_delay_alu instid0(VALU_DEP_1)
	v_add_f64_e32 v[6:7], v[8:9], v[2:3]
	global_atomic_cmpswap_b64 v[6:7], v[16:17], v[6:9], off th:TH_ATOMIC_RETURN scope:SCOPE_DEV
	s_wait_loadcnt 0x0
	v_cmp_eq_u64_e32 vcc_lo, v[6:7], v[8:9]
	v_dual_mov_b32 v9, v7 :: v_dual_mov_b32 v8, v6
	s_wait_alu 0xfffe
	s_or_b32 s11, vcc_lo, s11
	s_wait_alu 0xfffe
	s_and_not1_b32 exec_lo, exec_lo, s11
	s_cbranch_execnz .LBB113_174
; %bb.175:                              ;   in Loop: Header=BB113_169 Depth=1
	s_or_b32 exec_lo, exec_lo, s11
	global_load_b64 v[6:7], v[16:17], off offset:8
	v_add_f64_e32 v[2:3], v[14:15], v[4:5]
	s_mov_b32 s11, 0
.LBB113_176:                            ;   Parent Loop BB113_169 Depth=1
                                        ; =>  This Inner Loop Header: Depth=2
	s_wait_loadcnt 0x0
	s_delay_alu instid0(VALU_DEP_1)
	v_add_f64_e32 v[4:5], v[6:7], v[2:3]
	global_atomic_cmpswap_b64 v[4:5], v[16:17], v[4:7], off offset:8 th:TH_ATOMIC_RETURN scope:SCOPE_DEV
	s_wait_loadcnt 0x0
	v_cmp_eq_u64_e32 vcc_lo, v[4:5], v[6:7]
	v_dual_mov_b32 v7, v5 :: v_dual_mov_b32 v6, v4
	s_wait_alu 0xfffe
	s_or_b32 s11, vcc_lo, s11
	s_wait_alu 0xfffe
	s_and_not1_b32 exec_lo, exec_lo, s11
	s_cbranch_execnz .LBB113_176
; %bb.177:                              ;   in Loop: Header=BB113_169 Depth=1
	s_or_b32 exec_lo, exec_lo, s11
	v_add_co_u32 v12, vcc_lo, v12, s6
	s_wait_alu 0xfffd
	v_add_co_ci_u32_e64 v13, null, 0, v13, vcc_lo
	s_delay_alu instid0(VALU_DEP_1)
	v_cmp_le_i64_e32 vcc_lo, s[18:19], v[12:13]
	s_or_b32 s3, vcc_lo, s3
	s_wait_alu 0xfffe
	s_and_not1_b32 exec_lo, exec_lo, s3
	s_cbranch_execnz .LBB113_169
.LBB113_178:
	s_wait_alu 0xfffe
	s_or_b32 exec_lo, exec_lo, s1
	s_mov_b32 s1, 0
.LBB113_179:
	s_wait_alu 0xfffe
	s_and_not1_b32 vcc_lo, exec_lo, s1
	s_wait_alu 0xfffe
	s_cbranch_vccnz .LBB113_199
; %bb.180:
	s_cvt_f32_u32 s0, s10
	s_sub_co_i32 s1, 0, s10
	s_mov_b32 s11, 0
	s_wait_alu 0xfffe
	v_rcp_iflag_f32_e32 v2, s0
	s_delay_alu instid0(TRANS32_DEP_1) | instskip(SKIP_2) | instid1(SALU_CYCLE_2)
	v_readfirstlane_b32 s0, v2
	s_mul_f32 s0, s0, 0x4f7ffffe
	s_wait_alu 0xfffe
	s_cvt_u32_f32 s0, s0
	s_wait_alu 0xfffe
	s_delay_alu instid0(SALU_CYCLE_2)
	s_mul_i32 s3, s1, s0
	s_wait_alu 0xfffe
	s_mul_hi_u32 s3, s0, s3
	s_wait_alu 0xfffe
	s_add_co_i32 s0, s0, s3
	s_wait_alu 0xfffe
	v_mul_hi_u32 v2, v0, s0
	s_mov_b32 s0, exec_lo
	s_delay_alu instid0(VALU_DEP_1) | instskip(SKIP_1) | instid1(VALU_DEP_2)
	v_mul_lo_u32 v3, v2, s10
	v_add_nc_u32_e32 v4, 1, v2
	v_sub_nc_u32_e32 v3, v0, v3
	s_delay_alu instid0(VALU_DEP_1) | instskip(SKIP_3) | instid1(VALU_DEP_3)
	v_subrev_nc_u32_e32 v5, s10, v3
	v_cmp_le_u32_e32 vcc_lo, s10, v3
	s_wait_alu 0xfffd
	v_cndmask_b32_e32 v2, v2, v4, vcc_lo
	v_dual_cndmask_b32 v4, v3, v5 :: v_dual_mov_b32 v3, 0
	s_delay_alu instid0(VALU_DEP_2) | instskip(NEXT) | instid1(VALU_DEP_2)
	v_add_nc_u32_e32 v5, 1, v2
	v_cmp_le_u32_e32 vcc_lo, s10, v4
	s_wait_alu 0xfffd
	s_delay_alu instid0(VALU_DEP_2) | instskip(NEXT) | instid1(VALU_DEP_1)
	v_cndmask_b32_e32 v2, v2, v5, vcc_lo
	v_lshlrev_b64_e32 v[4:5], 3, v[2:3]
	s_delay_alu instid0(VALU_DEP_1) | instskip(SKIP_1) | instid1(VALU_DEP_2)
	v_add_co_u32 v4, vcc_lo, s26, v4
	s_wait_alu 0xfffd
	v_add_co_ci_u32_e64 v5, null, s27, v5, vcc_lo
	global_load_b128 v[6:9], v[4:5], off
	v_mov_b32_e32 v4, v3
	s_wait_loadcnt 0x0
	v_sub_co_u32 v6, vcc_lo, v6, s4
	s_wait_alu 0xfffd
	v_subrev_co_ci_u32_e64 v7, null, s5, v7, vcc_lo
	v_sub_co_u32 v15, vcc_lo, v8, s4
	s_wait_alu 0xfffd
	v_subrev_co_ci_u32_e64 v16, null, s5, v9, vcc_lo
                                        ; implicit-def: $vgpr8_vgpr9
	s_delay_alu instid0(VALU_DEP_2) | instskip(SKIP_1) | instid1(VALU_DEP_2)
	v_sub_co_u32 v12, vcc_lo, v15, v6
	s_wait_alu 0xfffd
	v_sub_co_ci_u32_e64 v5, null, v16, v7, vcc_lo
	s_delay_alu instid0(VALU_DEP_1)
	v_cmpx_ne_u64_e32 0, v[4:5]
	s_wait_alu 0xfffe
	s_xor_b32 s3, exec_lo, s0
	s_cbranch_execz .LBB113_182
; %bb.181:
	s_add_nc_u64 s[4:5], s[10:11], 0
	s_mov_b32 s13, s11
	s_wait_alu 0xfffe
	s_xor_b64 s[4:5], s[4:5], 0
	s_mov_b32 s17, s11
	s_wait_alu 0xfffe
	s_cvt_f32_u32 s0, s4
	s_cvt_f32_u32 s6, s5
	s_sub_nc_u64 s[8:9], 0, s[4:5]
	v_ashrrev_i32_e32 v14, 31, v5
	s_wait_alu 0xfffe
	s_fmamk_f32 s0, s6, 0x4f800000, s0
	s_delay_alu instid0(VALU_DEP_1) | instskip(SKIP_1) | instid1(SALU_CYCLE_1)
	v_add_co_u32 v4, vcc_lo, v12, v14
	s_wait_alu 0xfffe
	v_s_rcp_f32 s0, s0
	s_wait_alu 0xfffd
	v_add_co_ci_u32_e64 v5, null, v5, v14, vcc_lo
	v_xor_b32_e32 v17, v4, v14
	s_delay_alu instid0(VALU_DEP_2) | instskip(NEXT) | instid1(TRANS32_DEP_1)
	v_xor_b32_e32 v18, v5, v14
	s_mul_f32 s0, s0, 0x5f7ffffc
	s_wait_alu 0xfffe
	s_delay_alu instid0(SALU_CYCLE_2) | instskip(SKIP_1) | instid1(SALU_CYCLE_2)
	s_mul_f32 s6, s0, 0x2f800000
	s_wait_alu 0xfffe
	s_trunc_f32 s6, s6
	s_wait_alu 0xfffe
	s_delay_alu instid0(SALU_CYCLE_2) | instskip(SKIP_2) | instid1(SALU_CYCLE_1)
	s_fmamk_f32 s0, s6, 0xcf800000, s0
	s_cvt_u32_f32 s7, s6
	s_wait_alu 0xfffe
	s_cvt_u32_f32 s6, s0
	s_wait_alu 0xfffe
	s_delay_alu instid0(SALU_CYCLE_2)
	s_mul_u64 s[14:15], s[8:9], s[6:7]
	s_wait_alu 0xfffe
	s_mul_hi_u32 s19, s6, s15
	s_mul_i32 s18, s6, s15
	s_mul_hi_u32 s12, s6, s14
	s_mul_i32 s16, s7, s14
	s_wait_alu 0xfffe
	s_add_nc_u64 s[12:13], s[12:13], s[18:19]
	s_mul_hi_u32 s0, s7, s14
	s_mul_hi_u32 s24, s7, s15
	s_wait_alu 0xfffe
	s_add_co_u32 s12, s12, s16
	s_add_co_ci_u32 s16, s13, s0
	s_mul_i32 s14, s7, s15
	s_add_co_ci_u32 s15, s24, 0
	s_wait_alu 0xfffe
	s_add_nc_u64 s[12:13], s[16:17], s[14:15]
	s_mov_b32 s15, s11
	s_wait_alu 0xfffe
	s_add_co_u32 s6, s6, s12
	s_cselect_b32 s0, -1, 0
	s_wait_alu 0xfffe
	s_cmp_lg_u32 s0, 0
	s_add_co_ci_u32 s7, s7, s13
	s_mov_b32 s13, s11
	s_wait_alu 0xfffe
	s_mul_u64 s[8:9], s[8:9], s[6:7]
	s_wait_alu 0xfffe
	s_mul_hi_u32 s17, s6, s9
	s_mul_i32 s16, s6, s9
	s_mul_hi_u32 s14, s6, s8
	s_mul_i32 s11, s7, s8
	s_wait_alu 0xfffe
	s_add_nc_u64 s[14:15], s[14:15], s[16:17]
	s_mul_hi_u32 s0, s7, s8
	s_mul_hi_u32 s18, s7, s9
	s_mul_i32 s8, s7, s9
	s_wait_alu 0xfffe
	s_add_co_u32 s9, s14, s11
	s_add_co_ci_u32 s12, s15, s0
	s_add_co_ci_u32 s9, s18, 0
	s_wait_alu 0xfffe
	s_add_nc_u64 s[8:9], s[12:13], s[8:9]
	s_wait_alu 0xfffe
	s_add_co_u32 s0, s6, s8
	s_cselect_b32 s6, -1, 0
	s_wait_alu 0xfffe
	v_mul_hi_u32 v19, v17, s0
	s_cmp_lg_u32 s6, 0
	v_mad_co_u64_u32 v[8:9], null, v18, s0, 0
	s_add_co_ci_u32 s6, s7, s9
	s_wait_alu 0xfffe
	v_mad_co_u64_u32 v[4:5], null, v17, s6, 0
	v_mad_co_u64_u32 v[12:13], null, v18, s6, 0
	s_delay_alu instid0(VALU_DEP_2) | instskip(SKIP_1) | instid1(VALU_DEP_3)
	v_add_co_u32 v4, vcc_lo, v19, v4
	s_wait_alu 0xfffd
	v_add_co_ci_u32_e64 v5, null, 0, v5, vcc_lo
	s_delay_alu instid0(VALU_DEP_2) | instskip(SKIP_1) | instid1(VALU_DEP_2)
	v_add_co_u32 v4, vcc_lo, v4, v8
	s_wait_alu 0xfffd
	v_add_co_ci_u32_e32 v4, vcc_lo, v5, v9, vcc_lo
	s_wait_alu 0xfffd
	v_add_co_ci_u32_e32 v5, vcc_lo, 0, v13, vcc_lo
	s_delay_alu instid0(VALU_DEP_2) | instskip(SKIP_1) | instid1(VALU_DEP_2)
	v_add_co_u32 v8, vcc_lo, v4, v12
	s_wait_alu 0xfffd
	v_add_co_ci_u32_e64 v9, null, 0, v5, vcc_lo
	s_delay_alu instid0(VALU_DEP_2) | instskip(SKIP_1) | instid1(VALU_DEP_3)
	v_mul_lo_u32 v12, s5, v8
	v_mad_co_u64_u32 v[4:5], null, s4, v8, 0
	v_mul_lo_u32 v13, s4, v9
	s_delay_alu instid0(VALU_DEP_2) | instskip(NEXT) | instid1(VALU_DEP_2)
	v_sub_co_u32 v4, vcc_lo, v17, v4
	v_add3_u32 v5, v5, v13, v12
	v_add_co_u32 v13, s0, v8, 2
	s_wait_alu 0xf1ff
	v_add_co_ci_u32_e64 v17, null, 0, v9, s0
	s_delay_alu instid0(VALU_DEP_3) | instskip(SKIP_3) | instid1(VALU_DEP_3)
	v_sub_nc_u32_e32 v12, v18, v5
	v_sub_co_u32 v19, s0, v4, s4
	s_wait_alu 0xfffd
	v_sub_co_ci_u32_e64 v5, null, v18, v5, vcc_lo
	v_subrev_co_ci_u32_e64 v12, null, s5, v12, vcc_lo
	s_delay_alu instid0(VALU_DEP_3) | instskip(SKIP_1) | instid1(VALU_DEP_2)
	v_cmp_le_u32_e32 vcc_lo, s4, v19
	s_wait_alu 0xf1ff
	v_subrev_co_ci_u32_e64 v12, null, 0, v12, s0
	s_wait_alu 0xfffd
	v_cndmask_b32_e64 v18, 0, -1, vcc_lo
	v_cmp_eq_u32_e64 s0, s5, v5
	s_delay_alu instid0(VALU_DEP_3)
	v_cmp_le_u32_e32 vcc_lo, s5, v12
	s_wait_alu 0xfffd
	v_cndmask_b32_e64 v19, 0, -1, vcc_lo
	v_cmp_le_u32_e32 vcc_lo, s4, v4
	s_wait_alu 0xfffd
	v_cndmask_b32_e64 v4, 0, -1, vcc_lo
	;; [unrolled: 3-line block ×3, first 2 shown]
	v_cmp_eq_u32_e32 vcc_lo, s5, v12
	s_wait_alu 0xf1ff
	s_delay_alu instid0(VALU_DEP_2)
	v_cndmask_b32_e64 v4, v20, v4, s0
	s_wait_alu 0xfffd
	v_cndmask_b32_e32 v12, v19, v18, vcc_lo
	v_add_co_u32 v18, vcc_lo, v8, 1
	s_wait_alu 0xfffd
	v_add_co_ci_u32_e64 v19, null, 0, v9, vcc_lo
	s_delay_alu instid0(VALU_DEP_3) | instskip(SKIP_1) | instid1(VALU_DEP_2)
	v_cmp_ne_u32_e32 vcc_lo, 0, v12
	s_wait_alu 0xfffd
	v_cndmask_b32_e32 v5, v19, v17, vcc_lo
	v_cndmask_b32_e32 v12, v18, v13, vcc_lo
	v_cmp_ne_u32_e32 vcc_lo, 0, v4
	s_wait_alu 0xfffd
	s_delay_alu instid0(VALU_DEP_2) | instskip(NEXT) | instid1(VALU_DEP_1)
	v_dual_cndmask_b32 v4, v9, v5 :: v_dual_cndmask_b32 v5, v8, v12
                                        ; implicit-def: $vgpr12
	v_xor_b32_e32 v4, v4, v14
	s_delay_alu instid0(VALU_DEP_2) | instskip(NEXT) | instid1(VALU_DEP_1)
	v_xor_b32_e32 v5, v5, v14
	v_sub_co_u32 v8, vcc_lo, v5, v14
	s_wait_alu 0xfffd
	s_delay_alu instid0(VALU_DEP_3)
	v_sub_co_ci_u32_e64 v9, null, v4, v14, vcc_lo
.LBB113_182:
	s_wait_alu 0xfffe
	s_and_not1_saveexec_b32 s0, s3
	s_cbranch_execz .LBB113_184
; %bb.183:
	v_cvt_f32_u32_e32 v4, s10
	s_delay_alu instid0(VALU_DEP_1) | instskip(NEXT) | instid1(TRANS32_DEP_1)
	v_rcp_iflag_f32_e32 v4, v4
	v_mul_f32_e32 v4, 0x4f7ffffe, v4
	s_delay_alu instid0(VALU_DEP_1) | instskip(NEXT) | instid1(VALU_DEP_1)
	v_cvt_u32_f32_e32 v4, v4
	v_mul_lo_u32 v5, s1, v4
	s_delay_alu instid0(VALU_DEP_1) | instskip(NEXT) | instid1(VALU_DEP_1)
	v_mul_hi_u32 v5, v4, v5
	v_add_nc_u32_e32 v4, v4, v5
	s_delay_alu instid0(VALU_DEP_1) | instskip(NEXT) | instid1(VALU_DEP_1)
	v_mul_hi_u32 v4, v12, v4
	v_mul_lo_u32 v5, v4, s10
	v_add_nc_u32_e32 v8, 1, v4
	s_delay_alu instid0(VALU_DEP_2) | instskip(NEXT) | instid1(VALU_DEP_1)
	v_sub_nc_u32_e32 v5, v12, v5
	v_subrev_nc_u32_e32 v9, s10, v5
	v_cmp_le_u32_e32 vcc_lo, s10, v5
	s_wait_alu 0xfffd
	s_delay_alu instid0(VALU_DEP_2) | instskip(SKIP_1) | instid1(VALU_DEP_2)
	v_dual_cndmask_b32 v5, v5, v9 :: v_dual_cndmask_b32 v4, v4, v8
	v_mov_b32_e32 v9, 0
	v_cmp_le_u32_e32 vcc_lo, s10, v5
	s_delay_alu instid0(VALU_DEP_3) | instskip(SKIP_1) | instid1(VALU_DEP_1)
	v_add_nc_u32_e32 v8, 1, v4
	s_wait_alu 0xfffd
	v_cndmask_b32_e32 v8, v4, v8, vcc_lo
.LBB113_184:
	s_wait_alu 0xfffe
	s_or_b32 exec_lo, exec_lo, s0
	v_mov_b32_e32 v4, 0
	v_cmp_gt_i64_e32 vcc_lo, s[22:23], v[2:3]
	v_dual_mov_b32 v5, 0 :: v_dual_mov_b32 v2, 0
	v_mov_b32_e32 v3, 0
	s_and_saveexec_b32 s0, vcc_lo
	s_cbranch_execz .LBB113_192
; %bb.185:
	s_add_co_i32 s1, s10, -1
	v_mov_b32_e32 v4, 0
	s_wait_alu 0xfffe
	v_dual_mov_b32 v5, 0 :: v_dual_and_b32 v12, s1, v0
	v_mov_b32_e32 v2, 0
	v_mov_b32_e32 v3, 0
	s_mov_b32 s1, exec_lo
	s_delay_alu instid0(VALU_DEP_3)
	v_lshlrev_b32_e32 v17, 4, v12
	v_cmpx_lt_i64_e32 0, v[8:9]
	s_cbranch_execz .LBB113_189
; %bb.186:
	v_mov_b32_e32 v4, 0
	v_dual_mov_b32 v5, 0 :: v_dual_mov_b32 v14, v9
	v_lshl_add_u32 v18, v6, 4, v17
	s_delay_alu instid0(VALU_DEP_3) | instskip(NEXT) | instid1(VALU_DEP_3)
	v_dual_mov_b32 v13, v8 :: v_dual_mov_b32 v2, v4
	v_mov_b32_e32 v3, v5
	s_lshl_b32 s4, s10, 4
	s_mov_b32 s3, 0
.LBB113_187:                            ; =>This Inner Loop Header: Depth=1
	ds_load_b128 v[19:22], v18
	v_add_co_u32 v13, vcc_lo, v13, -1
	s_wait_alu 0xfffd
	v_add_co_ci_u32_e64 v14, null, -1, v14, vcc_lo
	s_wait_alu 0xfffe
	v_add_nc_u32_e32 v18, s4, v18
	s_delay_alu instid0(VALU_DEP_2)
	v_cmp_eq_u64_e32 vcc_lo, 0, v[13:14]
	s_or_b32 s3, vcc_lo, s3
	s_wait_dscnt 0x0
	v_add_f64_e32 v[2:3], v[2:3], v[19:20]
	v_add_f64_e32 v[4:5], v[4:5], v[21:22]
	s_wait_alu 0xfffe
	s_and_not1_b32 exec_lo, exec_lo, s3
	s_cbranch_execnz .LBB113_187
; %bb.188:
	s_or_b32 exec_lo, exec_lo, s3
.LBB113_189:
	s_wait_alu 0xfffe
	s_or_b32 exec_lo, exec_lo, s1
	v_mad_co_u64_u32 v[6:7], null, v8, s10, v[6:7]
	v_mov_b32_e32 v13, 0
	s_mov_b32 s1, exec_lo
	s_delay_alu instid0(VALU_DEP_2) | instskip(NEXT) | instid1(VALU_DEP_3)
	v_mad_co_u64_u32 v[7:8], null, v9, s10, v[7:8]
	v_sub_co_u32 v8, vcc_lo, v15, v6
	s_wait_alu 0xfffd
	s_delay_alu instid0(VALU_DEP_2) | instskip(NEXT) | instid1(VALU_DEP_1)
	v_sub_co_ci_u32_e64 v9, null, v16, v7, vcc_lo
	v_cmpx_gt_i64_e64 v[8:9], v[12:13]
	s_cbranch_execz .LBB113_191
; %bb.190:
	v_lshl_add_u32 v6, v6, 4, v17
	ds_load_b128 v[6:9], v6
	s_wait_dscnt 0x0
	v_add_f64_e32 v[2:3], v[2:3], v[6:7]
	v_add_f64_e32 v[4:5], v[4:5], v[8:9]
.LBB113_191:
	s_wait_alu 0xfffe
	s_or_b32 exec_lo, exec_lo, s1
.LBB113_192:
	s_wait_alu 0xfffe
	s_or_b32 exec_lo, exec_lo, s0
	v_cmp_gt_i64_e32 vcc_lo, s[22:23], v[0:1]
	s_barrier_signal -1
	s_barrier_wait -1
	global_inv scope:SCOPE_SE
	ds_store_b128 v26, v[2:5]
	s_wait_loadcnt_dscnt 0x0
	s_barrier_signal -1
	s_barrier_wait -1
	global_inv scope:SCOPE_SE
	s_and_b32 exec_lo, exec_lo, vcc_lo
	s_cbranch_execz .LBB113_199
; %bb.193:
	v_mul_lo_u32 v1, s10, v0
	v_mov_b32_e32 v8, 0
	v_dual_mov_b32 v9, 0 :: v_dual_mov_b32 v4, 0
	v_mov_b32_e32 v5, 0
	s_delay_alu instid0(VALU_DEP_4)
	v_lshlrev_b32_e32 v1, 4, v1
.LBB113_194:                            ; =>This Inner Loop Header: Depth=1
	ds_load_b128 v[12:15], v1
	v_add_nc_u32_e32 v1, 16, v1
	s_add_co_i32 s10, s10, -1
	s_wait_alu 0xfffe
	s_cmp_eq_u32 s10, 0
	s_wait_dscnt 0x0
	v_add_f64_e32 v[4:5], v[4:5], v[12:13]
	v_add_f64_e32 v[8:9], v[8:9], v[14:15]
	s_cbranch_scc0 .LBB113_194
; %bb.195:
	v_lshlrev_b64_e32 v[1:2], 4, v[10:11]
	v_lshlrev_b32_e32 v0, 4, v0
	s_lshl_b32 s0, s2, 4
	s_wait_alu 0xfffe
	s_delay_alu instid0(VALU_DEP_1) | instskip(NEXT) | instid1(VALU_DEP_3)
	v_add3_u32 v0, 0x4000, s0, v0
	v_add_co_u32 v10, vcc_lo, s20, v1
	s_wait_alu 0xfffd
	v_add_co_ci_u32_e64 v11, null, s21, v2, vcc_lo
	ds_load_2addr_b64 v[0:3], v0 offset1:1
	s_mov_b32 s0, 0
	global_load_b64 v[6:7], v[10:11], off
	s_wait_dscnt 0x0
	v_add_f64_e32 v[0:1], v[4:5], v[0:1]
.LBB113_196:                            ; =>This Inner Loop Header: Depth=1
	s_wait_loadcnt 0x0
	s_delay_alu instid0(VALU_DEP_1)
	v_add_f64_e32 v[4:5], v[6:7], v[0:1]
	global_atomic_cmpswap_b64 v[4:5], v[10:11], v[4:7], off th:TH_ATOMIC_RETURN scope:SCOPE_DEV
	s_wait_loadcnt 0x0
	v_cmp_eq_u64_e32 vcc_lo, v[4:5], v[6:7]
	v_dual_mov_b32 v7, v5 :: v_dual_mov_b32 v6, v4
	s_wait_alu 0xfffe
	s_or_b32 s0, vcc_lo, s0
	s_wait_alu 0xfffe
	s_and_not1_b32 exec_lo, exec_lo, s0
	s_cbranch_execnz .LBB113_196
; %bb.197:
	s_or_b32 exec_lo, exec_lo, s0
	global_load_b64 v[4:5], v[10:11], off offset:8
	v_add_f64_e32 v[0:1], v[8:9], v[2:3]
	s_mov_b32 s0, 0
.LBB113_198:                            ; =>This Inner Loop Header: Depth=1
	s_wait_loadcnt 0x0
	s_delay_alu instid0(VALU_DEP_1)
	v_add_f64_e32 v[2:3], v[4:5], v[0:1]
	global_atomic_cmpswap_b64 v[2:3], v[10:11], v[2:5], off offset:8 th:TH_ATOMIC_RETURN scope:SCOPE_DEV
	s_wait_loadcnt 0x0
	v_cmp_eq_u64_e32 vcc_lo, v[2:3], v[4:5]
	v_dual_mov_b32 v5, v3 :: v_dual_mov_b32 v4, v2
	s_wait_alu 0xfffe
	s_or_b32 s0, vcc_lo, s0
	s_wait_alu 0xfffe
	s_and_not1_b32 exec_lo, exec_lo, s0
	s_cbranch_execnz .LBB113_198
.LBB113_199:
	s_endpgm
	.section	.rodata,"a",@progbits
	.p2align	6, 0x0
	.amdhsa_kernel _ZN9rocsparseL27csrmvn_symm_adaptive_kernelIli21rocsparse_complex_numIfES1_IdES3_S3_EEvbT_S4_PKS4_NS_24const_host_device_scalarIT4_EES6_PKT0_PKT1_PKT2_S9_PT3_21rocsparse_index_base_b
		.amdhsa_group_segment_fixed_size 16384
		.amdhsa_private_segment_fixed_size 0
		.amdhsa_kernarg_size 368
		.amdhsa_user_sgpr_count 2
		.amdhsa_user_sgpr_dispatch_ptr 0
		.amdhsa_user_sgpr_queue_ptr 0
		.amdhsa_user_sgpr_kernarg_segment_ptr 1
		.amdhsa_user_sgpr_dispatch_id 0
		.amdhsa_user_sgpr_private_segment_size 0
		.amdhsa_wavefront_size32 1
		.amdhsa_uses_dynamic_stack 0
		.amdhsa_enable_private_segment 0
		.amdhsa_system_sgpr_workgroup_id_x 1
		.amdhsa_system_sgpr_workgroup_id_y 0
		.amdhsa_system_sgpr_workgroup_id_z 0
		.amdhsa_system_sgpr_workgroup_info 0
		.amdhsa_system_vgpr_workitem_id 0
		.amdhsa_next_free_vgpr 35
		.amdhsa_next_free_sgpr 42
		.amdhsa_reserve_vcc 1
		.amdhsa_float_round_mode_32 0
		.amdhsa_float_round_mode_16_64 0
		.amdhsa_float_denorm_mode_32 3
		.amdhsa_float_denorm_mode_16_64 3
		.amdhsa_fp16_overflow 0
		.amdhsa_workgroup_processor_mode 1
		.amdhsa_memory_ordered 1
		.amdhsa_forward_progress 1
		.amdhsa_inst_pref_size 103
		.amdhsa_round_robin_scheduling 0
		.amdhsa_exception_fp_ieee_invalid_op 0
		.amdhsa_exception_fp_denorm_src 0
		.amdhsa_exception_fp_ieee_div_zero 0
		.amdhsa_exception_fp_ieee_overflow 0
		.amdhsa_exception_fp_ieee_underflow 0
		.amdhsa_exception_fp_ieee_inexact 0
		.amdhsa_exception_int_div_zero 0
	.end_amdhsa_kernel
	.section	.text._ZN9rocsparseL27csrmvn_symm_adaptive_kernelIli21rocsparse_complex_numIfES1_IdES3_S3_EEvbT_S4_PKS4_NS_24const_host_device_scalarIT4_EES6_PKT0_PKT1_PKT2_S9_PT3_21rocsparse_index_base_b,"axG",@progbits,_ZN9rocsparseL27csrmvn_symm_adaptive_kernelIli21rocsparse_complex_numIfES1_IdES3_S3_EEvbT_S4_PKS4_NS_24const_host_device_scalarIT4_EES6_PKT0_PKT1_PKT2_S9_PT3_21rocsparse_index_base_b,comdat
.Lfunc_end113:
	.size	_ZN9rocsparseL27csrmvn_symm_adaptive_kernelIli21rocsparse_complex_numIfES1_IdES3_S3_EEvbT_S4_PKS4_NS_24const_host_device_scalarIT4_EES6_PKT0_PKT1_PKT2_S9_PT3_21rocsparse_index_base_b, .Lfunc_end113-_ZN9rocsparseL27csrmvn_symm_adaptive_kernelIli21rocsparse_complex_numIfES1_IdES3_S3_EEvbT_S4_PKS4_NS_24const_host_device_scalarIT4_EES6_PKT0_PKT1_PKT2_S9_PT3_21rocsparse_index_base_b
                                        ; -- End function
	.set _ZN9rocsparseL27csrmvn_symm_adaptive_kernelIli21rocsparse_complex_numIfES1_IdES3_S3_EEvbT_S4_PKS4_NS_24const_host_device_scalarIT4_EES6_PKT0_PKT1_PKT2_S9_PT3_21rocsparse_index_base_b.num_vgpr, 35
	.set _ZN9rocsparseL27csrmvn_symm_adaptive_kernelIli21rocsparse_complex_numIfES1_IdES3_S3_EEvbT_S4_PKS4_NS_24const_host_device_scalarIT4_EES6_PKT0_PKT1_PKT2_S9_PT3_21rocsparse_index_base_b.num_agpr, 0
	.set _ZN9rocsparseL27csrmvn_symm_adaptive_kernelIli21rocsparse_complex_numIfES1_IdES3_S3_EEvbT_S4_PKS4_NS_24const_host_device_scalarIT4_EES6_PKT0_PKT1_PKT2_S9_PT3_21rocsparse_index_base_b.numbered_sgpr, 42
	.set _ZN9rocsparseL27csrmvn_symm_adaptive_kernelIli21rocsparse_complex_numIfES1_IdES3_S3_EEvbT_S4_PKS4_NS_24const_host_device_scalarIT4_EES6_PKT0_PKT1_PKT2_S9_PT3_21rocsparse_index_base_b.num_named_barrier, 0
	.set _ZN9rocsparseL27csrmvn_symm_adaptive_kernelIli21rocsparse_complex_numIfES1_IdES3_S3_EEvbT_S4_PKS4_NS_24const_host_device_scalarIT4_EES6_PKT0_PKT1_PKT2_S9_PT3_21rocsparse_index_base_b.private_seg_size, 0
	.set _ZN9rocsparseL27csrmvn_symm_adaptive_kernelIli21rocsparse_complex_numIfES1_IdES3_S3_EEvbT_S4_PKS4_NS_24const_host_device_scalarIT4_EES6_PKT0_PKT1_PKT2_S9_PT3_21rocsparse_index_base_b.uses_vcc, 1
	.set _ZN9rocsparseL27csrmvn_symm_adaptive_kernelIli21rocsparse_complex_numIfES1_IdES3_S3_EEvbT_S4_PKS4_NS_24const_host_device_scalarIT4_EES6_PKT0_PKT1_PKT2_S9_PT3_21rocsparse_index_base_b.uses_flat_scratch, 0
	.set _ZN9rocsparseL27csrmvn_symm_adaptive_kernelIli21rocsparse_complex_numIfES1_IdES3_S3_EEvbT_S4_PKS4_NS_24const_host_device_scalarIT4_EES6_PKT0_PKT1_PKT2_S9_PT3_21rocsparse_index_base_b.has_dyn_sized_stack, 0
	.set _ZN9rocsparseL27csrmvn_symm_adaptive_kernelIli21rocsparse_complex_numIfES1_IdES3_S3_EEvbT_S4_PKS4_NS_24const_host_device_scalarIT4_EES6_PKT0_PKT1_PKT2_S9_PT3_21rocsparse_index_base_b.has_recursion, 0
	.set _ZN9rocsparseL27csrmvn_symm_adaptive_kernelIli21rocsparse_complex_numIfES1_IdES3_S3_EEvbT_S4_PKS4_NS_24const_host_device_scalarIT4_EES6_PKT0_PKT1_PKT2_S9_PT3_21rocsparse_index_base_b.has_indirect_call, 0
	.section	.AMDGPU.csdata,"",@progbits
; Kernel info:
; codeLenInByte = 13072
; TotalNumSgprs: 44
; NumVgprs: 35
; ScratchSize: 0
; MemoryBound: 0
; FloatMode: 240
; IeeeMode: 1
; LDSByteSize: 16384 bytes/workgroup (compile time only)
; SGPRBlocks: 0
; VGPRBlocks: 4
; NumSGPRsForWavesPerEU: 44
; NumVGPRsForWavesPerEU: 35
; Occupancy: 16
; WaveLimiterHint : 1
; COMPUTE_PGM_RSRC2:SCRATCH_EN: 0
; COMPUTE_PGM_RSRC2:USER_SGPR: 2
; COMPUTE_PGM_RSRC2:TRAP_HANDLER: 0
; COMPUTE_PGM_RSRC2:TGID_X_EN: 1
; COMPUTE_PGM_RSRC2:TGID_Y_EN: 0
; COMPUTE_PGM_RSRC2:TGID_Z_EN: 0
; COMPUTE_PGM_RSRC2:TIDIG_COMP_CNT: 0
	.section	.text._ZL33csrmvn_symm_large_adaptive_kernelIli21rocsparse_complex_numIfES0_IdES2_S2_EvbT_PKS3_N9rocsparse24const_host_device_scalarIT4_EES5_PKT0_PKT1_PKT2_S9_PT3_21rocsparse_index_base_b,"axG",@progbits,_ZL33csrmvn_symm_large_adaptive_kernelIli21rocsparse_complex_numIfES0_IdES2_S2_EvbT_PKS3_N9rocsparse24const_host_device_scalarIT4_EES5_PKT0_PKT1_PKT2_S9_PT3_21rocsparse_index_base_b,comdat
	.globl	_ZL33csrmvn_symm_large_adaptive_kernelIli21rocsparse_complex_numIfES0_IdES2_S2_EvbT_PKS3_N9rocsparse24const_host_device_scalarIT4_EES5_PKT0_PKT1_PKT2_S9_PT3_21rocsparse_index_base_b ; -- Begin function _ZL33csrmvn_symm_large_adaptive_kernelIli21rocsparse_complex_numIfES0_IdES2_S2_EvbT_PKS3_N9rocsparse24const_host_device_scalarIT4_EES5_PKT0_PKT1_PKT2_S9_PT3_21rocsparse_index_base_b
	.p2align	8
	.type	_ZL33csrmvn_symm_large_adaptive_kernelIli21rocsparse_complex_numIfES0_IdES2_S2_EvbT_PKS3_N9rocsparse24const_host_device_scalarIT4_EES5_PKT0_PKT1_PKT2_S9_PT3_21rocsparse_index_base_b,@function
_ZL33csrmvn_symm_large_adaptive_kernelIli21rocsparse_complex_numIfES0_IdES2_S2_EvbT_PKS3_N9rocsparse24const_host_device_scalarIT4_EES5_PKT0_PKT1_PKT2_S9_PT3_21rocsparse_index_base_b: ; @_ZL33csrmvn_symm_large_adaptive_kernelIli21rocsparse_complex_numIfES0_IdES2_S2_EvbT_PKS3_N9rocsparse24const_host_device_scalarIT4_EES5_PKT0_PKT1_PKT2_S9_PT3_21rocsparse_index_base_b
; %bb.0:
	s_clause 0x1
	s_load_b64 s[6:7], s[0:1], 0x60
	s_load_b64 s[4:5], s[0:1], 0x18
	s_add_nc_u64 s[8:9], s[0:1], 24
	s_wait_kmcnt 0x0
	s_bitcmp1_b32 s7, 0
	s_cselect_b32 s3, -1, 0
	s_delay_alu instid0(SALU_CYCLE_1) | instskip(SKIP_2) | instid1(SALU_CYCLE_1)
	s_and_b32 s2, s3, exec_lo
	s_cselect_b32 s2, s8, s4
	s_cselect_b32 s4, s9, s5
	v_dual_mov_b32 v1, s2 :: v_dual_mov_b32 v2, s4
	flat_load_b128 v[1:4], v[1:2]
	s_wait_loadcnt_dscnt 0x0
	v_cmp_eq_f64_e32 vcc_lo, 0, v[1:2]
	v_cmp_eq_f64_e64 s2, 0, v[3:4]
	s_and_b32 s5, vcc_lo, s2
	s_mov_b32 s2, -1
	s_wait_alu 0xfffe
	s_and_saveexec_b32 s4, s5
	s_cbranch_execz .LBB114_2
; %bb.1:
	s_load_b64 s[8:9], s[0:1], 0x48
	s_add_nc_u64 s[10:11], s[0:1], 0x48
	s_and_b32 s2, s3, exec_lo
	s_wait_kmcnt 0x0
	s_cselect_b32 s2, s10, s8
	s_cselect_b32 s3, s11, s9
	s_wait_alu 0xfffe
	v_dual_mov_b32 v5, s2 :: v_dual_mov_b32 v6, s3
	flat_load_b128 v[5:8], v[5:6]
	s_wait_loadcnt_dscnt 0x0
	v_cmp_neq_f64_e32 vcc_lo, 1.0, v[5:6]
	v_cmp_neq_f64_e64 s2, 0, v[7:8]
	s_or_b32 s2, vcc_lo, s2
	s_wait_alu 0xfffe
	s_or_not1_b32 s2, s2, exec_lo
.LBB114_2:
	s_wait_alu 0xfffe
	s_or_b32 exec_lo, exec_lo, s4
	s_and_saveexec_b32 s3, s2
	s_cbranch_execz .LBB114_43
; %bb.3:
	s_clause 0x1
	s_load_b32 s3, s[0:1], 0x0
	s_load_b64 s[4:5], s[0:1], 0x10
	s_mov_b32 s24, 0
	s_mov_b32 s2, ttmp9
	s_mov_b32 s25, s24
	s_mov_b32 s26, s24
	;; [unrolled: 1-line block ×3, first 2 shown]
	s_delay_alu instid0(SALU_CYCLE_1)
	v_dual_mov_b32 v5, s24 :: v_dual_mov_b32 v8, s27
	v_dual_mov_b32 v6, s25 :: v_dual_lshlrev_b32 v15, 4, v0
	v_dual_mov_b32 v7, s26 :: v_dual_mov_b32 v18, 0
	ds_store_b128 v15, v[5:8]
	ds_store_b128 v15, v[5:8] offset:4096
	ds_store_b128 v15, v[5:8] offset:8192
	;; [unrolled: 1-line block ×3, first 2 shown]
	s_wait_dscnt 0x0
	s_barrier_signal -1
	s_barrier_wait -1
	s_wait_kmcnt 0x0
	s_bitcmp1_b32 s3, 0
	global_inv scope:SCOPE_SE
	s_cselect_b32 s28, -1, 0
	s_ashr_i32 s3, ttmp9, 31
	s_mov_b32 s7, s24
	s_wait_alu 0xfffe
	s_lshl_b64 s[2:3], s[2:3], 3
	s_wait_alu 0xfffe
	s_add_nc_u64 s[2:3], s[4:5], s[2:3]
	s_load_b128 s[16:19], s[2:3], 0x0
	s_clause 0x1
	s_load_b64 s[20:21], s[0:1], 0x58
	s_load_b256 s[8:15], s[0:1], 0x28
	v_sub_co_u32 v16, s1, v0, s6
	s_delay_alu instid0(VALU_DEP_1)
	v_sub_co_ci_u32_e64 v17, null, 0, 0, s1
	s_wait_kmcnt 0x0
	v_cmp_ge_i64_e64 s0, s[16:17], s[18:19]
	s_and_b32 vcc_lo, exec_lo, s0
	s_cbranch_vccnz .LBB114_31
; %bb.4:
	v_cmp_gt_u32_e64 s0, 64, v0
	v_cmp_gt_u32_e64 s1, 16, v0
	;; [unrolled: 1-line block ×3, first 2 shown]
	v_cmp_eq_u32_e64 s3, 0, v0
	s_add_nc_u64 s[22:23], s[12:13], 4
	s_mov_b64 s[24:25], s[16:17]
	s_branch .LBB114_6
.LBB114_5:                              ;   in Loop: Header=BB114_6 Depth=1
	s_wait_alu 0xfffe
	s_or_b32 exec_lo, exec_lo, s26
	s_add_nc_u64 s[24:25], s[24:25], 1
	s_wait_alu 0xfffe
	v_cmp_ge_i64_e64 s4, s[24:25], s[18:19]
	s_and_b32 vcc_lo, exec_lo, s4
	s_wait_alu 0xfffe
	s_cbranch_vccnz .LBB114_31
.LBB114_6:                              ; =>This Loop Header: Depth=1
                                        ;     Child Loop BB114_8 Depth 2
                                        ;     Child Loop BB114_20 Depth 2
	;; [unrolled: 1-line block ×5, first 2 shown]
	s_wait_alu 0xfffe
	s_lshl_b64 s[4:5], s[24:25], 3
	v_mov_b32_e32 v7, 0
	s_wait_alu 0xfffe
	s_add_nc_u64 s[4:5], s[8:9], s[4:5]
	v_dual_mov_b32 v8, 0 :: v_dual_mov_b32 v5, 0
	s_load_b128 s[36:39], s[4:5], 0x0
	v_mov_b32_e32 v6, 0
	s_mov_b32 s5, exec_lo
	s_wait_kmcnt 0x0
	v_add_co_u32 v9, vcc_lo, s36, v16
	s_wait_alu 0xfffd
	v_add_co_ci_u32_e64 v10, null, s37, v17, vcc_lo
	s_sub_nc_u64 s[26:27], s[38:39], s[6:7]
	s_wait_alu 0xfffe
	v_cmpx_gt_i64_e64 s[26:27], v[9:10]
	s_cbranch_execz .LBB114_10
; %bb.7:                                ;   in Loop: Header=BB114_6 Depth=1
	v_lshlrev_b64_e32 v[5:6], 2, v[9:10]
	v_lshlrev_b64_e32 v[13:14], 3, v[9:10]
	v_mov_b32_e32 v7, 0
	v_mov_b32_e32 v8, 0
	s_mov_b32 s29, 0
	s_delay_alu instid0(VALU_DEP_4)
	v_add_co_u32 v11, vcc_lo, s10, v5
	s_wait_alu 0xfffd
	v_add_co_ci_u32_e64 v12, null, s11, v6, vcc_lo
	v_add_co_u32 v13, vcc_lo, s22, v13
	s_wait_alu 0xfffd
	v_add_co_ci_u32_e64 v14, null, s23, v14, vcc_lo
	v_dual_mov_b32 v5, v7 :: v_dual_mov_b32 v6, v8
.LBB114_8:                              ;   Parent Loop BB114_6 Depth=1
                                        ; =>  This Inner Loop Header: Depth=2
	global_load_b32 v0, v[11:12], off
	global_load_b64 v[23:24], v[13:14], off offset:-4
	v_add_co_u32 v13, s4, 0x800, v13
	s_wait_alu 0xf1ff
	v_add_co_ci_u32_e64 v14, null, 0, v14, s4
	s_wait_loadcnt 0x1
	v_subrev_nc_u32_e32 v19, s6, v0
	s_wait_loadcnt 0x0
	v_cndmask_b32_e64 v0, v24, -v24, s28
	v_cvt_f64_f32_e32 v[23:24], v23
	s_delay_alu instid0(VALU_DEP_3) | instskip(NEXT) | instid1(VALU_DEP_3)
	v_ashrrev_i32_e32 v20, 31, v19
	v_cvt_f64_f32_e32 v[25:26], v0
	s_delay_alu instid0(VALU_DEP_2) | instskip(NEXT) | instid1(VALU_DEP_1)
	v_lshlrev_b64_e32 v[19:20], 4, v[19:20]
	v_add_co_u32 v19, vcc_lo, s14, v19
	s_wait_alu 0xfffd
	s_delay_alu instid0(VALU_DEP_2)
	v_add_co_ci_u32_e64 v20, null, s15, v20, vcc_lo
	v_add_co_u32 v9, vcc_lo, 0x100, v9
	s_wait_alu 0xfffd
	v_add_co_ci_u32_e64 v10, null, 0, v10, vcc_lo
	global_load_b128 v[19:22], v[19:20], off
	v_add_co_u32 v11, vcc_lo, 0x400, v11
	s_wait_alu 0xfffd
	v_add_co_ci_u32_e64 v12, null, 0, v12, vcc_lo
	v_cmp_le_i64_e32 vcc_lo, s[26:27], v[9:10]
	s_wait_alu 0xfffe
	s_or_b32 s29, vcc_lo, s29
	s_wait_loadcnt 0x0
	v_fma_f64 v[5:6], v[23:24], v[19:20], v[5:6]
	v_fma_f64 v[7:8], v[25:26], v[19:20], v[7:8]
	s_delay_alu instid0(VALU_DEP_2) | instskip(NEXT) | instid1(VALU_DEP_2)
	v_fma_f64 v[5:6], -v[25:26], v[21:22], v[5:6]
	v_fma_f64 v[7:8], v[23:24], v[21:22], v[7:8]
	s_wait_alu 0xfffe
	s_and_not1_b32 exec_lo, exec_lo, s29
	s_cbranch_execnz .LBB114_8
; %bb.9:                                ;   in Loop: Header=BB114_6 Depth=1
	s_or_b32 exec_lo, exec_lo, s29
.LBB114_10:                             ;   in Loop: Header=BB114_6 Depth=1
	s_delay_alu instid0(SALU_CYCLE_1)
	s_or_b32 exec_lo, exec_lo, s5
	ds_store_b128 v15, v[5:8]
	s_wait_loadcnt_dscnt 0x0
	s_barrier_signal -1
	s_barrier_wait -1
	global_inv scope:SCOPE_SE
	ds_load_b128 v[5:8], v15 offset:4096
	ds_load_b128 v[9:12], v15 offset:8192
	;; [unrolled: 1-line block ×3, first 2 shown]
	ds_load_b128 v[23:26], v15
	s_wait_dscnt 0x2
	v_add_f64_e32 v[5:6], v[9:10], v[5:6]
	v_add_f64_e32 v[7:8], v[11:12], v[7:8]
	s_wait_dscnt 0x1
	s_delay_alu instid0(VALU_DEP_2) | instskip(NEXT) | instid1(VALU_DEP_2)
	v_add_f64_e32 v[5:6], v[5:6], v[19:20]
	v_add_f64_e32 v[7:8], v[7:8], v[21:22]
	s_wait_dscnt 0x0
	s_delay_alu instid0(VALU_DEP_2) | instskip(NEXT) | instid1(VALU_DEP_2)
	v_add_f64_e32 v[5:6], v[5:6], v[23:24]
	v_add_f64_e32 v[7:8], v[7:8], v[25:26]
	ds_store_b128 v15, v[5:8]
	s_wait_loadcnt_dscnt 0x0
	s_barrier_signal -1
	s_barrier_wait -1
	global_inv scope:SCOPE_SE
	s_and_saveexec_b32 s4, s0
	s_cbranch_execz .LBB114_12
; %bb.11:                               ;   in Loop: Header=BB114_6 Depth=1
	ds_load_b128 v[5:8], v15 offset:1024
	ds_load_b128 v[9:12], v15 offset:2048
	ds_load_b128 v[19:22], v15 offset:3072
	ds_load_b128 v[23:26], v15
	s_wait_dscnt 0x2
	v_add_f64_e32 v[5:6], v[9:10], v[5:6]
	v_add_f64_e32 v[7:8], v[11:12], v[7:8]
	s_wait_dscnt 0x1
	s_delay_alu instid0(VALU_DEP_2) | instskip(NEXT) | instid1(VALU_DEP_2)
	v_add_f64_e32 v[5:6], v[5:6], v[19:20]
	v_add_f64_e32 v[7:8], v[7:8], v[21:22]
	s_wait_dscnt 0x0
	s_delay_alu instid0(VALU_DEP_2) | instskip(NEXT) | instid1(VALU_DEP_2)
	v_add_f64_e32 v[5:6], v[5:6], v[23:24]
	v_add_f64_e32 v[7:8], v[7:8], v[25:26]
	ds_store_b128 v15, v[5:8]
.LBB114_12:                             ;   in Loop: Header=BB114_6 Depth=1
	s_wait_alu 0xfffe
	s_or_b32 exec_lo, exec_lo, s4
	s_wait_loadcnt_dscnt 0x0
	s_barrier_signal -1
	s_barrier_wait -1
	global_inv scope:SCOPE_SE
	s_and_saveexec_b32 s4, s1
	s_cbranch_execz .LBB114_14
; %bb.13:                               ;   in Loop: Header=BB114_6 Depth=1
	ds_load_b128 v[5:8], v15 offset:256
	ds_load_b128 v[9:12], v15 offset:512
	ds_load_b128 v[19:22], v15 offset:768
	ds_load_b128 v[23:26], v15
	s_wait_dscnt 0x2
	v_add_f64_e32 v[5:6], v[9:10], v[5:6]
	v_add_f64_e32 v[7:8], v[11:12], v[7:8]
	s_wait_dscnt 0x1
	s_delay_alu instid0(VALU_DEP_2) | instskip(NEXT) | instid1(VALU_DEP_2)
	v_add_f64_e32 v[5:6], v[5:6], v[19:20]
	v_add_f64_e32 v[7:8], v[7:8], v[21:22]
	s_wait_dscnt 0x0
	s_delay_alu instid0(VALU_DEP_2) | instskip(NEXT) | instid1(VALU_DEP_2)
	v_add_f64_e32 v[5:6], v[5:6], v[23:24]
	v_add_f64_e32 v[7:8], v[7:8], v[25:26]
	ds_store_b128 v15, v[5:8]
.LBB114_14:                             ;   in Loop: Header=BB114_6 Depth=1
	s_wait_alu 0xfffe
	s_or_b32 exec_lo, exec_lo, s4
	;; [unrolled: 26-line block ×4, first 2 shown]
	s_wait_loadcnt_dscnt 0x0
	s_barrier_signal -1
	s_barrier_wait -1
	global_inv scope:SCOPE_SE
	s_and_saveexec_b32 s26, s3
	s_cbranch_execz .LBB114_5
; %bb.19:                               ;   in Loop: Header=BB114_6 Depth=1
	ds_load_b128 v[5:8], v18
	v_mov_b32_e32 v13, 0
	v_bfrev_b32_e32 v14, 1
	s_mov_b32 s4, exec_lo
	s_wait_dscnt 0x0
	v_mul_f64_e64 v[9:10], v[7:8], -v[3:4]
	s_delay_alu instid0(VALU_DEP_1)
	v_fma_f64 v[9:10], v[1:2], v[5:6], v[9:10]
.LBB114_20:                             ;   Parent Loop BB114_6 Depth=1
                                        ; =>  This Inner Loop Header: Depth=2
	s_wait_alu 0xfffe
	s_ctz_i32_b32 s5, s4
	s_wait_alu 0xfffe
	s_delay_alu instid0(VALU_DEP_1) | instskip(NEXT) | instid1(VALU_DEP_2)
	v_readlane_b32 s31, v10, s5
	v_readlane_b32 s30, v9, s5
	s_lshl_b32 s5, 1, s5
	s_wait_alu 0xfffe
	s_and_not1_b32 s4, s4, s5
	v_add_f64_e32 v[13:14], s[30:31], v[13:14]
	s_wait_alu 0xfffe
	s_cmp_lg_u32 s4, 0
	s_cbranch_scc1 .LBB114_20
; %bb.21:                               ;   in Loop: Header=BB114_6 Depth=1
	v_mbcnt_lo_u32_b32 v0, exec_lo, 0
	s_lshl_b64 s[4:5], s[24:25], 4
	s_mov_b32 s27, exec_lo
	s_wait_alu 0xfffe
	s_add_nc_u64 s[4:5], s[20:21], s[4:5]
	v_cmpx_eq_u32_e32 0, v0
	s_xor_b32 s27, exec_lo, s27
	s_cbranch_execz .LBB114_25
; %bb.22:                               ;   in Loop: Header=BB114_6 Depth=1
	global_load_b64 v[11:12], v18, s[4:5]
	s_mov_b32 s29, 0
.LBB114_23:                             ;   Parent Loop BB114_6 Depth=1
                                        ; =>  This Inner Loop Header: Depth=2
	s_wait_loadcnt 0x0
	v_add_f64_e32 v[9:10], v[11:12], v[13:14]
	global_atomic_cmpswap_b64 v[9:10], v18, v[9:12], s[4:5] th:TH_ATOMIC_RETURN scope:SCOPE_DEV
	s_wait_loadcnt 0x0
	v_cmp_eq_u64_e32 vcc_lo, v[9:10], v[11:12]
	v_dual_mov_b32 v12, v10 :: v_dual_mov_b32 v11, v9
	s_wait_alu 0xfffe
	s_or_b32 s29, vcc_lo, s29
	s_wait_alu 0xfffe
	s_and_not1_b32 exec_lo, exec_lo, s29
	s_cbranch_execnz .LBB114_23
; %bb.24:                               ;   in Loop: Header=BB114_6 Depth=1
	s_or_b32 exec_lo, exec_lo, s29
.LBB114_25:                             ;   in Loop: Header=BB114_6 Depth=1
	s_wait_alu 0xfffe
	s_or_b32 exec_lo, exec_lo, s27
	v_mul_f64_e32 v[7:8], v[1:2], v[7:8]
	v_mov_b32_e32 v9, 0
	v_bfrev_b32_e32 v10, 1
	s_mov_b32 s27, exec_lo
	s_delay_alu instid0(VALU_DEP_3)
	v_fma_f64 v[5:6], v[3:4], v[5:6], v[7:8]
.LBB114_26:                             ;   Parent Loop BB114_6 Depth=1
                                        ; =>  This Inner Loop Header: Depth=2
	s_wait_alu 0xfffe
	s_ctz_i32_b32 s29, s27
	s_wait_alu 0xfffe
	s_delay_alu instid0(VALU_DEP_1) | instskip(NEXT) | instid1(VALU_DEP_2)
	v_readlane_b32 s31, v6, s29
	v_readlane_b32 s30, v5, s29
	s_lshl_b32 s29, 1, s29
	s_wait_alu 0xfffe
	s_and_not1_b32 s27, s27, s29
	v_add_f64_e32 v[9:10], s[30:31], v[9:10]
	s_wait_alu 0xfffe
	s_cmp_lg_u32 s27, 0
	s_cbranch_scc1 .LBB114_26
; %bb.27:                               ;   in Loop: Header=BB114_6 Depth=1
	v_mbcnt_lo_u32_b32 v0, exec_lo, 0
	s_mov_b32 s27, exec_lo
	s_delay_alu instid0(VALU_DEP_1)
	v_cmpx_eq_u32_e32 0, v0
	s_wait_alu 0xfffe
	s_xor_b32 s27, exec_lo, s27
	s_cbranch_execz .LBB114_5
; %bb.28:                               ;   in Loop: Header=BB114_6 Depth=1
	global_load_b64 v[7:8], v18, s[4:5] offset:8
	s_mov_b32 s27, 0
.LBB114_29:                             ;   Parent Loop BB114_6 Depth=1
                                        ; =>  This Inner Loop Header: Depth=2
	s_wait_loadcnt 0x0
	v_add_f64_e32 v[5:6], v[7:8], v[9:10]
	global_atomic_cmpswap_b64 v[5:6], v18, v[5:8], s[4:5] offset:8 th:TH_ATOMIC_RETURN scope:SCOPE_DEV
	s_wait_loadcnt 0x0
	v_cmp_eq_u64_e32 vcc_lo, v[5:6], v[7:8]
	v_dual_mov_b32 v8, v6 :: v_dual_mov_b32 v7, v5
	s_wait_alu 0xfffe
	s_or_b32 s27, vcc_lo, s27
	s_wait_alu 0xfffe
	s_and_not1_b32 exec_lo, exec_lo, s27
	s_cbranch_execnz .LBB114_29
; %bb.30:                               ;   in Loop: Header=BB114_6 Depth=1
	s_or_b32 exec_lo, exec_lo, s27
	s_branch .LBB114_5
.LBB114_31:
	s_lshl_b64 s[0:1], s[16:17], 3
	s_lshl_b64 s[2:3], s[18:19], 3
	s_wait_alu 0xfffe
	s_add_nc_u64 s[0:1], s[8:9], s[0:1]
	s_add_nc_u64 s[2:3], s[8:9], s[2:3]
	s_clause 0x1
	s_load_b64 s[0:1], s[0:1], 0x0
	s_load_b64 s[2:3], s[2:3], 0x0
	s_wait_kmcnt 0x0
	v_add_co_u32 v13, vcc_lo, s0, v16
	s_wait_alu 0xfffd
	v_add_co_ci_u32_e64 v14, null, s1, v17, vcc_lo
	s_sub_nc_u64 s[2:3], s[2:3], s[6:7]
	s_wait_alu 0xfffe
	v_cmp_gt_i64_e32 vcc_lo, s[2:3], v[13:14]
	s_and_b32 exec_lo, exec_lo, vcc_lo
	s_cbranch_execz .LBB114_43
; %bb.32:
	s_add_nc_u64 s[4:5], s[18:19], -1
	s_add_nc_u64 s[0:1], s[18:19], -2
	s_wait_alu 0xfffe
	v_cmp_lt_i64_e64 s7, s[16:17], s[4:5]
	s_cmp_lg_u64 s[16:17], s[0:1]
	s_cselect_b32 s0, -1, 0
	s_wait_alu 0xfffe
	s_and_b32 s1, s7, s0
	s_mov_b32 s7, 0
	s_branch .LBB114_34
.LBB114_33:                             ;   in Loop: Header=BB114_34 Depth=1
	s_wait_alu 0xfffe
	s_or_b32 exec_lo, exec_lo, s0
	v_add_co_u32 v13, vcc_lo, 0x100, v13
	s_wait_alu 0xfffd
	v_add_co_ci_u32_e64 v14, null, 0, v14, vcc_lo
	s_delay_alu instid0(VALU_DEP_1)
	v_cmp_le_i64_e32 vcc_lo, s[2:3], v[13:14]
	s_or_b32 s7, vcc_lo, s7
	s_wait_alu 0xfffe
	s_and_not1_b32 exec_lo, exec_lo, s7
	s_cbranch_execz .LBB114_43
.LBB114_34:                             ; =>This Loop Header: Depth=1
                                        ;     Child Loop BB114_36 Depth 2
                                        ;     Child Loop BB114_40 Depth 2
	;; [unrolled: 1-line block ×3, first 2 shown]
	v_dual_mov_b32 v5, s16 :: v_dual_mov_b32 v6, s17
	v_dual_mov_b32 v8, s5 :: v_dual_mov_b32 v7, s4
	s_wait_alu 0xfffe
	s_and_not1_b32 vcc_lo, exec_lo, s1
	s_wait_alu 0xfffe
	s_cbranch_vccnz .LBB114_38
; %bb.35:                               ;   in Loop: Header=BB114_34 Depth=1
	v_dual_mov_b32 v5, s16 :: v_dual_mov_b32 v6, s17
	v_dual_mov_b32 v8, s5 :: v_dual_mov_b32 v7, s4
	s_mov_b32 s18, 0
.LBB114_36:                             ;   Parent Loop BB114_34 Depth=1
                                        ; =>  This Inner Loop Header: Depth=2
	s_delay_alu instid0(VALU_DEP_1) | instskip(SKIP_1) | instid1(VALU_DEP_2)
	v_add_co_u32 v0, vcc_lo, v7, v5
	s_wait_alu 0xfffd
	v_add_co_ci_u32_e64 v10, null, v8, v6, vcc_lo
	s_delay_alu instid0(VALU_DEP_1) | instskip(NEXT) | instid1(VALU_DEP_1)
	v_lshrrev_b32_e32 v9, 31, v10
	v_add_co_u32 v9, vcc_lo, v0, v9
	s_wait_alu 0xfffd
	v_add_co_ci_u32_e64 v10, null, 0, v10, vcc_lo
	s_delay_alu instid0(VALU_DEP_1) | instskip(NEXT) | instid1(VALU_DEP_1)
	v_ashrrev_i64 v[9:10], 1, v[9:10]
	v_lshlrev_b64_e32 v[11:12], 3, v[9:10]
	s_delay_alu instid0(VALU_DEP_1) | instskip(SKIP_1) | instid1(VALU_DEP_2)
	v_add_co_u32 v11, vcc_lo, s8, v11
	s_wait_alu 0xfffd
	v_add_co_ci_u32_e64 v12, null, s9, v12, vcc_lo
	global_load_b64 v[11:12], v[11:12], off
	s_wait_loadcnt 0x0
	v_sub_co_u32 v11, vcc_lo, v11, s6
	s_wait_alu 0xfffd
	v_subrev_co_ci_u32_e64 v12, null, 0, v12, vcc_lo
	s_delay_alu instid0(VALU_DEP_1) | instskip(SKIP_3) | instid1(VALU_DEP_2)
	v_cmp_lt_i64_e32 vcc_lo, v[13:14], v[11:12]
	s_wait_alu 0xfffd
	v_dual_cndmask_b32 v8, v8, v10 :: v_dual_cndmask_b32 v7, v7, v9
	v_dual_cndmask_b32 v6, v10, v6 :: v_dual_cndmask_b32 v5, v9, v5
	v_add_co_u32 v9, vcc_lo, v7, -1
	s_wait_alu 0xfffd
	s_delay_alu instid0(VALU_DEP_3) | instskip(NEXT) | instid1(VALU_DEP_3)
	v_add_co_ci_u32_e64 v10, null, -1, v8, vcc_lo
	v_cmp_ge_i64_e32 vcc_lo, v[5:6], v[7:8]
	s_delay_alu instid0(VALU_DEP_2)
	v_cmp_eq_u64_e64 s0, v[5:6], v[9:10]
	s_or_b32 s0, vcc_lo, s0
	s_wait_alu 0xfffe
	s_and_b32 s0, exec_lo, s0
	s_wait_alu 0xfffe
	s_or_b32 s18, s0, s18
	s_wait_alu 0xfffe
	s_and_not1_b32 exec_lo, exec_lo, s18
	s_cbranch_execnz .LBB114_36
; %bb.37:                               ;   in Loop: Header=BB114_34 Depth=1
	s_or_b32 exec_lo, exec_lo, s18
.LBB114_38:                             ;   in Loop: Header=BB114_34 Depth=1
	v_lshlrev_b64_e32 v[9:10], 3, v[7:8]
	v_lshlrev_b64_e32 v[11:12], 2, v[13:14]
	s_mov_b32 s0, exec_lo
	s_delay_alu instid0(VALU_DEP_2) | instskip(SKIP_1) | instid1(VALU_DEP_3)
	v_add_co_u32 v9, vcc_lo, s8, v9
	s_wait_alu 0xfffd
	v_add_co_ci_u32_e64 v10, null, s9, v10, vcc_lo
	s_delay_alu instid0(VALU_DEP_3)
	v_add_co_u32 v11, vcc_lo, s10, v11
	s_wait_alu 0xfffd
	v_add_co_ci_u32_e64 v12, null, s11, v12, vcc_lo
	global_load_b64 v[9:10], v[9:10], off
	global_load_b32 v0, v[11:12], off
	s_wait_loadcnt 0x1
	v_sub_co_u32 v9, vcc_lo, v9, s6
	s_wait_alu 0xfffd
	v_subrev_co_ci_u32_e64 v10, null, 0, v10, vcc_lo
	s_delay_alu instid0(VALU_DEP_1) | instskip(SKIP_2) | instid1(VALU_DEP_1)
	v_cmp_lt_i64_e32 vcc_lo, v[13:14], v[9:10]
	s_wait_loadcnt 0x0
	v_subrev_nc_u32_e32 v9, s6, v0
	v_ashrrev_i32_e32 v10, 31, v9
	s_wait_alu 0xfffd
	v_dual_cndmask_b32 v6, v8, v6 :: v_dual_cndmask_b32 v5, v7, v5
	s_delay_alu instid0(VALU_DEP_1)
	v_cmpx_ne_u64_e64 v[5:6], v[9:10]
	s_cbranch_execz .LBB114_33
; %bb.39:                               ;   in Loop: Header=BB114_34 Depth=1
	v_lshlrev_b64_e32 v[7:8], 3, v[13:14]
	v_lshlrev_b64_e32 v[5:6], 4, v[5:6]
	;; [unrolled: 1-line block ×3, first 2 shown]
	s_mov_b32 s18, 0
	s_delay_alu instid0(VALU_DEP_3)
	v_add_co_u32 v7, vcc_lo, s12, v7
	s_wait_alu 0xfffd
	v_add_co_ci_u32_e64 v8, null, s13, v8, vcc_lo
	v_add_co_u32 v5, vcc_lo, s14, v5
	s_wait_alu 0xfffd
	v_add_co_ci_u32_e64 v6, null, s15, v6, vcc_lo
	global_load_b64 v[17:18], v[7:8], off
	v_add_co_u32 v15, vcc_lo, s20, v9
	global_load_b128 v[5:8], v[5:6], off
	s_wait_alu 0xfffd
	v_add_co_ci_u32_e64 v16, null, s21, v10, vcc_lo
	global_load_b64 v[11:12], v[15:16], off
	s_wait_loadcnt 0x2
	v_cndmask_b32_e64 v0, v18, -v18, s28
	v_cvt_f64_f32_e32 v[19:20], v17
	s_delay_alu instid0(VALU_DEP_2) | instskip(NEXT) | instid1(VALU_DEP_1)
	v_cvt_f64_f32_e32 v[9:10], v0
	v_mul_f64_e32 v[17:18], v[1:2], v[9:10]
	v_mul_f64_e64 v[9:10], -v[3:4], v[9:10]
	s_delay_alu instid0(VALU_DEP_2) | instskip(NEXT) | instid1(VALU_DEP_2)
	v_fma_f64 v[17:18], v[3:4], v[19:20], v[17:18]
	v_fma_f64 v[19:20], v[1:2], v[19:20], v[9:10]
	s_wait_loadcnt 0x1
	s_delay_alu instid0(VALU_DEP_2) | instskip(NEXT) | instid1(VALU_DEP_1)
	v_mul_f64_e64 v[9:10], v[7:8], -v[17:18]
	v_fma_f64 v[21:22], v[19:20], v[5:6], v[9:10]
.LBB114_40:                             ;   Parent Loop BB114_34 Depth=1
                                        ; =>  This Inner Loop Header: Depth=2
	s_wait_loadcnt 0x0
	s_delay_alu instid0(VALU_DEP_1)
	v_add_f64_e32 v[9:10], v[11:12], v[21:22]
	global_atomic_cmpswap_b64 v[9:10], v[15:16], v[9:12], off th:TH_ATOMIC_RETURN scope:SCOPE_DEV
	s_wait_loadcnt 0x0
	v_cmp_eq_u64_e32 vcc_lo, v[9:10], v[11:12]
	v_dual_mov_b32 v12, v10 :: v_dual_mov_b32 v11, v9
	s_wait_alu 0xfffe
	s_or_b32 s18, vcc_lo, s18
	s_wait_alu 0xfffe
	s_and_not1_b32 exec_lo, exec_lo, s18
	s_cbranch_execnz .LBB114_40
; %bb.41:                               ;   in Loop: Header=BB114_34 Depth=1
	s_or_b32 exec_lo, exec_lo, s18
	global_load_b64 v[9:10], v[15:16], off offset:8
	v_mul_f64_e32 v[7:8], v[7:8], v[19:20]
	s_mov_b32 s18, 0
	s_delay_alu instid0(VALU_DEP_1)
	v_fma_f64 v[5:6], v[17:18], v[5:6], v[7:8]
.LBB114_42:                             ;   Parent Loop BB114_34 Depth=1
                                        ; =>  This Inner Loop Header: Depth=2
	s_wait_loadcnt 0x0
	s_delay_alu instid0(VALU_DEP_1)
	v_add_f64_e32 v[7:8], v[9:10], v[5:6]
	global_atomic_cmpswap_b64 v[7:8], v[15:16], v[7:10], off offset:8 th:TH_ATOMIC_RETURN scope:SCOPE_DEV
	s_wait_loadcnt 0x0
	v_cmp_eq_u64_e32 vcc_lo, v[7:8], v[9:10]
	v_dual_mov_b32 v10, v8 :: v_dual_mov_b32 v9, v7
	s_wait_alu 0xfffe
	s_or_b32 s18, vcc_lo, s18
	s_wait_alu 0xfffe
	s_and_not1_b32 exec_lo, exec_lo, s18
	s_cbranch_execnz .LBB114_42
	s_branch .LBB114_33
.LBB114_43:
	s_endpgm
	.section	.rodata,"a",@progbits
	.p2align	6, 0x0
	.amdhsa_kernel _ZL33csrmvn_symm_large_adaptive_kernelIli21rocsparse_complex_numIfES0_IdES2_S2_EvbT_PKS3_N9rocsparse24const_host_device_scalarIT4_EES5_PKT0_PKT1_PKT2_S9_PT3_21rocsparse_index_base_b
		.amdhsa_group_segment_fixed_size 16384
		.amdhsa_private_segment_fixed_size 0
		.amdhsa_kernarg_size 104
		.amdhsa_user_sgpr_count 2
		.amdhsa_user_sgpr_dispatch_ptr 0
		.amdhsa_user_sgpr_queue_ptr 0
		.amdhsa_user_sgpr_kernarg_segment_ptr 1
		.amdhsa_user_sgpr_dispatch_id 0
		.amdhsa_user_sgpr_private_segment_size 0
		.amdhsa_wavefront_size32 1
		.amdhsa_uses_dynamic_stack 0
		.amdhsa_enable_private_segment 0
		.amdhsa_system_sgpr_workgroup_id_x 1
		.amdhsa_system_sgpr_workgroup_id_y 0
		.amdhsa_system_sgpr_workgroup_id_z 0
		.amdhsa_system_sgpr_workgroup_info 0
		.amdhsa_system_vgpr_workitem_id 0
		.amdhsa_next_free_vgpr 27
		.amdhsa_next_free_sgpr 40
		.amdhsa_reserve_vcc 1
		.amdhsa_float_round_mode_32 0
		.amdhsa_float_round_mode_16_64 0
		.amdhsa_float_denorm_mode_32 3
		.amdhsa_float_denorm_mode_16_64 3
		.amdhsa_fp16_overflow 0
		.amdhsa_workgroup_processor_mode 1
		.amdhsa_memory_ordered 1
		.amdhsa_forward_progress 1
		.amdhsa_inst_pref_size 24
		.amdhsa_round_robin_scheduling 0
		.amdhsa_exception_fp_ieee_invalid_op 0
		.amdhsa_exception_fp_denorm_src 0
		.amdhsa_exception_fp_ieee_div_zero 0
		.amdhsa_exception_fp_ieee_overflow 0
		.amdhsa_exception_fp_ieee_underflow 0
		.amdhsa_exception_fp_ieee_inexact 0
		.amdhsa_exception_int_div_zero 0
	.end_amdhsa_kernel
	.section	.text._ZL33csrmvn_symm_large_adaptive_kernelIli21rocsparse_complex_numIfES0_IdES2_S2_EvbT_PKS3_N9rocsparse24const_host_device_scalarIT4_EES5_PKT0_PKT1_PKT2_S9_PT3_21rocsparse_index_base_b,"axG",@progbits,_ZL33csrmvn_symm_large_adaptive_kernelIli21rocsparse_complex_numIfES0_IdES2_S2_EvbT_PKS3_N9rocsparse24const_host_device_scalarIT4_EES5_PKT0_PKT1_PKT2_S9_PT3_21rocsparse_index_base_b,comdat
.Lfunc_end114:
	.size	_ZL33csrmvn_symm_large_adaptive_kernelIli21rocsparse_complex_numIfES0_IdES2_S2_EvbT_PKS3_N9rocsparse24const_host_device_scalarIT4_EES5_PKT0_PKT1_PKT2_S9_PT3_21rocsparse_index_base_b, .Lfunc_end114-_ZL33csrmvn_symm_large_adaptive_kernelIli21rocsparse_complex_numIfES0_IdES2_S2_EvbT_PKS3_N9rocsparse24const_host_device_scalarIT4_EES5_PKT0_PKT1_PKT2_S9_PT3_21rocsparse_index_base_b
                                        ; -- End function
	.set _ZL33csrmvn_symm_large_adaptive_kernelIli21rocsparse_complex_numIfES0_IdES2_S2_EvbT_PKS3_N9rocsparse24const_host_device_scalarIT4_EES5_PKT0_PKT1_PKT2_S9_PT3_21rocsparse_index_base_b.num_vgpr, 27
	.set _ZL33csrmvn_symm_large_adaptive_kernelIli21rocsparse_complex_numIfES0_IdES2_S2_EvbT_PKS3_N9rocsparse24const_host_device_scalarIT4_EES5_PKT0_PKT1_PKT2_S9_PT3_21rocsparse_index_base_b.num_agpr, 0
	.set _ZL33csrmvn_symm_large_adaptive_kernelIli21rocsparse_complex_numIfES0_IdES2_S2_EvbT_PKS3_N9rocsparse24const_host_device_scalarIT4_EES5_PKT0_PKT1_PKT2_S9_PT3_21rocsparse_index_base_b.numbered_sgpr, 40
	.set _ZL33csrmvn_symm_large_adaptive_kernelIli21rocsparse_complex_numIfES0_IdES2_S2_EvbT_PKS3_N9rocsparse24const_host_device_scalarIT4_EES5_PKT0_PKT1_PKT2_S9_PT3_21rocsparse_index_base_b.num_named_barrier, 0
	.set _ZL33csrmvn_symm_large_adaptive_kernelIli21rocsparse_complex_numIfES0_IdES2_S2_EvbT_PKS3_N9rocsparse24const_host_device_scalarIT4_EES5_PKT0_PKT1_PKT2_S9_PT3_21rocsparse_index_base_b.private_seg_size, 0
	.set _ZL33csrmvn_symm_large_adaptive_kernelIli21rocsparse_complex_numIfES0_IdES2_S2_EvbT_PKS3_N9rocsparse24const_host_device_scalarIT4_EES5_PKT0_PKT1_PKT2_S9_PT3_21rocsparse_index_base_b.uses_vcc, 1
	.set _ZL33csrmvn_symm_large_adaptive_kernelIli21rocsparse_complex_numIfES0_IdES2_S2_EvbT_PKS3_N9rocsparse24const_host_device_scalarIT4_EES5_PKT0_PKT1_PKT2_S9_PT3_21rocsparse_index_base_b.uses_flat_scratch, 0
	.set _ZL33csrmvn_symm_large_adaptive_kernelIli21rocsparse_complex_numIfES0_IdES2_S2_EvbT_PKS3_N9rocsparse24const_host_device_scalarIT4_EES5_PKT0_PKT1_PKT2_S9_PT3_21rocsparse_index_base_b.has_dyn_sized_stack, 0
	.set _ZL33csrmvn_symm_large_adaptive_kernelIli21rocsparse_complex_numIfES0_IdES2_S2_EvbT_PKS3_N9rocsparse24const_host_device_scalarIT4_EES5_PKT0_PKT1_PKT2_S9_PT3_21rocsparse_index_base_b.has_recursion, 0
	.set _ZL33csrmvn_symm_large_adaptive_kernelIli21rocsparse_complex_numIfES0_IdES2_S2_EvbT_PKS3_N9rocsparse24const_host_device_scalarIT4_EES5_PKT0_PKT1_PKT2_S9_PT3_21rocsparse_index_base_b.has_indirect_call, 0
	.section	.AMDGPU.csdata,"",@progbits
; Kernel info:
; codeLenInByte = 2980
; TotalNumSgprs: 42
; NumVgprs: 27
; ScratchSize: 0
; MemoryBound: 0
; FloatMode: 240
; IeeeMode: 1
; LDSByteSize: 16384 bytes/workgroup (compile time only)
; SGPRBlocks: 0
; VGPRBlocks: 3
; NumSGPRsForWavesPerEU: 42
; NumVGPRsForWavesPerEU: 27
; Occupancy: 16
; WaveLimiterHint : 1
; COMPUTE_PGM_RSRC2:SCRATCH_EN: 0
; COMPUTE_PGM_RSRC2:USER_SGPR: 2
; COMPUTE_PGM_RSRC2:TRAP_HANDLER: 0
; COMPUTE_PGM_RSRC2:TGID_X_EN: 1
; COMPUTE_PGM_RSRC2:TGID_Y_EN: 0
; COMPUTE_PGM_RSRC2:TGID_Z_EN: 0
; COMPUTE_PGM_RSRC2:TIDIG_COMP_CNT: 0
	.section	.text._ZN9rocsparseL22csrmvn_adaptive_kernelIll21rocsparse_complex_numIfES1_IdES3_S3_EEvbT_PKS4_PjPKT0_NS_24const_host_device_scalarIT4_EES6_SA_PKT1_PKT2_SD_PT3_21rocsparse_index_base_b,"axG",@progbits,_ZN9rocsparseL22csrmvn_adaptive_kernelIll21rocsparse_complex_numIfES1_IdES3_S3_EEvbT_PKS4_PjPKT0_NS_24const_host_device_scalarIT4_EES6_SA_PKT1_PKT2_SD_PT3_21rocsparse_index_base_b,comdat
	.globl	_ZN9rocsparseL22csrmvn_adaptive_kernelIll21rocsparse_complex_numIfES1_IdES3_S3_EEvbT_PKS4_PjPKT0_NS_24const_host_device_scalarIT4_EES6_SA_PKT1_PKT2_SD_PT3_21rocsparse_index_base_b ; -- Begin function _ZN9rocsparseL22csrmvn_adaptive_kernelIll21rocsparse_complex_numIfES1_IdES3_S3_EEvbT_PKS4_PjPKT0_NS_24const_host_device_scalarIT4_EES6_SA_PKT1_PKT2_SD_PT3_21rocsparse_index_base_b
	.p2align	8
	.type	_ZN9rocsparseL22csrmvn_adaptive_kernelIll21rocsparse_complex_numIfES1_IdES3_S3_EEvbT_PKS4_PjPKT0_NS_24const_host_device_scalarIT4_EES6_SA_PKT1_PKT2_SD_PT3_21rocsparse_index_base_b,@function
_ZN9rocsparseL22csrmvn_adaptive_kernelIll21rocsparse_complex_numIfES1_IdES3_S3_EEvbT_PKS4_PjPKT0_NS_24const_host_device_scalarIT4_EES6_SA_PKT1_PKT2_SD_PT3_21rocsparse_index_base_b: ; @_ZN9rocsparseL22csrmvn_adaptive_kernelIll21rocsparse_complex_numIfES1_IdES3_S3_EEvbT_PKS4_PjPKT0_NS_24const_host_device_scalarIT4_EES6_SA_PKT1_PKT2_SD_PT3_21rocsparse_index_base_b
; %bb.0:
	s_clause 0x1
	s_load_b64 s[34:35], s[0:1], 0x70
	s_load_b64 s[2:3], s[0:1], 0x28
	s_add_nc_u64 s[4:5], s[0:1], 40
	s_load_b64 s[6:7], s[0:1], 0x58
	s_wait_kmcnt 0x0
	s_bitcmp1_b32 s35, 0
	s_cselect_b32 s2, s4, s2
	s_cselect_b32 s3, s5, s3
	s_delay_alu instid0(SALU_CYCLE_1)
	v_dual_mov_b32 v1, s2 :: v_dual_mov_b32 v2, s3
	s_add_nc_u64 s[2:3], s[0:1], 0x58
	s_wait_alu 0xfffe
	s_cselect_b32 s2, s2, s6
	s_cselect_b32 s3, s3, s7
	flat_load_b128 v[5:8], v[1:2]
	s_wait_alu 0xfffe
	v_dual_mov_b32 v1, s2 :: v_dual_mov_b32 v2, s3
	flat_load_b128 v[1:4], v[1:2]
	s_wait_loadcnt_dscnt 0x101
	v_cmp_eq_f64_e32 vcc_lo, 0, v[5:6]
	v_cmp_eq_f64_e64 s2, 0, v[7:8]
	s_and_b32 s4, vcc_lo, s2
	s_mov_b32 s2, -1
	s_and_saveexec_b32 s3, s4
	s_cbranch_execz .LBB115_2
; %bb.1:
	s_wait_loadcnt_dscnt 0x0
	v_cmp_neq_f64_e32 vcc_lo, 1.0, v[1:2]
	v_cmp_neq_f64_e64 s2, 0, v[3:4]
	s_wait_alu 0xfffe
	s_or_b32 s2, vcc_lo, s2
	s_wait_alu 0xfffe
	s_or_not1_b32 s2, s2, exec_lo
.LBB115_2:
	s_wait_alu 0xfffe
	s_or_b32 exec_lo, exec_lo, s3
	s_and_saveexec_b32 s3, s2
	s_cbranch_execz .LBB115_116
; %bb.3:
	s_clause 0x2
	s_load_b64 s[2:3], s[0:1], 0x20
	s_load_b32 s6, s[0:1], 0x0
	s_load_b64 s[4:5], s[0:1], 0x10
	s_mov_b32 s36, ttmp9
	s_wait_kmcnt 0x0
	s_bitcmp1_b32 s6, 0
	s_cselect_b32 s33, -1, 0
	s_ashr_i32 s37, ttmp9, 31
	s_delay_alu instid0(SALU_CYCLE_1) | instskip(NEXT) | instid1(SALU_CYCLE_1)
	s_lshl_b64 s[6:7], s[36:37], 3
	s_add_nc_u64 s[4:5], s[4:5], s[6:7]
	s_load_b128 s[20:23], s[4:5], 0x0
	s_clause 0x1
	s_load_b256 s[12:19], s[0:1], 0x38
	s_load_b64 s[24:25], s[0:1], 0x68
	s_add_nc_u64 s[2:3], s[2:3], s[6:7]
	s_wait_kmcnt 0x0
	s_lshl_b64 s[4:5], s[20:21], 3
	s_delay_alu instid0(SALU_CYCLE_1)
	s_add_nc_u64 s[30:31], s[12:13], s[4:5]
	s_load_b64 s[26:27], s[2:3], 0x0
	s_load_b64 s[28:29], s[30:31], 0x0
	s_sub_nc_u64 s[2:3], s[22:23], s[20:21]
	s_wait_alu 0xfffe
	v_cmp_lt_i64_e64 s4, s[2:3], 2
	s_and_b32 vcc_lo, exec_lo, s4
	s_mov_b32 s4, -1
	s_cbranch_vccz .LBB115_72
; %bb.4:
	s_cmp_lg_u64 s[2:3], 1
	v_cmp_gt_u32_e64 s2, 0x80, v0
	s_cselect_b32 s4, -1, 0
	s_wait_kmcnt 0x0
	s_cmp_lg_u64 s[26:27], 0
	v_cmp_gt_u32_e64 s3, 64, v0
	s_cselect_b32 s5, -1, 0
	v_cmp_gt_u32_e64 s6, 8, v0
	s_or_b32 s5, s4, s5
	v_cmp_gt_u32_e64 s4, 32, v0
	s_and_b32 vcc_lo, exec_lo, s5
	v_cmp_gt_u32_e64 s5, 16, v0
	v_cmp_gt_u32_e64 s7, 4, v0
	v_cmp_gt_u32_e64 s8, 2, v0
	v_cmp_eq_u32_e64 s9, 0, v0
	s_mov_b32 s10, -1
	s_cbranch_vccnz .LBB115_32
; %bb.5:
	s_wait_loadcnt_dscnt 0x0
	v_cmp_neq_f64_e32 vcc_lo, 0, v[1:2]
	v_cmp_neq_f64_e64 s10, 0, v[3:4]
	v_sub_co_u32 v20, s11, v0, s34
	v_dual_mov_b32 v19, 0 :: v_dual_lshlrev_b32 v22, 4, v0
	v_sub_co_ci_u32_e64 v21, null, 0, 0, s11
	s_mov_b32 s35, 0
	s_add_nc_u64 s[38:39], s[16:17], 4
	s_mov_b64 s[40:41], s[20:21]
	s_or_b32 s11, vcc_lo, s10
	s_branch .LBB115_8
.LBB115_6:                              ;   in Loop: Header=BB115_8 Depth=1
	s_wait_alu 0xfffe
	s_or_b32 exec_lo, exec_lo, s42
	s_lshl_b64 s[42:43], s[40:41], 4
	s_wait_alu 0xfffe
	s_add_nc_u64 s[42:43], s[24:25], s[42:43]
	s_wait_dscnt 0x0
	global_store_b128 v19, v[9:12], s[42:43]
.LBB115_7:                              ;   in Loop: Header=BB115_8 Depth=1
	s_wait_alu 0xfffe
	s_or_b32 exec_lo, exec_lo, s10
	s_add_nc_u64 s[40:41], s[40:41], 1
	s_wait_alu 0xfffe
	v_cmp_ge_i64_e64 s10, s[40:41], s[22:23]
	s_and_b32 vcc_lo, exec_lo, s10
	s_wait_alu 0xfffe
	s_cbranch_vccnz .LBB115_31
.LBB115_8:                              ; =>This Loop Header: Depth=1
                                        ;     Child Loop BB115_10 Depth 2
	s_lshl_b64 s[42:43], s[40:41], 3
	v_mov_b32_e32 v11, 0
	s_wait_alu 0xfffe
	s_add_nc_u64 s[42:43], s[12:13], s[42:43]
	v_dual_mov_b32 v12, 0 :: v_dual_mov_b32 v9, 0
	s_load_b128 s[44:47], s[42:43], 0x0
	v_mov_b32_e32 v10, 0
	s_wait_kmcnt 0x0
	v_add_co_u32 v13, vcc_lo, s44, v20
	s_wait_alu 0xfffd
	v_add_co_ci_u32_e64 v14, null, s45, v21, vcc_lo
	s_sub_nc_u64 s[42:43], s[46:47], s[34:35]
	s_mov_b32 s44, exec_lo
	s_wait_alu 0xfffe
	v_cmpx_gt_i64_e64 s[42:43], v[13:14]
	s_cbranch_execz .LBB115_12
; %bb.9:                                ;   in Loop: Header=BB115_8 Depth=1
	v_lshlrev_b64_e32 v[9:10], 3, v[13:14]
	v_mov_b32_e32 v11, 0
	v_mov_b32_e32 v12, 0
	s_mov_b32 s45, 0
	s_delay_alu instid0(VALU_DEP_3)
	v_add_co_u32 v15, vcc_lo, s38, v9
	s_wait_alu 0xfffd
	v_add_co_ci_u32_e64 v16, null, s39, v10, vcc_lo
	v_add_co_u32 v17, vcc_lo, s14, v9
	s_wait_alu 0xfffd
	v_add_co_ci_u32_e64 v18, null, s15, v10, vcc_lo
	v_dual_mov_b32 v9, v11 :: v_dual_mov_b32 v10, v12
.LBB115_10:                             ;   Parent Loop BB115_8 Depth=1
                                        ; =>  This Inner Loop Header: Depth=2
	global_load_b64 v[23:24], v[17:18], off
	global_load_b64 v[27:28], v[15:16], off offset:-4
	v_add_co_u32 v17, s10, 0x800, v17
	s_wait_alu 0xf1ff
	v_add_co_ci_u32_e64 v18, null, 0, v18, s10
	s_wait_loadcnt 0x1
	v_sub_co_u32 v23, vcc_lo, v23, s34
	s_wait_alu 0xfffd
	v_subrev_co_ci_u32_e64 v24, null, 0, v24, vcc_lo
	s_wait_loadcnt 0x0
	v_cndmask_b32_e64 v28, v28, -v28, s33
	v_cvt_f64_f32_e32 v[30:31], v27
	s_delay_alu instid0(VALU_DEP_3) | instskip(NEXT) | instid1(VALU_DEP_3)
	v_lshlrev_b64_e32 v[23:24], 4, v[23:24]
	v_cvt_f64_f32_e32 v[28:29], v28
	s_delay_alu instid0(VALU_DEP_2) | instskip(SKIP_1) | instid1(VALU_DEP_3)
	v_add_co_u32 v23, vcc_lo, s18, v23
	s_wait_alu 0xfffd
	v_add_co_ci_u32_e64 v24, null, s19, v24, vcc_lo
	v_add_co_u32 v13, vcc_lo, 0x100, v13
	s_wait_alu 0xfffd
	v_add_co_ci_u32_e64 v14, null, 0, v14, vcc_lo
	global_load_b128 v[23:26], v[23:24], off
	v_add_co_u32 v15, vcc_lo, 0x800, v15
	s_wait_alu 0xfffd
	v_add_co_ci_u32_e64 v16, null, 0, v16, vcc_lo
	v_cmp_le_i64_e32 vcc_lo, s[42:43], v[13:14]
	s_wait_alu 0xfffe
	s_or_b32 s45, vcc_lo, s45
	v_mul_f64_e64 v[32:33], -v[7:8], v[28:29]
	v_mul_f64_e32 v[27:28], v[5:6], v[28:29]
	s_delay_alu instid0(VALU_DEP_2) | instskip(NEXT) | instid1(VALU_DEP_2)
	v_fma_f64 v[32:33], v[5:6], v[30:31], v[32:33]
	v_fma_f64 v[27:28], v[7:8], v[30:31], v[27:28]
	s_wait_loadcnt 0x0
	s_delay_alu instid0(VALU_DEP_2) | instskip(NEXT) | instid1(VALU_DEP_2)
	v_fma_f64 v[9:10], v[32:33], v[23:24], v[9:10]
	v_fma_f64 v[11:12], v[27:28], v[23:24], v[11:12]
	s_delay_alu instid0(VALU_DEP_2) | instskip(NEXT) | instid1(VALU_DEP_2)
	v_fma_f64 v[9:10], -v[27:28], v[25:26], v[9:10]
	v_fma_f64 v[11:12], v[32:33], v[25:26], v[11:12]
	s_wait_alu 0xfffe
	s_and_not1_b32 exec_lo, exec_lo, s45
	s_cbranch_execnz .LBB115_10
; %bb.11:                               ;   in Loop: Header=BB115_8 Depth=1
	s_or_b32 exec_lo, exec_lo, s45
.LBB115_12:                             ;   in Loop: Header=BB115_8 Depth=1
	s_wait_alu 0xfffe
	s_or_b32 exec_lo, exec_lo, s44
	ds_store_b128 v22, v[9:12]
	s_wait_dscnt 0x0
	s_barrier_signal -1
	s_barrier_wait -1
	global_inv scope:SCOPE_SE
	s_and_saveexec_b32 s10, s2
	s_cbranch_execz .LBB115_14
; %bb.13:                               ;   in Loop: Header=BB115_8 Depth=1
	ds_load_b128 v[9:12], v22 offset:2048
	ds_load_b128 v[13:16], v22
	s_wait_dscnt 0x0
	v_add_f64_e32 v[9:10], v[9:10], v[13:14]
	v_add_f64_e32 v[11:12], v[11:12], v[15:16]
	ds_store_b128 v22, v[9:12]
.LBB115_14:                             ;   in Loop: Header=BB115_8 Depth=1
	s_wait_alu 0xfffe
	s_or_b32 exec_lo, exec_lo, s10
	s_wait_loadcnt_dscnt 0x0
	s_barrier_signal -1
	s_barrier_wait -1
	global_inv scope:SCOPE_SE
	s_and_saveexec_b32 s10, s3
	s_cbranch_execz .LBB115_16
; %bb.15:                               ;   in Loop: Header=BB115_8 Depth=1
	ds_load_b128 v[9:12], v22 offset:1024
	ds_load_b128 v[13:16], v22
	s_wait_dscnt 0x0
	v_add_f64_e32 v[9:10], v[9:10], v[13:14]
	v_add_f64_e32 v[11:12], v[11:12], v[15:16]
	ds_store_b128 v22, v[9:12]
.LBB115_16:                             ;   in Loop: Header=BB115_8 Depth=1
	s_wait_alu 0xfffe
	s_or_b32 exec_lo, exec_lo, s10
	s_wait_loadcnt_dscnt 0x0
	;; [unrolled: 16-line block ×6, first 2 shown]
	s_barrier_signal -1
	s_barrier_wait -1
	global_inv scope:SCOPE_SE
	s_and_saveexec_b32 s10, s8
	s_cbranch_execz .LBB115_26
; %bb.25:                               ;   in Loop: Header=BB115_8 Depth=1
	ds_load_b128 v[9:12], v22
	ds_load_b128 v[13:16], v22 offset:32
	s_wait_dscnt 0x0
	v_add_f64_e32 v[9:10], v[13:14], v[9:10]
	v_add_f64_e32 v[11:12], v[15:16], v[11:12]
	ds_store_b128 v22, v[9:12]
.LBB115_26:                             ;   in Loop: Header=BB115_8 Depth=1
	s_wait_alu 0xfffe
	s_or_b32 exec_lo, exec_lo, s10
	s_wait_loadcnt_dscnt 0x0
	s_barrier_signal -1
	s_barrier_wait -1
	global_inv scope:SCOPE_SE
	s_and_saveexec_b32 s10, s9
	s_cbranch_execz .LBB115_28
; %bb.27:                               ;   in Loop: Header=BB115_8 Depth=1
	ds_load_b128 v[9:12], v19
	ds_load_b128 v[13:16], v19 offset:16
	s_wait_dscnt 0x0
	v_add_f64_e32 v[9:10], v[13:14], v[9:10]
	v_add_f64_e32 v[11:12], v[15:16], v[11:12]
	ds_store_b128 v19, v[9:12]
.LBB115_28:                             ;   in Loop: Header=BB115_8 Depth=1
	s_wait_alu 0xfffe
	s_or_b32 exec_lo, exec_lo, s10
	s_wait_loadcnt_dscnt 0x0
	s_barrier_signal -1
	s_barrier_wait -1
	global_inv scope:SCOPE_SE
	s_and_saveexec_b32 s10, s9
	s_cbranch_execz .LBB115_7
; %bb.29:                               ;   in Loop: Header=BB115_8 Depth=1
	ds_load_b128 v[9:12], v19
	s_and_saveexec_b32 s42, s11
	s_cbranch_execz .LBB115_6
; %bb.30:                               ;   in Loop: Header=BB115_8 Depth=1
	s_lshl_b64 s[44:45], s[40:41], 4
	s_wait_alu 0xfffe
	s_add_nc_u64 s[44:45], s[24:25], s[44:45]
	global_load_b128 v[13:16], v19, s[44:45]
	s_wait_loadcnt_dscnt 0x0
	v_fma_f64 v[9:10], v[1:2], v[13:14], v[9:10]
	v_fma_f64 v[11:12], v[3:4], v[13:14], v[11:12]
	s_delay_alu instid0(VALU_DEP_2) | instskip(NEXT) | instid1(VALU_DEP_2)
	v_fma_f64 v[9:10], -v[3:4], v[15:16], v[9:10]
	v_fma_f64 v[11:12], v[1:2], v[15:16], v[11:12]
	s_branch .LBB115_6
.LBB115_31:
	s_mov_b32 s10, 0
.LBB115_32:
	s_wait_alu 0xfffe
	s_and_b32 vcc_lo, exec_lo, s10
	s_wait_alu 0xfffe
	s_cbranch_vccz .LBB115_71
; %bb.33:
	s_load_b64 s[6:7], s[0:1], 0x18
	v_mov_b32_e32 v13, 0
	s_lshl_b64 s[2:3], s[36:37], 2
	v_mov_b32_e32 v9, 0
	v_mov_b32_e32 v10, 0
	s_cmp_lg_u64 s[26:27], 0
	v_cmp_eq_u32_e32 vcc_lo, 0, v0
	s_cselect_b32 s38, -1, 0
	s_cmp_eq_u64 s[26:27], 0
	v_mov_b32_e32 v11, 0
	v_mov_b32_e32 v12, 0
	s_sub_nc_u64 s[8:9], s[36:37], s[26:27]
	s_mov_b32 s35, 0
	s_wait_kmcnt 0x0
	s_wait_alu 0xfffe
	s_add_nc_u64 s[4:5], s[6:7], s[2:3]
	s_cselect_b32 s2, -1, 0
	global_load_b32 v19, v13, s[4:5]
	s_wait_alu 0xfffe
	s_and_b32 s2, vcc_lo, s2
	s_wait_alu 0xfffe
	s_and_saveexec_b32 s3, s2
	s_cbranch_execz .LBB115_37
; %bb.34:
	s_lshl_b64 s[36:37], s[20:21], 4
	s_wait_loadcnt_dscnt 0x100
	v_add_f64_e32 v[9:10], -1.0, v[1:2]
	s_add_nc_u64 s[36:37], s[24:25], s[36:37]
	s_mov_b32 s10, exec_lo
	global_load_b128 v[11:14], v13, s[36:37]
	s_wait_alu 0xfffe
	v_mbcnt_lo_u32_b32 v17, s10, 0
	s_mov_b32 s11, exec_lo
	s_wait_loadcnt 0x0
	s_wait_storecnt 0x0
	global_inv scope:SCOPE_DEV
	v_mul_f64_e64 v[15:16], v[13:14], -v[3:4]
	v_mul_f64_e32 v[13:14], v[9:10], v[13:14]
	v_cmpx_eq_u32_e32 0, v17
	s_cbranch_execz .LBB115_36
; %bb.35:
	s_bcnt1_i32_b32 s2, s10
	s_lshl_b64 s[36:37], s[8:9], 2
	s_wait_alu 0xfffe
	s_and_b32 s2, s2, 1
	s_wait_alu 0xfffe
	v_dual_mov_b32 v17, 0 :: v_dual_mov_b32 v18, s2
	s_add_nc_u64 s[36:37], s[6:7], s[36:37]
	global_atomic_xor_b32 v17, v18, s[36:37] scope:SCOPE_DEV
.LBB115_36:
	s_wait_alu 0xfffe
	s_or_b32 exec_lo, exec_lo, s11
	s_delay_alu instid0(VALU_DEP_3) | instskip(NEXT) | instid1(VALU_DEP_3)
	v_fma_f64 v[9:10], v[9:10], v[11:12], v[15:16]
	v_fma_f64 v[11:12], v[3:4], v[11:12], v[13:14]
.LBB115_37:
	s_wait_alu 0xfffe
	s_or_b32 exec_lo, exec_lo, s3
	s_load_b64 s[2:3], s[30:31], 0x8
	s_mul_u64 s[10:11], s[26:27], 0xc00
	s_sub_nc_u64 s[36:37], s[28:29], s[34:35]
	s_wait_alu 0xfffe
	s_add_nc_u64 s[36:37], s[36:37], s[10:11]
	s_delay_alu instid0(SALU_CYCLE_1)
	v_add_co_u32 v13, s10, s36, v0
	s_wait_alu 0xf1ff
	v_add_co_ci_u32_e64 v14, null, s37, 0, s10
	s_wait_kmcnt 0x0
	s_sub_nc_u64 s[10:11], s[2:3], s[34:35]
	s_mov_b32 s35, exec_lo
	s_wait_alu 0xfffe
	v_cmpx_gt_i64_e64 s[10:11], v[13:14]
	s_cbranch_execz .LBB115_41
; %bb.38:
	v_lshlrev_b64_e32 v[17:18], 3, v[13:14]
	s_add_nc_u64 s[36:37], s[36:37], 0xc00
	s_wait_alu 0xfffe
	v_cmp_lt_i64_e64 s3, s[36:37], s[10:11]
	s_delay_alu instid0(VALU_DEP_2)
	v_add_co_u32 v15, s2, s16, v17
	s_wait_alu 0xf1ff
	v_add_co_ci_u32_e64 v16, null, s17, v18, s2
	s_and_b32 s2, s3, exec_lo
	v_add_co_u32 v15, s2, v15, 4
	s_wait_alu 0xf1fe
	v_add_co_ci_u32_e64 v16, null, 0, v16, s2
	v_add_co_u32 v17, s2, s14, v17
	s_wait_alu 0xf1ff
	v_add_co_ci_u32_e64 v18, null, s15, v18, s2
	s_cselect_b32 s11, s37, s11
	s_cselect_b32 s10, s36, s10
	s_mov_b32 s36, 0
.LBB115_39:                             ; =>This Inner Loop Header: Depth=1
	global_load_b64 v[20:21], v[17:18], off
	global_load_b64 v[24:25], v[15:16], off offset:-4
	v_add_co_u32 v17, s3, 0x800, v17
	s_wait_alu 0xf1ff
	v_add_co_ci_u32_e64 v18, null, 0, v18, s3
	s_wait_loadcnt 0x1
	v_sub_co_u32 v20, s2, v20, s34
	s_wait_alu 0xf1ff
	v_subrev_co_ci_u32_e64 v21, null, 0, v21, s2
	s_wait_loadcnt 0x0
	v_cndmask_b32_e64 v25, v25, -v25, s33
	v_cvt_f64_f32_e32 v[27:28], v24
	s_delay_alu instid0(VALU_DEP_3) | instskip(NEXT) | instid1(VALU_DEP_3)
	v_lshlrev_b64_e32 v[20:21], 4, v[20:21]
	v_cvt_f64_f32_e32 v[25:26], v25
	s_delay_alu instid0(VALU_DEP_2) | instskip(SKIP_1) | instid1(VALU_DEP_3)
	v_add_co_u32 v20, s2, s18, v20
	s_wait_alu 0xf1ff
	v_add_co_ci_u32_e64 v21, null, s19, v21, s2
	v_add_co_u32 v13, s2, 0x100, v13
	s_wait_alu 0xf1ff
	v_add_co_ci_u32_e64 v14, null, 0, v14, s2
	global_load_b128 v[20:23], v[20:21], off
	v_add_co_u32 v15, s2, 0x800, v15
	s_wait_alu 0xf1ff
	v_add_co_ci_u32_e64 v16, null, 0, v16, s2
	s_wait_alu 0xfffe
	v_cmp_le_i64_e64 s2, s[10:11], v[13:14]
	s_or_b32 s36, s2, s36
	v_mul_f64_e64 v[29:30], -v[7:8], v[25:26]
	v_mul_f64_e32 v[24:25], v[5:6], v[25:26]
	s_delay_alu instid0(VALU_DEP_2) | instskip(NEXT) | instid1(VALU_DEP_2)
	v_fma_f64 v[29:30], v[5:6], v[27:28], v[29:30]
	v_fma_f64 v[24:25], v[7:8], v[27:28], v[24:25]
	s_wait_loadcnt 0x0
	s_delay_alu instid0(VALU_DEP_2) | instskip(NEXT) | instid1(VALU_DEP_2)
	v_fma_f64 v[9:10], v[29:30], v[20:21], v[9:10]
	v_fma_f64 v[11:12], v[24:25], v[20:21], v[11:12]
	s_delay_alu instid0(VALU_DEP_2) | instskip(NEXT) | instid1(VALU_DEP_2)
	v_fma_f64 v[9:10], -v[24:25], v[22:23], v[9:10]
	v_fma_f64 v[11:12], v[29:30], v[22:23], v[11:12]
	s_wait_alu 0xfffe
	s_and_not1_b32 exec_lo, exec_lo, s36
	s_cbranch_execnz .LBB115_39
; %bb.40:
	s_or_b32 exec_lo, exec_lo, s36
.LBB115_41:
	s_delay_alu instid0(SALU_CYCLE_1)
	s_or_b32 exec_lo, exec_lo, s35
	v_lshlrev_b32_e32 v13, 4, v0
	s_mov_b32 s3, exec_lo
	ds_store_b128 v13, v[9:12]
	s_wait_storecnt 0x0
	s_wait_loadcnt_dscnt 0x0
	s_barrier_signal -1
	s_barrier_wait -1
	global_inv scope:SCOPE_SE
	v_cmpx_gt_u32_e32 0x80, v0
	s_cbranch_execz .LBB115_43
; %bb.42:
	ds_load_b128 v[9:12], v13 offset:2048
	ds_load_b128 v[14:17], v13
	s_wait_dscnt 0x0
	v_add_f64_e32 v[9:10], v[9:10], v[14:15]
	v_add_f64_e32 v[11:12], v[11:12], v[16:17]
	ds_store_b128 v13, v[9:12]
.LBB115_43:
	s_wait_alu 0xfffe
	s_or_b32 exec_lo, exec_lo, s3
	s_delay_alu instid0(SALU_CYCLE_1)
	s_mov_b32 s3, exec_lo
	s_wait_loadcnt_dscnt 0x0
	s_barrier_signal -1
	s_barrier_wait -1
	global_inv scope:SCOPE_SE
	v_cmpx_gt_u32_e32 64, v0
	s_cbranch_execz .LBB115_45
; %bb.44:
	ds_load_b128 v[9:12], v13 offset:1024
	ds_load_b128 v[14:17], v13
	s_wait_dscnt 0x0
	v_add_f64_e32 v[9:10], v[9:10], v[14:15]
	v_add_f64_e32 v[11:12], v[11:12], v[16:17]
	ds_store_b128 v13, v[9:12]
.LBB115_45:
	s_wait_alu 0xfffe
	s_or_b32 exec_lo, exec_lo, s3
	s_delay_alu instid0(SALU_CYCLE_1)
	s_mov_b32 s3, exec_lo
	;; [unrolled: 18-line block ×6, first 2 shown]
	s_wait_loadcnt_dscnt 0x0
	s_barrier_signal -1
	s_barrier_wait -1
	global_inv scope:SCOPE_SE
	v_cmpx_gt_u32_e32 2, v0
	s_cbranch_execz .LBB115_55
; %bb.54:
	ds_load_b128 v[9:12], v13
	ds_load_b128 v[14:17], v13 offset:32
	s_wait_dscnt 0x0
	v_add_f64_e32 v[9:10], v[14:15], v[9:10]
	v_add_f64_e32 v[11:12], v[16:17], v[11:12]
	ds_store_b128 v13, v[9:12]
.LBB115_55:
	s_wait_alu 0xfffe
	s_or_b32 exec_lo, exec_lo, s3
	s_wait_loadcnt_dscnt 0x0
	s_barrier_signal -1
	s_barrier_wait -1
	global_inv scope:SCOPE_SE
	s_and_saveexec_b32 s2, vcc_lo
	s_cbranch_execz .LBB115_57
; %bb.56:
	v_mov_b32_e32 v17, 0
	ds_load_b128 v[9:12], v17
	ds_load_b128 v[13:16], v17 offset:16
	s_wait_dscnt 0x0
	v_add_f64_e32 v[9:10], v[13:14], v[9:10]
	v_add_f64_e32 v[11:12], v[15:16], v[11:12]
	ds_store_b128 v17, v[9:12]
.LBB115_57:
	s_wait_alu 0xfffe
	s_or_b32 exec_lo, exec_lo, s2
	s_wait_loadcnt_dscnt 0x0
	s_barrier_signal -1
	s_barrier_wait -1
	global_inv scope:SCOPE_SE
	s_and_saveexec_b32 s10, vcc_lo
	s_cbranch_execz .LBB115_70
; %bb.58:
	s_and_not1_b32 vcc_lo, exec_lo, s38
	s_wait_alu 0xfffe
	s_cbranch_vccnz .LBB115_64
; %bb.59:
	v_mov_b32_e32 v9, 0
	s_lshl_b64 s[2:3], s[8:9], 2
	s_wait_alu 0xfffe
	s_add_nc_u64 s[2:3], s[6:7], s[2:3]
	s_branch .LBB115_61
.LBB115_60:                             ;   in Loop: Header=BB115_61 Depth=1
	s_wait_alu 0xfffe
	s_or_b32 exec_lo, exec_lo, s6
	s_wait_loadcnt 0x0
	v_readfirstlane_b32 s6, v10
	s_wait_alu 0xf1ff
	s_delay_alu instid0(VALU_DEP_1)
	v_cmp_eq_u32_e32 vcc_lo, s6, v19
	s_cbranch_vccz .LBB115_63
.LBB115_61:                             ; =>This Inner Loop Header: Depth=1
	v_mbcnt_lo_u32_b32 v10, exec_lo, 0
	s_delay_alu instid0(VALU_DEP_1)
	v_cmp_eq_u32_e32 vcc_lo, 0, v10
                                        ; implicit-def: $vgpr10
	s_and_saveexec_b32 s6, vcc_lo
	s_cbranch_execz .LBB115_60
; %bb.62:                               ;   in Loop: Header=BB115_61 Depth=1
	global_load_b32 v10, v9, s[2:3] scope:SCOPE_DEV
	s_branch .LBB115_60
.LBB115_63:
	v_mov_b32_e32 v9, 0
	global_load_u16 v10, v9, s[4:5]
	s_wait_loadcnt 0x0
	v_xor_b32_e32 v10, 1, v10
	global_store_b16 v9, v10, s[4:5]
.LBB115_64:
	v_mov_b32_e32 v17, 0
	s_mov_b32 s6, exec_lo
	s_lshl_b64 s[2:3], s[20:21], 4
	s_wait_alu 0xfffe
	v_mbcnt_lo_u32_b32 v13, s6, 0
	s_add_nc_u64 s[2:3], s[24:25], s[2:3]
	ds_load_b128 v[9:12], v17
	s_mov_b32 s5, 0
	s_mov_b32 s4, exec_lo
	v_cmpx_eq_u32_e32 0, v13
	s_cbranch_execz .LBB115_67
; %bb.65:
	global_load_b64 v[15:16], v17, s[2:3]
	s_bcnt1_i32_b32 s6, s6
	s_wait_alu 0xfffe
	v_cvt_f64_u32_e32 v[13:14], s6
	s_wait_dscnt 0x0
	s_delay_alu instid0(VALU_DEP_1)
	v_mul_f64_e32 v[9:10], v[9:10], v[13:14]
.LBB115_66:                             ; =>This Inner Loop Header: Depth=1
	s_wait_loadcnt 0x0
	s_delay_alu instid0(VALU_DEP_1)
	v_add_f64_e32 v[13:14], v[15:16], v[9:10]
	global_atomic_cmpswap_b64 v[13:14], v17, v[13:16], s[2:3] th:TH_ATOMIC_RETURN scope:SCOPE_DEV
	s_wait_loadcnt 0x0
	v_cmp_eq_u64_e32 vcc_lo, v[13:14], v[15:16]
	v_dual_mov_b32 v16, v14 :: v_dual_mov_b32 v15, v13
	s_or_b32 s5, vcc_lo, s5
	s_delay_alu instid0(SALU_CYCLE_1)
	s_and_not1_b32 exec_lo, exec_lo, s5
	s_cbranch_execnz .LBB115_66
.LBB115_67:
	s_or_b32 exec_lo, exec_lo, s4
	s_delay_alu instid0(SALU_CYCLE_1) | instskip(SKIP_3) | instid1(VALU_DEP_1)
	s_mov_b32 s5, exec_lo
	s_mov_b32 s4, 0
	s_wait_dscnt 0x0
	v_mbcnt_lo_u32_b32 v9, s5, 0
	v_cmp_eq_u32_e32 vcc_lo, 0, v9
	s_and_b32 s6, exec_lo, vcc_lo
	s_wait_alu 0xfffe
	s_mov_b32 exec_lo, s6
	s_cbranch_execz .LBB115_70
; %bb.68:
	v_mov_b32_e32 v15, 0
	s_bcnt1_i32_b32 s5, s5
	s_wait_alu 0xfffe
	v_cvt_f64_u32_e32 v[9:10], s5
	global_load_b64 v[13:14], v15, s[2:3] offset:8
	v_mul_f64_e32 v[9:10], v[11:12], v[9:10]
.LBB115_69:                             ; =>This Inner Loop Header: Depth=1
	s_wait_loadcnt 0x0
	s_delay_alu instid0(VALU_DEP_1)
	v_add_f64_e32 v[11:12], v[13:14], v[9:10]
	global_atomic_cmpswap_b64 v[11:12], v15, v[11:14], s[2:3] offset:8 th:TH_ATOMIC_RETURN scope:SCOPE_DEV
	s_wait_loadcnt 0x0
	v_cmp_eq_u64_e32 vcc_lo, v[11:12], v[13:14]
	v_dual_mov_b32 v14, v12 :: v_dual_mov_b32 v13, v11
	s_or_b32 s4, vcc_lo, s4
	s_wait_alu 0xfffe
	s_and_not1_b32 exec_lo, exec_lo, s4
	s_cbranch_execnz .LBB115_69
.LBB115_70:
	s_wait_alu 0xfffe
	s_or_b32 exec_lo, exec_lo, s10
.LBB115_71:
	s_mov_b32 s4, 0
.LBB115_72:
	s_wait_alu 0xfffe
	s_and_not1_b32 vcc_lo, exec_lo, s4
	s_wait_alu 0xfffe
	s_cbranch_vccnz .LBB115_116
; %bb.73:
	s_load_b64 s[0:1], s[0:1], 0x8
	v_sub_co_u32 v9, s2, v0, s34
	s_wait_alu 0xf1ff
	v_sub_co_ci_u32_e64 v10, null, 0, 0, s2
	s_mov_b32 s35, 0
	s_wait_kmcnt 0x0
	v_add_co_u32 v9, vcc_lo, s28, v9
	s_wait_alu 0xfffd
	v_add_co_ci_u32_e64 v10, null, s29, v10, vcc_lo
	s_delay_alu instid0(VALU_DEP_2) | instskip(SKIP_1) | instid1(VALU_DEP_2)
	v_add_co_u32 v11, vcc_lo, 0x300, v9
	s_wait_alu 0xfffd
	v_add_co_ci_u32_e64 v12, null, 0, v10, vcc_lo
	s_delay_alu instid0(VALU_DEP_1)
	v_cmp_le_i64_e32 vcc_lo, s[0:1], v[11:12]
	s_and_saveexec_b32 s0, vcc_lo
	s_wait_alu 0xfffe
	s_xor_b32 s1, exec_lo, s0
	s_cbranch_execz .LBB115_78
; %bb.74:
	s_lshl_b64 s[2:3], s[22:23], 3
	s_mov_b32 s4, exec_lo
	s_wait_alu 0xfffe
	s_add_nc_u64 s[2:3], s[12:13], s[2:3]
	s_load_b64 s[2:3], s[2:3], 0x0
	s_wait_kmcnt 0x0
	s_sub_nc_u64 s[2:3], s[2:3], s[34:35]
	s_wait_alu 0xfffe
	v_cmpx_gt_i64_e64 s[2:3], v[9:10]
	s_cbranch_execz .LBB115_77
; %bb.75:
	v_lshlrev_b64_e32 v[11:12], 3, v[9:10]
	v_lshlrev_b32_e32 v15, 4, v0
	s_mov_b32 s5, 0
	s_delay_alu instid0(VALU_DEP_2) | instskip(SKIP_1) | instid1(VALU_DEP_3)
	v_add_co_u32 v13, vcc_lo, s16, v11
	s_wait_alu 0xfffd
	v_add_co_ci_u32_e64 v14, null, s17, v12, vcc_lo
	v_add_co_u32 v11, vcc_lo, s14, v11
	s_wait_alu 0xfffd
	v_add_co_ci_u32_e64 v12, null, s15, v12, vcc_lo
	;; [unrolled: 3-line block ×3, first 2 shown]
.LBB115_76:                             ; =>This Inner Loop Header: Depth=1
	global_load_b64 v[16:17], v[11:12], off
	global_load_b64 v[20:21], v[13:14], off offset:-4
	s_wait_loadcnt 0x1
	v_sub_co_u32 v16, vcc_lo, v16, s34
	s_wait_alu 0xfffd
	v_subrev_co_ci_u32_e64 v17, null, 0, v17, vcc_lo
	s_wait_loadcnt 0x0
	v_cndmask_b32_e64 v21, v21, -v21, s33
	v_cvt_f64_f32_e32 v[23:24], v20
	s_delay_alu instid0(VALU_DEP_3) | instskip(NEXT) | instid1(VALU_DEP_3)
	v_lshlrev_b64_e32 v[16:17], 4, v[16:17]
	v_cvt_f64_f32_e32 v[21:22], v21
	s_delay_alu instid0(VALU_DEP_2) | instskip(SKIP_1) | instid1(VALU_DEP_3)
	v_add_co_u32 v16, vcc_lo, s18, v16
	s_wait_alu 0xfffd
	v_add_co_ci_u32_e64 v17, null, s19, v17, vcc_lo
	v_add_co_u32 v9, vcc_lo, 0x100, v9
	s_wait_alu 0xfffd
	v_add_co_ci_u32_e64 v10, null, 0, v10, vcc_lo
	global_load_b128 v[16:19], v[16:17], off
	v_add_co_u32 v11, vcc_lo, 0x800, v11
	v_cmp_le_i64_e64 s0, s[2:3], v[9:10]
	s_wait_alu 0xfffd
	v_add_co_ci_u32_e64 v12, null, 0, v12, vcc_lo
	v_add_co_u32 v13, vcc_lo, 0x800, v13
	s_wait_alu 0xfffd
	v_add_co_ci_u32_e64 v14, null, 0, v14, vcc_lo
	s_wait_alu 0xfffe
	s_or_b32 s5, s0, s5
	v_mul_f64_e32 v[25:26], v[5:6], v[21:22]
	v_mul_f64_e64 v[20:21], -v[7:8], v[21:22]
	s_delay_alu instid0(VALU_DEP_2) | instskip(NEXT) | instid1(VALU_DEP_2)
	v_fma_f64 v[25:26], v[7:8], v[23:24], v[25:26]
	v_fma_f64 v[20:21], v[5:6], v[23:24], v[20:21]
	s_wait_loadcnt 0x0
	s_delay_alu instid0(VALU_DEP_2) | instskip(NEXT) | instid1(VALU_DEP_2)
	v_mul_f64_e64 v[22:23], v[18:19], -v[25:26]
	v_mul_f64_e32 v[27:28], v[18:19], v[20:21]
	s_delay_alu instid0(VALU_DEP_2) | instskip(NEXT) | instid1(VALU_DEP_2)
	v_fma_f64 v[18:19], v[20:21], v[16:17], v[22:23]
	v_fma_f64 v[20:21], v[25:26], v[16:17], v[27:28]
	ds_store_b128 v15, v[18:21]
	v_add_nc_u32_e32 v15, 0x1000, v15
	s_wait_alu 0xfffe
	s_and_not1_b32 exec_lo, exec_lo, s5
	s_cbranch_execnz .LBB115_76
.LBB115_77:
	s_or_b32 exec_lo, exec_lo, s4
                                        ; implicit-def: $vgpr9_vgpr10
                                        ; implicit-def: $vgpr7_vgpr8
.LBB115_78:
	s_wait_alu 0xfffe
	s_or_saveexec_b32 s0, s1
	v_lshlrev_b32_e32 v17, 4, v0
	s_wait_alu 0xfffe
	s_xor_b32 exec_lo, exec_lo, s0
	s_cbranch_execz .LBB115_80
; %bb.79:
	v_lshlrev_b64_e32 v[9:10], 3, v[9:10]
	s_delay_alu instid0(VALU_DEP_1) | instskip(SKIP_1) | instid1(VALU_DEP_2)
	v_add_co_u32 v11, vcc_lo, s14, v9
	s_wait_alu 0xfffd
	v_add_co_ci_u32_e64 v12, null, s15, v10, vcc_lo
	v_add_co_u32 v9, vcc_lo, s16, v9
	s_wait_alu 0xfffd
	v_add_co_ci_u32_e64 v10, null, s17, v10, vcc_lo
	s_clause 0x3
	global_load_b64 v[13:14], v[11:12], off
	global_load_b64 v[15:16], v[11:12], off offset:2048
	global_load_b64 v[18:19], v[11:12], off offset:4096
	;; [unrolled: 1-line block ×3, first 2 shown]
	s_clause 0x3
	global_load_b64 v[26:27], v[9:10], off
	global_load_b64 v[28:29], v[9:10], off offset:2048
	global_load_b64 v[30:31], v[9:10], off offset:4096
	global_load_b64 v[32:33], v[9:10], off offset:6144
	s_wait_loadcnt 0x7
	v_sub_co_u32 v9, vcc_lo, v13, s34
	s_wait_alu 0xfffd
	v_subrev_co_ci_u32_e64 v10, null, 0, v14, vcc_lo
	s_wait_loadcnt 0x6
	v_sub_co_u32 v13, vcc_lo, v15, s34
	s_wait_alu 0xfffd
	v_subrev_co_ci_u32_e64 v14, null, 0, v16, vcc_lo
	;; [unrolled: 4-line block ×3, first 2 shown]
	s_wait_loadcnt 0x4
	v_sub_co_u32 v11, vcc_lo, v11, s34
	v_lshlrev_b64_e32 v[9:10], 4, v[9:10]
	s_wait_alu 0xfffd
	v_subrev_co_ci_u32_e64 v12, null, 0, v12, vcc_lo
	v_lshlrev_b64_e32 v[13:14], 4, v[13:14]
	v_lshlrev_b64_e32 v[15:16], 4, v[15:16]
	s_wait_loadcnt 0x3
	v_cndmask_b32_e64 v27, v27, -v27, s33
	v_lshlrev_b64_e32 v[18:19], 4, v[11:12]
	v_add_co_u32 v9, vcc_lo, s18, v9
	s_wait_alu 0xfffd
	v_add_co_ci_u32_e64 v10, null, s19, v10, vcc_lo
	v_add_co_u32 v13, vcc_lo, s18, v13
	s_wait_alu 0xfffd
	v_add_co_ci_u32_e64 v14, null, s19, v14, vcc_lo
	;; [unrolled: 3-line block ×3, first 2 shown]
	v_add_co_u32 v22, vcc_lo, s18, v18
	global_load_b128 v[9:12], v[9:10], off
	s_wait_alu 0xfffd
	v_add_co_ci_u32_e64 v23, null, s19, v19, vcc_lo
	s_clause 0x2
	global_load_b128 v[13:16], v[13:14], off
	global_load_b128 v[18:21], v[20:21], off
	;; [unrolled: 1-line block ×3, first 2 shown]
	s_wait_loadcnt 0x6
	v_cndmask_b32_e64 v29, v29, -v29, s33
	s_wait_loadcnt 0x5
	v_cndmask_b32_e64 v31, v31, -v31, s33
	v_cvt_f64_f32_e32 v[34:35], v27
	s_wait_loadcnt 0x4
	v_cndmask_b32_e64 v27, v33, -v33, s33
	v_cvt_f64_f32_e32 v[32:33], v32
	v_cvt_f64_f32_e32 v[36:37], v29
	;; [unrolled: 1-line block ×7, first 2 shown]
	v_mul_f64_e32 v[42:43], v[5:6], v[34:35]
	v_mul_f64_e64 v[34:35], -v[7:8], v[34:35]
	v_mul_f64_e32 v[44:45], v[5:6], v[36:37]
	v_mul_f64_e64 v[36:37], -v[7:8], v[36:37]
	;; [unrolled: 2-line block ×4, first 2 shown]
	v_fma_f64 v[42:43], v[7:8], v[26:27], v[42:43]
	v_fma_f64 v[26:27], v[5:6], v[26:27], v[34:35]
	;; [unrolled: 1-line block ×8, first 2 shown]
	s_wait_loadcnt 0x3
	v_mul_f64_e64 v[5:6], v[11:12], -v[42:43]
	v_mul_f64_e32 v[7:8], v[11:12], v[26:27]
	s_wait_loadcnt 0x2
	v_mul_f64_e64 v[11:12], v[15:16], -v[34:35]
	v_mul_f64_e32 v[15:16], v[15:16], v[28:29]
	;; [unrolled: 3-line block ×4, first 2 shown]
	v_fma_f64 v[5:6], v[26:27], v[9:10], v[5:6]
	v_fma_f64 v[7:8], v[42:43], v[9:10], v[7:8]
	;; [unrolled: 1-line block ×8, first 2 shown]
	ds_store_b128 v17, v[5:8]
	ds_store_b128 v17, v[9:12] offset:4096
	ds_store_b128 v17, v[13:16] offset:8192
	;; [unrolled: 1-line block ×3, first 2 shown]
.LBB115_80:
	s_or_b32 exec_lo, exec_lo, s0
	v_cmp_lt_i64_e64 s0, s[26:27], 2
	s_wait_storecnt 0x0
	s_wait_loadcnt_dscnt 0x0
	s_barrier_signal -1
	s_barrier_wait -1
	global_inv scope:SCOPE_SE
	s_and_b32 vcc_lo, exec_lo, s0
	s_mov_b32 s0, -1
	s_wait_alu 0xfffe
	s_cbranch_vccz .LBB115_91
; %bb.81:
	v_add_co_u32 v13, s0, s20, v0
	s_wait_alu 0xf1ff
	v_add_co_ci_u32_e64 v14, null, s21, 0, s0
	s_mov_b32 s1, exec_lo
	v_cmpx_gt_i64_e64 s[22:23], v[13:14]
	s_cbranch_execz .LBB115_90
; %bb.82:
	v_cmp_neq_f64_e32 vcc_lo, 0, v[1:2]
	v_cmp_neq_f64_e64 s0, 0, v[3:4]
	s_lshl_b32 s4, s28, 4
	s_mov_b32 s2, 0
	s_wait_alu 0xfffe
	s_sub_co_i32 s4, 0, s4
	s_or_b32 s3, vcc_lo, s0
	s_branch .LBB115_84
.LBB115_83:                             ;   in Loop: Header=BB115_84 Depth=1
	s_wait_alu 0xfffe
	s_or_b32 exec_lo, exec_lo, s0
	v_add_co_u32 v13, vcc_lo, 0x100, v13
	s_wait_alu 0xfffd
	v_add_co_ci_u32_e64 v14, null, 0, v14, vcc_lo
	v_add_co_u32 v9, s0, s24, v9
	s_wait_alu 0xf1ff
	v_add_co_ci_u32_e64 v10, null, s25, v10, s0
	s_delay_alu instid0(VALU_DEP_3)
	v_cmp_le_i64_e32 vcc_lo, s[22:23], v[13:14]
	global_store_b128 v[9:10], v[5:8], off
	s_or_b32 s2, vcc_lo, s2
	s_wait_alu 0xfffe
	s_and_not1_b32 exec_lo, exec_lo, s2
	s_cbranch_execz .LBB115_90
.LBB115_84:                             ; =>This Loop Header: Depth=1
                                        ;     Child Loop BB115_86 Depth 2
	v_lshlrev_b64_e32 v[5:6], 3, v[13:14]
	v_mov_b32_e32 v7, 0
	v_mov_b32_e32 v8, 0
	s_mov_b32 s0, exec_lo
	s_delay_alu instid0(VALU_DEP_3)
	v_add_co_u32 v5, vcc_lo, s12, v5
	s_wait_alu 0xfffd
	v_add_co_ci_u32_e64 v6, null, s13, v6, vcc_lo
	global_load_b128 v[9:12], v[5:6], off
	v_mov_b32_e32 v5, 0
	v_mov_b32_e32 v6, 0
	s_wait_loadcnt 0x0
	v_cmpx_lt_i64_e64 v[9:10], v[11:12]
	s_cbranch_execz .LBB115_88
; %bb.85:                               ;   in Loop: Header=BB115_84 Depth=1
	v_mov_b32_e32 v7, 0
	v_mov_b32_e32 v8, 0
	v_sub_co_u32 v11, vcc_lo, v11, s28
	s_wait_alu 0xfffd
	v_subrev_co_ci_u32_e64 v12, null, s29, v12, vcc_lo
	v_sub_co_u32 v15, vcc_lo, v9, s28
	s_wait_alu 0xfffd
	v_subrev_co_ci_u32_e64 v16, null, s29, v10, vcc_lo
	s_wait_alu 0xfffe
	v_lshl_add_u32 v9, v9, 4, s4
	v_dual_mov_b32 v5, v7 :: v_dual_mov_b32 v6, v8
	s_mov_b32 s5, 0
.LBB115_86:                             ;   Parent Loop BB115_84 Depth=1
                                        ; =>  This Inner Loop Header: Depth=2
	ds_load_b128 v[18:21], v9
	v_add_co_u32 v15, vcc_lo, v15, 1
	s_wait_alu 0xfffd
	v_add_co_ci_u32_e64 v16, null, 0, v16, vcc_lo
	v_add_nc_u32_e32 v9, 16, v9
	s_delay_alu instid0(VALU_DEP_2)
	v_cmp_ge_i64_e32 vcc_lo, v[15:16], v[11:12]
	s_wait_alu 0xfffe
	s_or_b32 s5, vcc_lo, s5
	s_wait_dscnt 0x0
	v_add_f64_e32 v[5:6], v[5:6], v[18:19]
	v_add_f64_e32 v[7:8], v[7:8], v[20:21]
	s_wait_alu 0xfffe
	s_and_not1_b32 exec_lo, exec_lo, s5
	s_cbranch_execnz .LBB115_86
; %bb.87:                               ;   in Loop: Header=BB115_84 Depth=1
	s_or_b32 exec_lo, exec_lo, s5
.LBB115_88:                             ;   in Loop: Header=BB115_84 Depth=1
	s_wait_alu 0xfffe
	s_or_b32 exec_lo, exec_lo, s0
	v_lshlrev_b64_e32 v[9:10], 4, v[13:14]
	s_and_saveexec_b32 s0, s3
	s_cbranch_execz .LBB115_83
; %bb.89:                               ;   in Loop: Header=BB115_84 Depth=1
	s_delay_alu instid0(VALU_DEP_1) | instskip(SKIP_1) | instid1(VALU_DEP_2)
	v_add_co_u32 v11, vcc_lo, s24, v9
	s_wait_alu 0xfffd
	v_add_co_ci_u32_e64 v12, null, s25, v10, vcc_lo
	global_load_b128 v[18:21], v[11:12], off
	s_wait_loadcnt 0x0
	v_fma_f64 v[5:6], v[1:2], v[18:19], v[5:6]
	v_fma_f64 v[7:8], v[3:4], v[18:19], v[7:8]
	s_delay_alu instid0(VALU_DEP_2) | instskip(NEXT) | instid1(VALU_DEP_2)
	v_fma_f64 v[5:6], -v[3:4], v[20:21], v[5:6]
	v_fma_f64 v[7:8], v[1:2], v[20:21], v[7:8]
	s_branch .LBB115_83
.LBB115_90:
	s_wait_alu 0xfffe
	s_or_b32 exec_lo, exec_lo, s1
	s_mov_b32 s0, 0
.LBB115_91:
	s_wait_alu 0xfffe
	s_and_not1_b32 vcc_lo, exec_lo, s0
	s_wait_alu 0xfffe
	s_cbranch_vccnz .LBB115_116
; %bb.92:
	s_clz_i32_u32 s0, s26
	v_dual_mov_b32 v5, 0 :: v_dual_mov_b32 v12, 0
	s_wait_alu 0xfffe
	s_min_u32 s0, s0, 32
	s_mov_b32 s1, exec_lo
	s_wait_alu 0xfffe
	s_sub_co_i32 s0, 31, s0
	s_wait_alu 0xfffe
	v_lshrrev_b32_e32 v13, s0, v0
	s_delay_alu instid0(VALU_DEP_1)
	v_add_co_u32 v9, s0, s20, v13
	s_wait_alu 0xf1ff
	v_add_co_ci_u32_e64 v10, null, s21, 0, s0
	s_add_co_i32 s0, s26, -1
	s_wait_alu 0xfffe
	v_dual_mov_b32 v6, 0 :: v_dual_and_b32 v11, s0, v0
	v_cmp_le_i64_e64 s0, s[22:23], v[9:10]
	s_delay_alu instid0(VALU_DEP_2)
	v_dual_mov_b32 v8, v6 :: v_dual_mov_b32 v7, v5
	v_cmpx_gt_i64_e64 s[22:23], v[9:10]
	s_cbranch_execz .LBB115_98
; %bb.93:
	v_lshlrev_b32_e32 v0, 3, v13
	global_load_b128 v[5:8], v0, s[30:31]
	v_sub_co_u32 v0, s2, v11, s28
	s_wait_alu 0xf1ff
	v_sub_co_ci_u32_e64 v16, null, 0, s29, s2
	s_mov_b32 s2, exec_lo
	s_wait_loadcnt 0x0
	v_sub_co_u32 v13, vcc_lo, v7, s28
	s_wait_alu 0xfffd
	v_subrev_co_ci_u32_e64 v14, null, s29, v8, vcc_lo
	v_add_co_u32 v15, vcc_lo, v5, v0
	v_mov_b32_e32 v7, 0
	s_wait_alu 0xfffd
	v_add_co_ci_u32_e64 v16, null, v6, v16, vcc_lo
	v_dual_mov_b32 v8, 0 :: v_dual_mov_b32 v5, 0
	v_mov_b32_e32 v6, 0
	s_delay_alu instid0(VALU_DEP_3)
	v_cmpx_lt_i64_e64 v[15:16], v[13:14]
	s_cbranch_execz .LBB115_97
; %bb.94:
	v_dual_mov_b32 v7, 0 :: v_dual_lshlrev_b32 v0, 4, v15
	v_mov_b32_e32 v8, 0
	s_delay_alu instid0(VALU_DEP_2) | instskip(SKIP_2) | instid1(VALU_DEP_2)
	v_mov_b32_e32 v5, v7
	s_lshl_b32 s4, s26, 4
	s_mov_b32 s3, 0
	v_mov_b32_e32 v6, v8
.LBB115_95:                             ; =>This Inner Loop Header: Depth=1
	ds_load_b128 v[18:21], v0
	v_add_co_u32 v15, vcc_lo, v15, s26
	s_wait_alu 0xfffd
	v_add_co_ci_u32_e64 v16, null, s27, v16, vcc_lo
	s_wait_alu 0xfffe
	v_add_nc_u32_e32 v0, s4, v0
	s_delay_alu instid0(VALU_DEP_2)
	v_cmp_ge_i64_e32 vcc_lo, v[15:16], v[13:14]
	s_or_b32 s3, vcc_lo, s3
	s_wait_dscnt 0x0
	v_add_f64_e32 v[5:6], v[5:6], v[18:19]
	v_add_f64_e32 v[7:8], v[7:8], v[20:21]
	s_wait_alu 0xfffe
	s_and_not1_b32 exec_lo, exec_lo, s3
	s_cbranch_execnz .LBB115_95
; %bb.96:
	s_or_b32 exec_lo, exec_lo, s3
.LBB115_97:
	s_wait_alu 0xfffe
	s_or_b32 exec_lo, exec_lo, s2
.LBB115_98:
	s_delay_alu instid0(SALU_CYCLE_1)
	s_or_b32 exec_lo, exec_lo, s1
	v_cmp_gt_u64_e64 s1, 0x81, s[26:27]
	s_wait_loadcnt 0x0
	s_wait_storecnt 0x0
	s_barrier_signal -1
	s_barrier_wait -1
	global_inv scope:SCOPE_SE
	ds_store_b128 v17, v[5:8]
	s_and_b32 vcc_lo, exec_lo, s1
	s_wait_loadcnt_dscnt 0x0
	s_barrier_signal -1
	s_barrier_wait -1
	global_inv scope:SCOPE_SE
	s_wait_alu 0xfffe
	s_cbranch_vccnz .LBB115_100
; %bb.99:
	ds_load_b128 v[13:16], v17 offset:2048
	s_wait_loadcnt_dscnt 0x0
	s_barrier_signal -1
	s_barrier_wait -1
	global_inv scope:SCOPE_SE
	v_add_f64_e32 v[5:6], v[5:6], v[13:14]
	v_add_f64_e32 v[7:8], v[7:8], v[15:16]
	ds_store_b128 v17, v[5:8]
.LBB115_100:
	v_cmp_gt_u64_e64 s1, 0x41, s[26:27]
	s_wait_loadcnt_dscnt 0x0
	s_barrier_signal -1
	s_barrier_wait -1
	global_inv scope:SCOPE_SE
	s_and_b32 vcc_lo, exec_lo, s1
	s_wait_alu 0xfffe
	s_cbranch_vccnz .LBB115_102
; %bb.101:
	ds_load_b128 v[13:16], v17 offset:1024
	s_wait_loadcnt_dscnt 0x0
	s_barrier_signal -1
	s_barrier_wait -1
	global_inv scope:SCOPE_SE
	v_add_f64_e32 v[5:6], v[5:6], v[13:14]
	v_add_f64_e32 v[7:8], v[7:8], v[15:16]
	ds_store_b128 v17, v[5:8]
.LBB115_102:
	v_cmp_lt_u64_e64 s1, s[26:27], 33
	s_wait_loadcnt_dscnt 0x0
	s_barrier_signal -1
	s_barrier_wait -1
	global_inv scope:SCOPE_SE
	s_and_b32 vcc_lo, exec_lo, s1
	s_wait_alu 0xfffe
	s_cbranch_vccnz .LBB115_104
; %bb.103:
	ds_load_b128 v[13:16], v17 offset:512
	s_wait_loadcnt_dscnt 0x0
	s_barrier_signal -1
	s_barrier_wait -1
	global_inv scope:SCOPE_SE
	v_add_f64_e32 v[5:6], v[5:6], v[13:14]
	v_add_f64_e32 v[7:8], v[7:8], v[15:16]
	ds_store_b128 v17, v[5:8]
.LBB115_104:
	v_cmp_lt_u64_e64 s1, s[26:27], 17
	;; [unrolled: 18-line block ×4, first 2 shown]
	s_wait_loadcnt_dscnt 0x0
	s_barrier_signal -1
	s_barrier_wait -1
	global_inv scope:SCOPE_SE
	s_and_b32 vcc_lo, exec_lo, s1
	s_wait_alu 0xfffe
	s_cbranch_vccnz .LBB115_110
; %bb.109:
	ds_load_b128 v[13:16], v17 offset:64
	s_wait_loadcnt_dscnt 0x0
	s_barrier_signal -1
	s_barrier_wait -1
	global_inv scope:SCOPE_SE
	v_add_f64_e32 v[5:6], v[5:6], v[13:14]
	v_add_f64_e32 v[7:8], v[7:8], v[15:16]
	ds_store_b128 v17, v[5:8]
.LBB115_110:
	s_cmp_eq_u64 s[26:27], 2
	s_wait_loadcnt_dscnt 0x0
	s_barrier_signal -1
	s_barrier_wait -1
	global_inv scope:SCOPE_SE
	s_cbranch_scc1 .LBB115_112
; %bb.111:
	ds_load_b128 v[13:16], v17 offset:32
	s_wait_loadcnt_dscnt 0x0
	s_barrier_signal -1
	s_barrier_wait -1
	global_inv scope:SCOPE_SE
	v_add_f64_e32 v[5:6], v[5:6], v[13:14]
	v_add_f64_e32 v[7:8], v[7:8], v[15:16]
	ds_store_b128 v17, v[5:8]
.LBB115_112:
	s_wait_loadcnt_dscnt 0x0
	s_barrier_signal -1
	s_barrier_wait -1
	global_inv scope:SCOPE_SE
	ds_load_b128 v[13:16], v17 offset:16
	v_cmp_eq_u64_e32 vcc_lo, 0, v[11:12]
	s_xor_b32 s0, s0, -1
	s_wait_loadcnt_dscnt 0x0
	s_barrier_signal -1
	s_barrier_wait -1
	global_inv scope:SCOPE_SE
	s_wait_alu 0xfffe
	s_and_b32 s0, vcc_lo, s0
	v_add_f64_e32 v[5:6], v[5:6], v[13:14]
	v_add_f64_e32 v[7:8], v[7:8], v[15:16]
	ds_store_b128 v17, v[5:8]
	s_wait_alu 0xfffe
	s_and_b32 exec_lo, exec_lo, s0
	s_cbranch_execz .LBB115_116
; %bb.113:
	v_cmp_neq_f64_e32 vcc_lo, 0, v[1:2]
	v_cmp_neq_f64_e64 s0, 0, v[3:4]
	v_lshlrev_b64_e32 v[9:10], 4, v[9:10]
	s_or_b32 s1, vcc_lo, s0
	s_wait_alu 0xfffe
	s_and_saveexec_b32 s0, s1
	s_cbranch_execz .LBB115_115
; %bb.114:
	s_delay_alu instid0(VALU_DEP_1)
	v_add_co_u32 v11, vcc_lo, s24, v9
	s_wait_alu 0xfffd
	v_add_co_ci_u32_e64 v12, null, s25, v10, vcc_lo
	global_load_b128 v[11:14], v[11:12], off
	s_wait_loadcnt 0x0
	v_fma_f64 v[5:6], v[1:2], v[11:12], v[5:6]
	v_fma_f64 v[7:8], v[3:4], v[11:12], v[7:8]
	s_delay_alu instid0(VALU_DEP_2) | instskip(NEXT) | instid1(VALU_DEP_2)
	v_fma_f64 v[5:6], -v[3:4], v[13:14], v[5:6]
	v_fma_f64 v[7:8], v[1:2], v[13:14], v[7:8]
.LBB115_115:
	s_wait_alu 0xfffe
	s_or_b32 exec_lo, exec_lo, s0
	v_add_co_u32 v0, vcc_lo, s24, v9
	s_wait_alu 0xfffd
	v_add_co_ci_u32_e64 v1, null, s25, v10, vcc_lo
	global_store_b128 v[0:1], v[5:8], off
.LBB115_116:
	s_endpgm
	.section	.rodata,"a",@progbits
	.p2align	6, 0x0
	.amdhsa_kernel _ZN9rocsparseL22csrmvn_adaptive_kernelIll21rocsparse_complex_numIfES1_IdES3_S3_EEvbT_PKS4_PjPKT0_NS_24const_host_device_scalarIT4_EES6_SA_PKT1_PKT2_SD_PT3_21rocsparse_index_base_b
		.amdhsa_group_segment_fixed_size 16384
		.amdhsa_private_segment_fixed_size 0
		.amdhsa_kernarg_size 120
		.amdhsa_user_sgpr_count 2
		.amdhsa_user_sgpr_dispatch_ptr 0
		.amdhsa_user_sgpr_queue_ptr 0
		.amdhsa_user_sgpr_kernarg_segment_ptr 1
		.amdhsa_user_sgpr_dispatch_id 0
		.amdhsa_user_sgpr_private_segment_size 0
		.amdhsa_wavefront_size32 1
		.amdhsa_uses_dynamic_stack 0
		.amdhsa_enable_private_segment 0
		.amdhsa_system_sgpr_workgroup_id_x 1
		.amdhsa_system_sgpr_workgroup_id_y 0
		.amdhsa_system_sgpr_workgroup_id_z 0
		.amdhsa_system_sgpr_workgroup_info 0
		.amdhsa_system_vgpr_workitem_id 0
		.amdhsa_next_free_vgpr 50
		.amdhsa_next_free_sgpr 48
		.amdhsa_reserve_vcc 1
		.amdhsa_float_round_mode_32 0
		.amdhsa_float_round_mode_16_64 0
		.amdhsa_float_denorm_mode_32 3
		.amdhsa_float_denorm_mode_16_64 3
		.amdhsa_fp16_overflow 0
		.amdhsa_workgroup_processor_mode 1
		.amdhsa_memory_ordered 1
		.amdhsa_forward_progress 1
		.amdhsa_inst_pref_size 54
		.amdhsa_round_robin_scheduling 0
		.amdhsa_exception_fp_ieee_invalid_op 0
		.amdhsa_exception_fp_denorm_src 0
		.amdhsa_exception_fp_ieee_div_zero 0
		.amdhsa_exception_fp_ieee_overflow 0
		.amdhsa_exception_fp_ieee_underflow 0
		.amdhsa_exception_fp_ieee_inexact 0
		.amdhsa_exception_int_div_zero 0
	.end_amdhsa_kernel
	.section	.text._ZN9rocsparseL22csrmvn_adaptive_kernelIll21rocsparse_complex_numIfES1_IdES3_S3_EEvbT_PKS4_PjPKT0_NS_24const_host_device_scalarIT4_EES6_SA_PKT1_PKT2_SD_PT3_21rocsparse_index_base_b,"axG",@progbits,_ZN9rocsparseL22csrmvn_adaptive_kernelIll21rocsparse_complex_numIfES1_IdES3_S3_EEvbT_PKS4_PjPKT0_NS_24const_host_device_scalarIT4_EES6_SA_PKT1_PKT2_SD_PT3_21rocsparse_index_base_b,comdat
.Lfunc_end115:
	.size	_ZN9rocsparseL22csrmvn_adaptive_kernelIll21rocsparse_complex_numIfES1_IdES3_S3_EEvbT_PKS4_PjPKT0_NS_24const_host_device_scalarIT4_EES6_SA_PKT1_PKT2_SD_PT3_21rocsparse_index_base_b, .Lfunc_end115-_ZN9rocsparseL22csrmvn_adaptive_kernelIll21rocsparse_complex_numIfES1_IdES3_S3_EEvbT_PKS4_PjPKT0_NS_24const_host_device_scalarIT4_EES6_SA_PKT1_PKT2_SD_PT3_21rocsparse_index_base_b
                                        ; -- End function
	.set _ZN9rocsparseL22csrmvn_adaptive_kernelIll21rocsparse_complex_numIfES1_IdES3_S3_EEvbT_PKS4_PjPKT0_NS_24const_host_device_scalarIT4_EES6_SA_PKT1_PKT2_SD_PT3_21rocsparse_index_base_b.num_vgpr, 50
	.set _ZN9rocsparseL22csrmvn_adaptive_kernelIll21rocsparse_complex_numIfES1_IdES3_S3_EEvbT_PKS4_PjPKT0_NS_24const_host_device_scalarIT4_EES6_SA_PKT1_PKT2_SD_PT3_21rocsparse_index_base_b.num_agpr, 0
	.set _ZN9rocsparseL22csrmvn_adaptive_kernelIll21rocsparse_complex_numIfES1_IdES3_S3_EEvbT_PKS4_PjPKT0_NS_24const_host_device_scalarIT4_EES6_SA_PKT1_PKT2_SD_PT3_21rocsparse_index_base_b.numbered_sgpr, 48
	.set _ZN9rocsparseL22csrmvn_adaptive_kernelIll21rocsparse_complex_numIfES1_IdES3_S3_EEvbT_PKS4_PjPKT0_NS_24const_host_device_scalarIT4_EES6_SA_PKT1_PKT2_SD_PT3_21rocsparse_index_base_b.num_named_barrier, 0
	.set _ZN9rocsparseL22csrmvn_adaptive_kernelIll21rocsparse_complex_numIfES1_IdES3_S3_EEvbT_PKS4_PjPKT0_NS_24const_host_device_scalarIT4_EES6_SA_PKT1_PKT2_SD_PT3_21rocsparse_index_base_b.private_seg_size, 0
	.set _ZN9rocsparseL22csrmvn_adaptive_kernelIll21rocsparse_complex_numIfES1_IdES3_S3_EEvbT_PKS4_PjPKT0_NS_24const_host_device_scalarIT4_EES6_SA_PKT1_PKT2_SD_PT3_21rocsparse_index_base_b.uses_vcc, 1
	.set _ZN9rocsparseL22csrmvn_adaptive_kernelIll21rocsparse_complex_numIfES1_IdES3_S3_EEvbT_PKS4_PjPKT0_NS_24const_host_device_scalarIT4_EES6_SA_PKT1_PKT2_SD_PT3_21rocsparse_index_base_b.uses_flat_scratch, 0
	.set _ZN9rocsparseL22csrmvn_adaptive_kernelIll21rocsparse_complex_numIfES1_IdES3_S3_EEvbT_PKS4_PjPKT0_NS_24const_host_device_scalarIT4_EES6_SA_PKT1_PKT2_SD_PT3_21rocsparse_index_base_b.has_dyn_sized_stack, 0
	.set _ZN9rocsparseL22csrmvn_adaptive_kernelIll21rocsparse_complex_numIfES1_IdES3_S3_EEvbT_PKS4_PjPKT0_NS_24const_host_device_scalarIT4_EES6_SA_PKT1_PKT2_SD_PT3_21rocsparse_index_base_b.has_recursion, 0
	.set _ZN9rocsparseL22csrmvn_adaptive_kernelIll21rocsparse_complex_numIfES1_IdES3_S3_EEvbT_PKS4_PjPKT0_NS_24const_host_device_scalarIT4_EES6_SA_PKT1_PKT2_SD_PT3_21rocsparse_index_base_b.has_indirect_call, 0
	.section	.AMDGPU.csdata,"",@progbits
; Kernel info:
; codeLenInByte = 6860
; TotalNumSgprs: 50
; NumVgprs: 50
; ScratchSize: 0
; MemoryBound: 0
; FloatMode: 240
; IeeeMode: 1
; LDSByteSize: 16384 bytes/workgroup (compile time only)
; SGPRBlocks: 0
; VGPRBlocks: 6
; NumSGPRsForWavesPerEU: 50
; NumVGPRsForWavesPerEU: 50
; Occupancy: 16
; WaveLimiterHint : 1
; COMPUTE_PGM_RSRC2:SCRATCH_EN: 0
; COMPUTE_PGM_RSRC2:USER_SGPR: 2
; COMPUTE_PGM_RSRC2:TRAP_HANDLER: 0
; COMPUTE_PGM_RSRC2:TGID_X_EN: 1
; COMPUTE_PGM_RSRC2:TGID_Y_EN: 0
; COMPUTE_PGM_RSRC2:TGID_Z_EN: 0
; COMPUTE_PGM_RSRC2:TIDIG_COMP_CNT: 0
	.section	.text._ZN9rocsparseL27csrmvn_symm_adaptive_kernelIll21rocsparse_complex_numIfES1_IdES3_S3_EEvbT_S4_PKS4_NS_24const_host_device_scalarIT4_EES6_PKT0_PKT1_PKT2_S9_PT3_21rocsparse_index_base_b,"axG",@progbits,_ZN9rocsparseL27csrmvn_symm_adaptive_kernelIll21rocsparse_complex_numIfES1_IdES3_S3_EEvbT_S4_PKS4_NS_24const_host_device_scalarIT4_EES6_PKT0_PKT1_PKT2_S9_PT3_21rocsparse_index_base_b,comdat
	.globl	_ZN9rocsparseL27csrmvn_symm_adaptive_kernelIll21rocsparse_complex_numIfES1_IdES3_S3_EEvbT_S4_PKS4_NS_24const_host_device_scalarIT4_EES6_PKT0_PKT1_PKT2_S9_PT3_21rocsparse_index_base_b ; -- Begin function _ZN9rocsparseL27csrmvn_symm_adaptive_kernelIll21rocsparse_complex_numIfES1_IdES3_S3_EEvbT_S4_PKS4_NS_24const_host_device_scalarIT4_EES6_PKT0_PKT1_PKT2_S9_PT3_21rocsparse_index_base_b
	.p2align	8
	.type	_ZN9rocsparseL27csrmvn_symm_adaptive_kernelIll21rocsparse_complex_numIfES1_IdES3_S3_EEvbT_S4_PKS4_NS_24const_host_device_scalarIT4_EES6_PKT0_PKT1_PKT2_S9_PT3_21rocsparse_index_base_b,@function
_ZN9rocsparseL27csrmvn_symm_adaptive_kernelIll21rocsparse_complex_numIfES1_IdES3_S3_EEvbT_S4_PKS4_NS_24const_host_device_scalarIT4_EES6_PKT0_PKT1_PKT2_S9_PT3_21rocsparse_index_base_b: ; @_ZN9rocsparseL27csrmvn_symm_adaptive_kernelIll21rocsparse_complex_numIfES1_IdES3_S3_EEvbT_S4_PKS4_NS_24const_host_device_scalarIT4_EES6_PKT0_PKT1_PKT2_S9_PT3_21rocsparse_index_base_b
; %bb.0:
	s_clause 0x1
	s_load_b64 s[24:25], s[0:1], 0x68
	s_load_b64 s[4:5], s[0:1], 0x20
	s_add_nc_u64 s[6:7], s[0:1], 32
	s_wait_kmcnt 0x0
	s_bitcmp1_b32 s25, 0
	s_cselect_b32 s3, -1, 0
	s_delay_alu instid0(SALU_CYCLE_1) | instskip(SKIP_2) | instid1(SALU_CYCLE_1)
	s_and_b32 s2, s3, exec_lo
	s_cselect_b32 s2, s6, s4
	s_cselect_b32 s4, s7, s5
	v_dual_mov_b32 v1, s2 :: v_dual_mov_b32 v2, s4
	flat_load_b128 v[2:5], v[1:2]
	s_wait_loadcnt_dscnt 0x0
	v_cmp_eq_f64_e32 vcc_lo, 0, v[2:3]
	v_cmp_eq_f64_e64 s2, 0, v[4:5]
	s_and_b32 s5, vcc_lo, s2
	s_mov_b32 s2, -1
	s_wait_alu 0xfffe
	s_and_saveexec_b32 s4, s5
	s_cbranch_execz .LBB116_2
; %bb.1:
	s_load_b64 s[6:7], s[0:1], 0x50
	s_add_nc_u64 s[8:9], s[0:1], 0x50
	s_and_b32 s2, s3, exec_lo
	s_wait_kmcnt 0x0
	s_cselect_b32 s2, s8, s6
	s_cselect_b32 s3, s9, s7
	s_wait_alu 0xfffe
	v_dual_mov_b32 v6, s2 :: v_dual_mov_b32 v7, s3
	flat_load_b128 v[6:9], v[6:7]
	s_wait_loadcnt_dscnt 0x0
	v_cmp_neq_f64_e32 vcc_lo, 1.0, v[6:7]
	v_cmp_neq_f64_e64 s2, 0, v[8:9]
	s_or_b32 s2, vcc_lo, s2
	s_wait_alu 0xfffe
	s_or_not1_b32 s2, s2, exec_lo
.LBB116_2:
	s_wait_alu 0xfffe
	s_or_b32 exec_lo, exec_lo, s4
	s_and_saveexec_b32 s3, s2
	s_cbranch_execz .LBB116_199
; %bb.3:
	s_clause 0x1
	s_load_b32 s3, s[0:1], 0x0
	s_load_b64 s[8:9], s[0:1], 0x18
	s_mov_b32 s25, 0
	s_mov_b32 s2, ttmp9
	s_mov_b32 s7, s25
	s_mov_b32 s4, s25
	;; [unrolled: 1-line block ×4, first 2 shown]
	v_dual_mov_b32 v9, s7 :: v_dual_lshlrev_b32 v26, 4, v0
	s_wait_alu 0xfffe
	v_dual_mov_b32 v8, s6 :: v_dual_mov_b32 v7, s5
	v_mov_b32_e32 v6, s4
	ds_store_b128 v26, v[6:9]
	ds_store_b128 v26, v[6:9] offset:4096
	ds_store_b128 v26, v[6:9] offset:8192
	;; [unrolled: 1-line block ×3, first 2 shown]
	s_wait_dscnt 0x0
	s_barrier_signal -1
	s_wait_kmcnt 0x0
	s_bitcmp1_b32 s3, 0
	s_barrier_wait -1
	s_cselect_b32 s33, -1, 0
	s_ashr_i32 s3, ttmp9, 31
	global_inv scope:SCOPE_SE
	s_wait_alu 0xfffe
	s_lshl_b64 s[2:3], s[2:3], 3
	s_wait_alu 0xfffe
	s_add_nc_u64 s[2:3], s[8:9], s[2:3]
	s_load_b128 s[16:19], s[2:3], 0x0
	s_clause 0x1
	s_load_b64 s[20:21], s[0:1], 0x60
	s_load_b256 s[8:15], s[0:1], 0x30
	s_wait_kmcnt 0x0
	s_sub_nc_u64 s[22:23], s[18:19], s[16:17]
	s_delay_alu instid0(SALU_CYCLE_1)
	v_cmp_gt_i64_e64 s2, s[22:23], 2
	s_and_b32 vcc_lo, exec_lo, s2
	s_mov_b32 s2, -1
	s_cbranch_vccnz .LBB116_47
; %bb.4:
	v_cmp_le_i64_e64 s2, s[18:19], s[16:17]
	v_sub_co_u32 v1, s3, v0, s24
	v_mov_b32_e32 v17, 0
	s_wait_alu 0xf1ff
	v_sub_co_ci_u32_e64 v16, null, 0, 0, s3
	s_wait_alu 0xfffe
	s_and_b32 vcc_lo, exec_lo, s2
	s_cbranch_vccnz .LBB116_34
; %bb.5:
	v_cmp_gt_u32_e64 s2, 0x100, v0
	v_cmp_gt_u32_e64 s3, 64, v0
	;; [unrolled: 1-line block ×4, first 2 shown]
	v_cmp_eq_u32_e64 s6, 0, v0
	s_add_nc_u64 s[26:27], s[12:13], 4
	s_mov_b64 s[28:29], s[16:17]
	s_branch .LBB116_7
.LBB116_6:                              ;   in Loop: Header=BB116_7 Depth=1
	s_wait_alu 0xfffe
	s_or_b32 exec_lo, exec_lo, s7
	s_add_nc_u64 s[28:29], s[28:29], 1
	s_wait_alu 0xfffe
	v_cmp_ge_i64_e64 s7, s[28:29], s[18:19]
	s_and_b32 vcc_lo, exec_lo, s7
	s_wait_alu 0xfffe
	s_cbranch_vccnz .LBB116_34
.LBB116_7:                              ; =>This Loop Header: Depth=1
                                        ;     Child Loop BB116_9 Depth 2
                                        ;     Child Loop BB116_23 Depth 2
	;; [unrolled: 1-line block ×5, first 2 shown]
	s_lshl_b64 s[30:31], s[28:29], 3
	v_mov_b32_e32 v8, 0
	s_wait_alu 0xfffe
	s_add_nc_u64 s[30:31], s[8:9], s[30:31]
	v_dual_mov_b32 v9, 0 :: v_dual_mov_b32 v6, 0
	s_load_b128 s[36:39], s[30:31], 0x0
	v_mov_b32_e32 v7, 0
	s_mov_b32 s34, exec_lo
	s_wait_kmcnt 0x0
	v_add_co_u32 v10, vcc_lo, s36, v1
	s_wait_alu 0xfffd
	v_add_co_ci_u32_e64 v11, null, s37, v16, vcc_lo
	s_sub_nc_u64 s[30:31], s[38:39], s[24:25]
	s_wait_alu 0xfffe
	v_cmpx_gt_i64_e64 s[30:31], v[10:11]
	s_cbranch_execz .LBB116_11
; %bb.8:                                ;   in Loop: Header=BB116_7 Depth=1
	v_lshlrev_b64_e32 v[6:7], 3, v[10:11]
	v_mov_b32_e32 v8, 0
	v_mov_b32_e32 v9, 0
	s_mov_b32 s35, 0
	s_delay_alu instid0(VALU_DEP_3)
	v_add_co_u32 v12, vcc_lo, s10, v6
	s_wait_alu 0xfffd
	v_add_co_ci_u32_e64 v13, null, s11, v7, vcc_lo
	v_add_co_u32 v14, vcc_lo, s26, v6
	s_wait_alu 0xfffd
	v_add_co_ci_u32_e64 v15, null, s27, v7, vcc_lo
	v_dual_mov_b32 v6, v8 :: v_dual_mov_b32 v7, v9
.LBB116_9:                              ;   Parent Loop BB116_7 Depth=1
                                        ; =>  This Inner Loop Header: Depth=2
	global_load_b64 v[18:19], v[12:13], off
	global_load_b64 v[22:23], v[14:15], off offset:-4
	v_add_co_u32 v14, s7, 0x800, v14
	s_wait_alu 0xf1ff
	v_add_co_ci_u32_e64 v15, null, 0, v15, s7
	s_wait_loadcnt 0x1
	v_sub_co_u32 v18, vcc_lo, v18, s24
	s_wait_alu 0xfffd
	v_subrev_co_ci_u32_e64 v19, null, 0, v19, vcc_lo
	s_wait_loadcnt 0x0
	v_cndmask_b32_e64 v24, v23, -v23, s33
	v_cvt_f64_f32_e32 v[22:23], v22
	s_delay_alu instid0(VALU_DEP_3) | instskip(NEXT) | instid1(VALU_DEP_3)
	v_lshlrev_b64_e32 v[18:19], 4, v[18:19]
	v_cvt_f64_f32_e32 v[24:25], v24
	s_delay_alu instid0(VALU_DEP_2) | instskip(SKIP_1) | instid1(VALU_DEP_3)
	v_add_co_u32 v18, vcc_lo, s14, v18
	s_wait_alu 0xfffd
	v_add_co_ci_u32_e64 v19, null, s15, v19, vcc_lo
	v_add_co_u32 v10, vcc_lo, 0x100, v10
	s_wait_alu 0xfffd
	v_add_co_ci_u32_e64 v11, null, 0, v11, vcc_lo
	global_load_b128 v[18:21], v[18:19], off
	v_add_co_u32 v12, vcc_lo, 0x800, v12
	s_wait_alu 0xfffd
	v_add_co_ci_u32_e64 v13, null, 0, v13, vcc_lo
	v_cmp_le_i64_e32 vcc_lo, s[30:31], v[10:11]
	s_wait_alu 0xfffe
	s_or_b32 s35, vcc_lo, s35
	s_wait_loadcnt 0x0
	v_fma_f64 v[6:7], v[22:23], v[18:19], v[6:7]
	v_fma_f64 v[8:9], v[24:25], v[18:19], v[8:9]
	s_delay_alu instid0(VALU_DEP_2) | instskip(NEXT) | instid1(VALU_DEP_2)
	v_fma_f64 v[6:7], -v[24:25], v[20:21], v[6:7]
	v_fma_f64 v[8:9], v[22:23], v[20:21], v[8:9]
	s_wait_alu 0xfffe
	s_and_not1_b32 exec_lo, exec_lo, s35
	s_cbranch_execnz .LBB116_9
; %bb.10:                               ;   in Loop: Header=BB116_7 Depth=1
	s_or_b32 exec_lo, exec_lo, s35
.LBB116_11:                             ;   in Loop: Header=BB116_7 Depth=1
	s_delay_alu instid0(SALU_CYCLE_1)
	s_or_b32 exec_lo, exec_lo, s34
	ds_store_b128 v26, v[6:9]
	s_wait_loadcnt_dscnt 0x0
	s_barrier_signal -1
	s_barrier_wait -1
	global_inv scope:SCOPE_SE
	s_and_saveexec_b32 s7, s2
	s_cbranch_execz .LBB116_13
; %bb.12:                               ;   in Loop: Header=BB116_7 Depth=1
	ds_load_b128 v[6:9], v26 offset:4096
	ds_load_b128 v[10:13], v26 offset:8192
	ds_load_b128 v[18:21], v26 offset:12288
	ds_load_b128 v[22:25], v26
	s_wait_dscnt 0x2
	v_add_f64_e32 v[6:7], v[10:11], v[6:7]
	v_add_f64_e32 v[8:9], v[12:13], v[8:9]
	s_wait_dscnt 0x1
	s_delay_alu instid0(VALU_DEP_2) | instskip(NEXT) | instid1(VALU_DEP_2)
	v_add_f64_e32 v[6:7], v[6:7], v[18:19]
	v_add_f64_e32 v[8:9], v[8:9], v[20:21]
	s_wait_dscnt 0x0
	s_delay_alu instid0(VALU_DEP_2) | instskip(NEXT) | instid1(VALU_DEP_2)
	v_add_f64_e32 v[6:7], v[6:7], v[22:23]
	v_add_f64_e32 v[8:9], v[8:9], v[24:25]
	ds_store_b128 v26, v[6:9]
.LBB116_13:                             ;   in Loop: Header=BB116_7 Depth=1
	s_wait_alu 0xfffe
	s_or_b32 exec_lo, exec_lo, s7
	s_wait_loadcnt_dscnt 0x0
	s_barrier_signal -1
	s_barrier_wait -1
	global_inv scope:SCOPE_SE
	s_and_saveexec_b32 s7, s3
	s_cbranch_execz .LBB116_15
; %bb.14:                               ;   in Loop: Header=BB116_7 Depth=1
	ds_load_b128 v[6:9], v26 offset:1024
	ds_load_b128 v[10:13], v26 offset:2048
	ds_load_b128 v[18:21], v26 offset:3072
	ds_load_b128 v[22:25], v26
	s_wait_dscnt 0x2
	v_add_f64_e32 v[6:7], v[10:11], v[6:7]
	v_add_f64_e32 v[8:9], v[12:13], v[8:9]
	s_wait_dscnt 0x1
	s_delay_alu instid0(VALU_DEP_2) | instskip(NEXT) | instid1(VALU_DEP_2)
	v_add_f64_e32 v[6:7], v[6:7], v[18:19]
	v_add_f64_e32 v[8:9], v[8:9], v[20:21]
	s_wait_dscnt 0x0
	s_delay_alu instid0(VALU_DEP_2) | instskip(NEXT) | instid1(VALU_DEP_2)
	v_add_f64_e32 v[6:7], v[6:7], v[22:23]
	v_add_f64_e32 v[8:9], v[8:9], v[24:25]
	ds_store_b128 v26, v[6:9]
.LBB116_15:                             ;   in Loop: Header=BB116_7 Depth=1
	s_wait_alu 0xfffe
	s_or_b32 exec_lo, exec_lo, s7
	;; [unrolled: 26-line block ×5, first 2 shown]
	s_wait_loadcnt_dscnt 0x0
	s_barrier_signal -1
	s_barrier_wait -1
	global_inv scope:SCOPE_SE
	s_and_saveexec_b32 s7, s6
	s_cbranch_execz .LBB116_6
; %bb.22:                               ;   in Loop: Header=BB116_7 Depth=1
	ds_load_b128 v[6:9], v17
	v_mov_b32_e32 v14, 0
	v_bfrev_b32_e32 v15, 1
	s_mov_b32 s30, exec_lo
	s_wait_dscnt 0x0
	v_mul_f64_e64 v[10:11], v[8:9], -v[4:5]
	s_delay_alu instid0(VALU_DEP_1)
	v_fma_f64 v[10:11], v[2:3], v[6:7], v[10:11]
.LBB116_23:                             ;   Parent Loop BB116_7 Depth=1
                                        ; =>  This Inner Loop Header: Depth=2
	s_wait_alu 0xfffe
	s_ctz_i32_b32 s31, s30
	s_wait_alu 0xfffe
	s_delay_alu instid0(VALU_DEP_1) | instskip(NEXT) | instid1(VALU_DEP_2)
	v_readlane_b32 s35, v11, s31
	v_readlane_b32 s34, v10, s31
	s_lshl_b32 s31, 1, s31
	s_wait_alu 0xfffe
	s_and_not1_b32 s30, s30, s31
	v_add_f64_e32 v[14:15], s[34:35], v[14:15]
	s_wait_alu 0xfffe
	s_cmp_lg_u32 s30, 0
	s_cbranch_scc1 .LBB116_23
; %bb.24:                               ;   in Loop: Header=BB116_7 Depth=1
	v_mbcnt_lo_u32_b32 v10, exec_lo, 0
	s_lshl_b64 s[30:31], s[28:29], 4
	s_mov_b32 s34, exec_lo
	s_wait_alu 0xfffe
	s_add_nc_u64 s[30:31], s[20:21], s[30:31]
	v_cmpx_eq_u32_e32 0, v10
	s_xor_b32 s34, exec_lo, s34
	s_cbranch_execz .LBB116_28
; %bb.25:                               ;   in Loop: Header=BB116_7 Depth=1
	global_load_b64 v[12:13], v17, s[30:31]
	s_mov_b32 s35, 0
.LBB116_26:                             ;   Parent Loop BB116_7 Depth=1
                                        ; =>  This Inner Loop Header: Depth=2
	s_wait_loadcnt 0x0
	v_add_f64_e32 v[10:11], v[12:13], v[14:15]
	global_atomic_cmpswap_b64 v[10:11], v17, v[10:13], s[30:31] th:TH_ATOMIC_RETURN scope:SCOPE_DEV
	s_wait_loadcnt 0x0
	v_cmp_eq_u64_e32 vcc_lo, v[10:11], v[12:13]
	v_dual_mov_b32 v13, v11 :: v_dual_mov_b32 v12, v10
	s_wait_alu 0xfffe
	s_or_b32 s35, vcc_lo, s35
	s_wait_alu 0xfffe
	s_and_not1_b32 exec_lo, exec_lo, s35
	s_cbranch_execnz .LBB116_26
; %bb.27:                               ;   in Loop: Header=BB116_7 Depth=1
	s_or_b32 exec_lo, exec_lo, s35
.LBB116_28:                             ;   in Loop: Header=BB116_7 Depth=1
	s_wait_alu 0xfffe
	s_or_b32 exec_lo, exec_lo, s34
	v_mul_f64_e32 v[8:9], v[2:3], v[8:9]
	v_mov_b32_e32 v10, 0
	v_bfrev_b32_e32 v11, 1
	s_mov_b32 s34, exec_lo
	s_delay_alu instid0(VALU_DEP_3)
	v_fma_f64 v[6:7], v[4:5], v[6:7], v[8:9]
.LBB116_29:                             ;   Parent Loop BB116_7 Depth=1
                                        ; =>  This Inner Loop Header: Depth=2
	s_wait_alu 0xfffe
	s_ctz_i32_b32 s35, s34
	s_wait_alu 0xfffe
	s_delay_alu instid0(VALU_DEP_1) | instskip(NEXT) | instid1(VALU_DEP_2)
	v_readlane_b32 s37, v7, s35
	v_readlane_b32 s36, v6, s35
	s_lshl_b32 s35, 1, s35
	s_wait_alu 0xfffe
	s_and_not1_b32 s34, s34, s35
	v_add_f64_e32 v[10:11], s[36:37], v[10:11]
	s_wait_alu 0xfffe
	s_cmp_lg_u32 s34, 0
	s_cbranch_scc1 .LBB116_29
; %bb.30:                               ;   in Loop: Header=BB116_7 Depth=1
	v_mbcnt_lo_u32_b32 v6, exec_lo, 0
	s_mov_b32 s34, exec_lo
	s_delay_alu instid0(VALU_DEP_1)
	v_cmpx_eq_u32_e32 0, v6
	s_wait_alu 0xfffe
	s_xor_b32 s34, exec_lo, s34
	s_cbranch_execz .LBB116_6
; %bb.31:                               ;   in Loop: Header=BB116_7 Depth=1
	global_load_b64 v[8:9], v17, s[30:31] offset:8
	s_mov_b32 s34, 0
.LBB116_32:                             ;   Parent Loop BB116_7 Depth=1
                                        ; =>  This Inner Loop Header: Depth=2
	s_wait_loadcnt 0x0
	v_add_f64_e32 v[6:7], v[8:9], v[10:11]
	global_atomic_cmpswap_b64 v[6:7], v17, v[6:9], s[30:31] offset:8 th:TH_ATOMIC_RETURN scope:SCOPE_DEV
	s_wait_loadcnt 0x0
	v_cmp_eq_u64_e32 vcc_lo, v[6:7], v[8:9]
	v_dual_mov_b32 v9, v7 :: v_dual_mov_b32 v8, v6
	s_wait_alu 0xfffe
	s_or_b32 s34, vcc_lo, s34
	s_wait_alu 0xfffe
	s_and_not1_b32 exec_lo, exec_lo, s34
	s_cbranch_execnz .LBB116_32
; %bb.33:                               ;   in Loop: Header=BB116_7 Depth=1
	s_or_b32 exec_lo, exec_lo, s34
	s_branch .LBB116_6
.LBB116_34:
	s_lshl_b64 s[2:3], s[16:17], 3
	s_lshl_b64 s[4:5], s[18:19], 3
	s_wait_alu 0xfffe
	s_add_nc_u64 s[2:3], s[8:9], s[2:3]
	s_add_nc_u64 s[4:5], s[8:9], s[4:5]
	s_clause 0x1
	s_load_b64 s[2:3], s[2:3], 0x0
	s_load_b64 s[4:5], s[4:5], 0x0
	s_wait_kmcnt 0x0
	v_add_co_u32 v14, vcc_lo, s2, v1
	s_wait_alu 0xfffd
	v_add_co_ci_u32_e64 v15, null, s3, v16, vcc_lo
	s_sub_nc_u64 s[4:5], s[4:5], s[24:25]
	s_mov_b32 s3, exec_lo
	s_wait_alu 0xfffe
	v_cmpx_gt_i64_e64 s[4:5], v[14:15]
	s_cbranch_execz .LBB116_46
; %bb.35:
	s_add_nc_u64 s[6:7], s[18:19], -1
	s_add_nc_u64 s[26:27], s[18:19], -2
	s_wait_alu 0xfffe
	v_cmp_lt_i64_e64 s2, s[16:17], s[6:7]
	s_cmp_lg_u64 s[16:17], s[26:27]
	s_mov_b32 s26, 0
	s_cselect_b32 s25, -1, 0
	s_wait_alu 0xfffe
	s_and_b32 s25, s2, s25
	s_branch .LBB116_37
.LBB116_36:                             ;   in Loop: Header=BB116_37 Depth=1
	s_wait_alu 0xfffe
	s_or_b32 exec_lo, exec_lo, s2
	v_add_co_u32 v14, vcc_lo, 0x100, v14
	s_wait_alu 0xfffd
	v_add_co_ci_u32_e64 v15, null, 0, v15, vcc_lo
	s_delay_alu instid0(VALU_DEP_1)
	v_cmp_le_i64_e32 vcc_lo, s[4:5], v[14:15]
	s_or_b32 s26, vcc_lo, s26
	s_wait_alu 0xfffe
	s_and_not1_b32 exec_lo, exec_lo, s26
	s_cbranch_execz .LBB116_46
.LBB116_37:                             ; =>This Loop Header: Depth=1
                                        ;     Child Loop BB116_39 Depth 2
                                        ;     Child Loop BB116_43 Depth 2
	;; [unrolled: 1-line block ×3, first 2 shown]
	v_dual_mov_b32 v6, s16 :: v_dual_mov_b32 v7, s17
	v_dual_mov_b32 v9, s7 :: v_dual_mov_b32 v8, s6
	s_wait_alu 0xfffe
	s_and_not1_b32 vcc_lo, exec_lo, s25
	s_wait_alu 0xfffe
	s_cbranch_vccnz .LBB116_41
; %bb.38:                               ;   in Loop: Header=BB116_37 Depth=1
	v_dual_mov_b32 v6, s16 :: v_dual_mov_b32 v7, s17
	v_dual_mov_b32 v9, s7 :: v_dual_mov_b32 v8, s6
	s_mov_b32 s27, 0
.LBB116_39:                             ;   Parent Loop BB116_37 Depth=1
                                        ; =>  This Inner Loop Header: Depth=2
	s_delay_alu instid0(VALU_DEP_1) | instskip(SKIP_1) | instid1(VALU_DEP_2)
	v_add_co_u32 v1, vcc_lo, v8, v6
	s_wait_alu 0xfffd
	v_add_co_ci_u32_e64 v11, null, v9, v7, vcc_lo
	s_delay_alu instid0(VALU_DEP_1) | instskip(NEXT) | instid1(VALU_DEP_1)
	v_lshrrev_b32_e32 v10, 31, v11
	v_add_co_u32 v10, vcc_lo, v1, v10
	s_wait_alu 0xfffd
	v_add_co_ci_u32_e64 v11, null, 0, v11, vcc_lo
	s_delay_alu instid0(VALU_DEP_1) | instskip(NEXT) | instid1(VALU_DEP_1)
	v_ashrrev_i64 v[10:11], 1, v[10:11]
	v_lshlrev_b64_e32 v[12:13], 3, v[10:11]
	s_delay_alu instid0(VALU_DEP_1) | instskip(SKIP_1) | instid1(VALU_DEP_2)
	v_add_co_u32 v12, vcc_lo, s8, v12
	s_wait_alu 0xfffd
	v_add_co_ci_u32_e64 v13, null, s9, v13, vcc_lo
	global_load_b64 v[12:13], v[12:13], off
	s_wait_loadcnt 0x0
	v_sub_co_u32 v12, vcc_lo, v12, s24
	s_wait_alu 0xfffd
	v_subrev_co_ci_u32_e64 v13, null, 0, v13, vcc_lo
	s_delay_alu instid0(VALU_DEP_1) | instskip(SKIP_3) | instid1(VALU_DEP_2)
	v_cmp_lt_i64_e32 vcc_lo, v[14:15], v[12:13]
	s_wait_alu 0xfffd
	v_dual_cndmask_b32 v9, v9, v11 :: v_dual_cndmask_b32 v8, v8, v10
	v_dual_cndmask_b32 v7, v11, v7 :: v_dual_cndmask_b32 v6, v10, v6
	v_add_co_u32 v10, vcc_lo, v8, -1
	s_wait_alu 0xfffd
	s_delay_alu instid0(VALU_DEP_3) | instskip(NEXT) | instid1(VALU_DEP_3)
	v_add_co_ci_u32_e64 v11, null, -1, v9, vcc_lo
	v_cmp_ge_i64_e32 vcc_lo, v[6:7], v[8:9]
	s_delay_alu instid0(VALU_DEP_2)
	v_cmp_eq_u64_e64 s2, v[6:7], v[10:11]
	s_or_b32 s2, vcc_lo, s2
	s_wait_alu 0xfffe
	s_and_b32 s2, exec_lo, s2
	s_wait_alu 0xfffe
	s_or_b32 s27, s2, s27
	s_wait_alu 0xfffe
	s_and_not1_b32 exec_lo, exec_lo, s27
	s_cbranch_execnz .LBB116_39
; %bb.40:                               ;   in Loop: Header=BB116_37 Depth=1
	s_or_b32 exec_lo, exec_lo, s27
.LBB116_41:                             ;   in Loop: Header=BB116_37 Depth=1
	v_lshlrev_b64_e32 v[10:11], 3, v[8:9]
	v_lshlrev_b64_e32 v[12:13], 3, v[14:15]
	s_mov_b32 s2, exec_lo
	s_delay_alu instid0(VALU_DEP_2) | instskip(SKIP_1) | instid1(VALU_DEP_3)
	v_add_co_u32 v10, vcc_lo, s8, v10
	s_wait_alu 0xfffd
	v_add_co_ci_u32_e64 v11, null, s9, v11, vcc_lo
	s_delay_alu instid0(VALU_DEP_3)
	v_add_co_u32 v16, vcc_lo, s10, v12
	s_wait_alu 0xfffd
	v_add_co_ci_u32_e64 v17, null, s11, v13, vcc_lo
	global_load_b64 v[10:11], v[10:11], off
	global_load_b64 v[16:17], v[16:17], off
	s_wait_loadcnt 0x1
	v_sub_co_u32 v10, vcc_lo, v10, s24
	s_wait_alu 0xfffd
	v_subrev_co_ci_u32_e64 v11, null, 0, v11, vcc_lo
	s_delay_alu instid0(VALU_DEP_1)
	v_cmp_lt_i64_e32 vcc_lo, v[14:15], v[10:11]
	s_wait_alu 0xfffd
	v_dual_cndmask_b32 v7, v9, v7 :: v_dual_cndmask_b32 v6, v8, v6
	s_wait_loadcnt 0x0
	v_sub_co_u32 v10, vcc_lo, v16, s24
	s_wait_alu 0xfffd
	v_subrev_co_ci_u32_e64 v11, null, 0, v17, vcc_lo
	s_delay_alu instid0(VALU_DEP_1)
	v_cmpx_ne_u64_e64 v[10:11], v[6:7]
	s_cbranch_execz .LBB116_36
; %bb.42:                               ;   in Loop: Header=BB116_37 Depth=1
	v_add_co_u32 v8, vcc_lo, s12, v12
	s_wait_alu 0xfffd
	v_add_co_ci_u32_e64 v9, null, s13, v13, vcc_lo
	v_lshlrev_b64_e32 v[6:7], 4, v[6:7]
	v_lshlrev_b64_e32 v[10:11], 4, v[10:11]
	s_mov_b32 s27, 0
	global_load_b64 v[18:19], v[8:9], off
	v_add_co_u32 v6, vcc_lo, s14, v6
	s_wait_alu 0xfffd
	v_add_co_ci_u32_e64 v7, null, s15, v7, vcc_lo
	v_add_co_u32 v16, vcc_lo, s20, v10
	s_wait_alu 0xfffd
	v_add_co_ci_u32_e64 v17, null, s21, v11, vcc_lo
	global_load_b128 v[6:9], v[6:7], off
	global_load_b64 v[12:13], v[16:17], off
	s_wait_loadcnt 0x2
	v_cndmask_b32_e64 v1, v19, -v19, s33
	v_cvt_f64_f32_e32 v[20:21], v18
	s_delay_alu instid0(VALU_DEP_2) | instskip(NEXT) | instid1(VALU_DEP_1)
	v_cvt_f64_f32_e32 v[10:11], v1
	v_mul_f64_e32 v[18:19], v[2:3], v[10:11]
	v_mul_f64_e64 v[10:11], -v[4:5], v[10:11]
	s_delay_alu instid0(VALU_DEP_2) | instskip(NEXT) | instid1(VALU_DEP_2)
	v_fma_f64 v[18:19], v[4:5], v[20:21], v[18:19]
	v_fma_f64 v[20:21], v[2:3], v[20:21], v[10:11]
	s_wait_loadcnt 0x1
	s_delay_alu instid0(VALU_DEP_2) | instskip(NEXT) | instid1(VALU_DEP_1)
	v_mul_f64_e64 v[10:11], v[8:9], -v[18:19]
	v_fma_f64 v[22:23], v[20:21], v[6:7], v[10:11]
.LBB116_43:                             ;   Parent Loop BB116_37 Depth=1
                                        ; =>  This Inner Loop Header: Depth=2
	s_wait_loadcnt 0x0
	s_delay_alu instid0(VALU_DEP_1)
	v_add_f64_e32 v[10:11], v[12:13], v[22:23]
	global_atomic_cmpswap_b64 v[10:11], v[16:17], v[10:13], off th:TH_ATOMIC_RETURN scope:SCOPE_DEV
	s_wait_loadcnt 0x0
	v_cmp_eq_u64_e32 vcc_lo, v[10:11], v[12:13]
	v_dual_mov_b32 v13, v11 :: v_dual_mov_b32 v12, v10
	s_wait_alu 0xfffe
	s_or_b32 s27, vcc_lo, s27
	s_wait_alu 0xfffe
	s_and_not1_b32 exec_lo, exec_lo, s27
	s_cbranch_execnz .LBB116_43
; %bb.44:                               ;   in Loop: Header=BB116_37 Depth=1
	s_or_b32 exec_lo, exec_lo, s27
	global_load_b64 v[10:11], v[16:17], off offset:8
	v_mul_f64_e32 v[8:9], v[8:9], v[20:21]
	s_mov_b32 s27, 0
	s_delay_alu instid0(VALU_DEP_1)
	v_fma_f64 v[6:7], v[18:19], v[6:7], v[8:9]
.LBB116_45:                             ;   Parent Loop BB116_37 Depth=1
                                        ; =>  This Inner Loop Header: Depth=2
	s_wait_loadcnt 0x0
	s_delay_alu instid0(VALU_DEP_1)
	v_add_f64_e32 v[8:9], v[10:11], v[6:7]
	global_atomic_cmpswap_b64 v[8:9], v[16:17], v[8:11], off offset:8 th:TH_ATOMIC_RETURN scope:SCOPE_DEV
	s_wait_loadcnt 0x0
	v_cmp_eq_u64_e32 vcc_lo, v[8:9], v[10:11]
	v_dual_mov_b32 v11, v9 :: v_dual_mov_b32 v10, v8
	s_wait_alu 0xfffe
	s_or_b32 s27, vcc_lo, s27
	s_wait_alu 0xfffe
	s_and_not1_b32 exec_lo, exec_lo, s27
	s_cbranch_execnz .LBB116_45
	s_branch .LBB116_36
.LBB116_46:
	s_or_b32 exec_lo, exec_lo, s3
	s_mov_b32 s2, 0
.LBB116_47:
	s_wait_alu 0xfffe
	s_and_b32 vcc_lo, exec_lo, s2
	s_wait_alu 0xfffe
	s_cbranch_vccz .LBB116_199
; %bb.48:
	s_load_b32 s2, s[0:1], 0x7c
	s_mov_b32 s25, 0
	s_mov_b64 s[28:29], 0
	s_wait_alu 0xfffe
	s_mov_b32 s7, s25
	s_wait_kmcnt 0x0
	s_and_b32 s6, s2, 0xffff
	s_wait_alu 0xfffe
	v_cmp_lt_u64_e64 s2, s[6:7], s[22:23]
	s_and_b32 vcc_lo, exec_lo, s2
	s_wait_alu 0xfffe
	s_cbranch_vccnz .LBB116_50
; %bb.49:
	v_cvt_f32_u32_e32 v1, s22
	s_sub_co_i32 s3, 0, s22
	s_delay_alu instid0(VALU_DEP_1) | instskip(NEXT) | instid1(TRANS32_DEP_1)
	v_rcp_iflag_f32_e32 v1, v1
	v_mul_f32_e32 v1, 0x4f7ffffe, v1
	s_delay_alu instid0(VALU_DEP_1) | instskip(NEXT) | instid1(VALU_DEP_1)
	v_cvt_u32_f32_e32 v1, v1
	v_readfirstlane_b32 s2, v1
	s_wait_alu 0xfffe
	s_mul_i32 s3, s3, s2
	s_wait_alu 0xfffe
	s_mul_hi_u32 s3, s2, s3
	s_wait_alu 0xfffe
	s_add_co_i32 s2, s2, s3
	s_wait_alu 0xfffe
	s_mul_hi_u32 s2, s6, s2
	s_wait_alu 0xfffe
	s_mul_i32 s3, s2, s22
	s_add_co_i32 s4, s2, 1
	s_wait_alu 0xfffe
	s_sub_co_i32 s3, s6, s3
	s_wait_alu 0xfffe
	s_sub_co_i32 s5, s3, s22
	s_cmp_ge_u32 s3, s22
	s_cselect_b32 s2, s4, s2
	s_wait_alu 0xfffe
	s_cselect_b32 s3, s5, s3
	s_add_co_i32 s4, s2, 1
	s_wait_alu 0xfffe
	s_cmp_ge_u32 s3, s22
	s_cselect_b32 s28, s4, s2
.LBB116_50:
	s_lshl_b64 s[2:3], s[16:17], 3
	v_sub_co_u32 v1, s7, v0, s24
	s_wait_alu 0xfffe
	s_add_nc_u64 s[26:27], s[8:9], s[2:3]
	s_load_b64 s[4:5], s[26:27], 0x0
	s_load_b128 s[0:3], s[0:1], 0x8
	v_sub_co_ci_u32_e64 v6, null, 0, 0, s7
	s_wait_kmcnt 0x0
	v_add_co_u32 v14, vcc_lo, s4, v1
	s_wait_alu 0xfffd
	s_delay_alu instid0(VALU_DEP_2) | instskip(SKIP_1) | instid1(VALU_DEP_3)
	v_add_co_ci_u32_e64 v15, null, s5, v6, vcc_lo
	v_mov_b32_e32 v1, 0
	v_add_co_u32 v16, vcc_lo, 0x300, v14
	s_wait_alu 0xfffd
	s_delay_alu instid0(VALU_DEP_3) | instskip(NEXT) | instid1(VALU_DEP_1)
	v_add_co_ci_u32_e64 v17, null, 0, v15, vcc_lo
	v_cmp_le_i64_e32 vcc_lo, s[0:1], v[16:17]
	s_and_saveexec_b32 s0, vcc_lo
	s_wait_alu 0xfffe
	s_xor_b32 s7, exec_lo, s0
	s_cbranch_execnz .LBB116_53
; %bb.51:
	s_wait_alu 0xfffe
	s_or_saveexec_b32 s1, s7
	v_lshlrev_b64_e32 v[6:7], 3, v[14:15]
	s_wait_alu 0xfffe
	s_xor_b32 exec_lo, exec_lo, s1
	s_cbranch_execnz .LBB116_57
.LBB116_52:
	s_or_b32 exec_lo, exec_lo, s1
	s_delay_alu instid0(SALU_CYCLE_1)
	s_mov_b32 s1, exec_lo
	v_cmpx_gt_i64_e64 s[2:3], v[0:1]
	s_cbranch_execnz .LBB116_58
	s_branch .LBB116_60
.LBB116_53:
	s_lshl_b64 s[0:1], s[18:19], 3
	s_mov_b32 s29, exec_lo
	s_wait_alu 0xfffe
	s_add_nc_u64 s[0:1], s[8:9], s[0:1]
	s_load_b64 s[0:1], s[0:1], 0x0
	s_wait_kmcnt 0x0
	s_sub_nc_u64 s[30:31], s[0:1], s[4:5]
	s_wait_alu 0xfffe
	v_cmpx_gt_i64_e64 s[30:31], v[0:1]
	s_cbranch_execz .LBB116_56
; %bb.54:
	v_lshlrev_b64_e32 v[6:7], 3, v[14:15]
	v_dual_mov_b32 v10, v26 :: v_dual_mov_b32 v9, v1
	v_mov_b32_e32 v8, v0
	s_mov_b32 s34, 0
	s_delay_alu instid0(VALU_DEP_3) | instskip(SKIP_2) | instid1(VALU_DEP_2)
	v_add_co_u32 v6, s0, s12, v6
	s_wait_alu 0xf1ff
	v_add_co_ci_u32_e64 v7, null, s13, v7, s0
	v_add_co_u32 v6, s0, v6, 4
	s_wait_alu 0xf1ff
	s_delay_alu instid0(VALU_DEP_2)
	v_add_co_ci_u32_e64 v7, null, 0, v7, s0
.LBB116_55:                             ; =>This Inner Loop Header: Depth=1
	global_load_b64 v[11:12], v[6:7], off offset:-4
	v_add_co_u32 v8, s0, 0x100, v8
	s_wait_alu 0xf1ff
	v_add_co_ci_u32_e64 v9, null, 0, v9, s0
	v_add_co_u32 v6, s0, 0x800, v6
	s_wait_alu 0xf1ff
	v_add_co_ci_u32_e64 v7, null, 0, v7, s0
	s_delay_alu instid0(VALU_DEP_3)
	v_cmp_le_i64_e64 s1, s[30:31], v[8:9]
	s_wait_alu 0xfffe
	s_or_b32 s34, s1, s34
	s_wait_loadcnt 0x0
	v_cndmask_b32_e64 v12, v12, -v12, s33
	v_cvt_f64_f32_e32 v[20:21], v11
	s_delay_alu instid0(VALU_DEP_2) | instskip(NEXT) | instid1(VALU_DEP_1)
	v_cvt_f64_f32_e32 v[12:13], v12
	v_mul_f64_e64 v[18:19], -v[4:5], v[12:13]
	v_mul_f64_e32 v[11:12], v[2:3], v[12:13]
	s_delay_alu instid0(VALU_DEP_2) | instskip(NEXT) | instid1(VALU_DEP_2)
	v_fma_f64 v[18:19], v[2:3], v[20:21], v[18:19]
	v_fma_f64 v[20:21], v[4:5], v[20:21], v[11:12]
	ds_store_b128 v10, v[18:21]
	v_add_nc_u32_e32 v10, 0x1000, v10
	s_wait_alu 0xfffe
	s_and_not1_b32 exec_lo, exec_lo, s34
	s_cbranch_execnz .LBB116_55
.LBB116_56:
	s_or_b32 exec_lo, exec_lo, s29
                                        ; implicit-def: $vgpr4_vgpr5
	s_or_saveexec_b32 s1, s7
	v_lshlrev_b64_e32 v[6:7], 3, v[14:15]
	s_wait_alu 0xfffe
	s_xor_b32 exec_lo, exec_lo, s1
	s_cbranch_execz .LBB116_52
.LBB116_57:
	s_delay_alu instid0(VALU_DEP_1)
	v_add_co_u32 v8, s0, s12, v6
	s_wait_alu 0xf1ff
	v_add_co_ci_u32_e64 v9, null, s13, v7, s0
	s_clause 0x3
	global_load_b64 v[10:11], v[8:9], off
	global_load_b64 v[12:13], v[8:9], off offset:2048
	global_load_b64 v[18:19], v[8:9], off offset:4096
	;; [unrolled: 1-line block ×3, first 2 shown]
	s_wait_loadcnt 0x3
	v_cndmask_b32_e64 v11, v11, -v11, s33
	s_wait_loadcnt 0x2
	v_cndmask_b32_e64 v13, v13, -v13, s33
	;; [unrolled: 2-line block ×4, first 2 shown]
	v_cvt_f64_f32_e32 v[29:30], v18
	v_cvt_f64_f32_e32 v[19:20], v11
	;; [unrolled: 1-line block ×8, first 2 shown]
	v_mul_f64_e64 v[8:9], -v[4:5], v[19:20]
	v_mul_f64_e32 v[18:19], v[2:3], v[19:20]
	v_mul_f64_e64 v[33:34], -v[4:5], v[21:22]
	v_mul_f64_e32 v[20:21], v[2:3], v[21:22]
	;; [unrolled: 2-line block ×4, first 2 shown]
	v_fma_f64 v[8:9], v[2:3], v[10:11], v[8:9]
	v_fma_f64 v[10:11], v[4:5], v[10:11], v[18:19]
	;; [unrolled: 1-line block ×8, first 2 shown]
	ds_store_b128 v26, v[8:11]
	ds_store_b128 v26, v[18:21] offset:4096
	ds_store_b128 v26, v[22:25] offset:8192
	;; [unrolled: 1-line block ×3, first 2 shown]
	s_or_b32 exec_lo, exec_lo, s1
	s_delay_alu instid0(SALU_CYCLE_1)
	s_mov_b32 s1, exec_lo
	v_cmpx_gt_i64_e64 s[2:3], v[0:1]
	s_cbranch_execz .LBB116_60
.LBB116_58:
	s_mov_b32 s12, 0
	v_lshl_add_u32 v10, v0, 4, 0x4000
	s_wait_alu 0xfffe
	s_mov_b32 s13, s12
	s_mov_b32 s30, s12
	s_mov_b32 s31, s12
	s_wait_alu 0xfffe
	v_dual_mov_b32 v2, s12 :: v_dual_mov_b32 v3, s13
	v_dual_mov_b32 v4, s30 :: v_dual_mov_b32 v5, s31
	;; [unrolled: 1-line block ×3, first 2 shown]
.LBB116_59:                             ; =>This Inner Loop Header: Depth=1
	s_delay_alu instid0(VALU_DEP_1) | instskip(SKIP_1) | instid1(VALU_DEP_2)
	v_add_co_u32 v8, s0, 0x100, v8
	s_wait_alu 0xf1ff
	v_add_co_ci_u32_e64 v9, null, 0, v9, s0
	ds_store_2addr_b64 v10, v[2:3], v[4:5] offset1:1
	v_add_nc_u32_e32 v10, 0x1000, v10
	v_cmp_le_i64_e64 s0, s[2:3], v[8:9]
	s_or_b32 s12, s0, s12
	s_wait_alu 0xfffe
	s_and_not1_b32 exec_lo, exec_lo, s12
	s_cbranch_execnz .LBB116_59
.LBB116_60:
	s_wait_alu 0xfffe
	s_or_b32 exec_lo, exec_lo, s1
	v_cmp_ge_i64_e64 s7, s[18:19], s[2:3]
	s_sub_nc_u64 s[0:1], s[18:19], s[2:3]
	s_wait_loadcnt_dscnt 0x0
	s_barrier_signal -1
	s_barrier_wait -1
	global_inv scope:SCOPE_SE
	s_and_b32 s7, s7, exec_lo
	s_wait_alu 0xfffe
	s_cselect_b32 s13, s1, 0
	s_cselect_b32 s12, s0, 0
	s_and_saveexec_b32 s0, vcc_lo
	s_wait_alu 0xfffe
	s_xor_b32 s7, exec_lo, s0
	s_cbranch_execz .LBB116_85
; %bb.61:
	s_lshl_b64 s[0:1], s[18:19], 3
	s_mov_b32 s29, exec_lo
	s_wait_alu 0xfffe
	s_add_nc_u64 s[0:1], s[8:9], s[0:1]
	s_load_b64 s[0:1], s[0:1], 0x0
	s_wait_kmcnt 0x0
	s_sub_nc_u64 s[30:31], s[0:1], s[4:5]
	s_wait_alu 0xfffe
	v_cmpx_gt_i64_e64 s[30:31], v[0:1]
	s_cbranch_execz .LBB116_84
; %bb.62:
	s_add_nc_u64 s[34:35], s[18:19], -2
	s_sub_nc_u64 s[36:37], s[0:1], s[24:25]
	s_wait_alu 0xfffe
	s_cmp_lg_u64 s[16:17], s[34:35]
	s_add_nc_u64 s[34:35], s[18:19], -1
	s_cselect_b32 s33, -1, 0
	s_mov_b64 s[38:39], 0
	s_mov_b32 s1, 0
	s_branch .LBB116_65
.LBB116_63:                             ;   in Loop: Header=BB116_65 Depth=1
	s_wait_alu 0xfffe
	s_or_b32 exec_lo, exec_lo, s0
.LBB116_64:                             ;   in Loop: Header=BB116_65 Depth=1
	s_delay_alu instid0(SALU_CYCLE_1) | instskip(SKIP_2) | instid1(VALU_DEP_1)
	s_or_b32 exec_lo, exec_lo, s40
	v_lshlrev_b64_e32 v[6:7], 4, v[16:17]
	s_add_nc_u64 s[38:39], s[38:39], 0x100
	v_add_co_u32 v6, vcc_lo, s14, v6
	s_wait_alu 0xfffd
	s_delay_alu instid0(VALU_DEP_2) | instskip(SKIP_4) | instid1(VALU_DEP_2)
	v_add_co_ci_u32_e64 v7, null, s15, v7, vcc_lo
	global_load_b128 v[6:9], v[6:7], off
	s_wait_loadcnt 0x0
	v_mul_f64_e32 v[10:11], v[8:9], v[18:19]
	v_mul_f64_e32 v[8:9], v[8:9], v[2:3]
	v_fma_f64 v[2:3], v[2:3], v[6:7], v[10:11]
	s_delay_alu instid0(VALU_DEP_2) | instskip(SKIP_4) | instid1(VALU_DEP_1)
	v_fma_f64 v[4:5], v[4:5], v[6:7], v[8:9]
	s_wait_alu 0xfffe
	v_add_co_u32 v6, s0, s38, v0
	s_wait_alu 0xf1ff
	v_add_co_ci_u32_e64 v7, null, s39, 0, s0
	v_cmp_le_i64_e32 vcc_lo, s[30:31], v[6:7]
	v_lshlrev_b32_e32 v6, 4, v24
	s_or_b32 s1, vcc_lo, s1
	ds_store_b128 v6, v[2:5]
	s_wait_alu 0xfffe
	s_and_not1_b32 exec_lo, exec_lo, s1
	s_cbranch_execz .LBB116_84
.LBB116_65:                             ; =>This Loop Header: Depth=1
                                        ;     Child Loop BB116_67 Depth 2
                                        ;     Child Loop BB116_74 Depth 2
	;; [unrolled: 1-line block ×5, first 2 shown]
	v_add_co_u32 v2, vcc_lo, s38, v14
	s_wait_alu 0xfffd
	v_add_co_ci_u32_e64 v3, null, s39, v15, vcc_lo
	v_dual_mov_b32 v4, s16 :: v_dual_mov_b32 v5, s17
	s_wait_alu 0xfffe
	v_dual_mov_b32 v6, s34 :: v_dual_mov_b32 v7, s35
	s_and_not1_b32 vcc_lo, exec_lo, s33
	s_wait_alu 0xfffe
	s_cbranch_vccnz .LBB116_69
; %bb.66:                               ;   in Loop: Header=BB116_65 Depth=1
	v_dual_mov_b32 v4, s16 :: v_dual_mov_b32 v5, s17
	v_dual_mov_b32 v6, s34 :: v_dual_mov_b32 v7, s35
	s_mov_b32 s40, 0
.LBB116_67:                             ;   Parent Loop BB116_65 Depth=1
                                        ; =>  This Inner Loop Header: Depth=2
	s_delay_alu instid0(VALU_DEP_1) | instskip(SKIP_1) | instid1(VALU_DEP_2)
	v_add_co_u32 v8, vcc_lo, v6, v4
	s_wait_alu 0xfffd
	v_add_co_ci_u32_e64 v9, null, v7, v5, vcc_lo
	s_delay_alu instid0(VALU_DEP_1) | instskip(NEXT) | instid1(VALU_DEP_1)
	v_lshrrev_b32_e32 v10, 31, v9
	v_add_co_u32 v8, vcc_lo, v8, v10
	s_wait_alu 0xfffd
	v_add_co_ci_u32_e64 v9, null, 0, v9, vcc_lo
	s_delay_alu instid0(VALU_DEP_1) | instskip(NEXT) | instid1(VALU_DEP_1)
	v_ashrrev_i64 v[8:9], 1, v[8:9]
	v_lshlrev_b64_e32 v[10:11], 3, v[8:9]
	s_delay_alu instid0(VALU_DEP_1) | instskip(SKIP_1) | instid1(VALU_DEP_2)
	v_add_co_u32 v10, vcc_lo, s8, v10
	s_wait_alu 0xfffd
	v_add_co_ci_u32_e64 v11, null, s9, v11, vcc_lo
	global_load_b64 v[10:11], v[10:11], off
	s_wait_loadcnt 0x0
	v_sub_co_u32 v10, vcc_lo, v10, s24
	s_wait_alu 0xfffd
	v_subrev_co_ci_u32_e64 v11, null, 0, v11, vcc_lo
	s_delay_alu instid0(VALU_DEP_1) | instskip(SKIP_3) | instid1(VALU_DEP_2)
	v_cmp_lt_i64_e32 vcc_lo, v[2:3], v[10:11]
	s_wait_alu 0xfffd
	v_dual_cndmask_b32 v7, v7, v9 :: v_dual_cndmask_b32 v6, v6, v8
	v_dual_cndmask_b32 v5, v9, v5 :: v_dual_cndmask_b32 v4, v8, v4
	v_add_co_u32 v8, vcc_lo, v6, -1
	s_wait_alu 0xfffd
	s_delay_alu instid0(VALU_DEP_3) | instskip(NEXT) | instid1(VALU_DEP_3)
	v_add_co_ci_u32_e64 v9, null, -1, v7, vcc_lo
	v_cmp_ge_i64_e32 vcc_lo, v[4:5], v[6:7]
	s_delay_alu instid0(VALU_DEP_2)
	v_cmp_eq_u64_e64 s0, v[4:5], v[8:9]
	s_or_b32 s0, vcc_lo, s0
	s_wait_alu 0xfffe
	s_and_b32 s0, exec_lo, s0
	s_wait_alu 0xfffe
	s_or_b32 s40, s0, s40
	s_delay_alu instid0(SALU_CYCLE_1)
	s_and_not1_b32 exec_lo, exec_lo, s40
	s_cbranch_execnz .LBB116_67
; %bb.68:                               ;   in Loop: Header=BB116_65 Depth=1
	s_or_b32 exec_lo, exec_lo, s40
.LBB116_69:                             ;   in Loop: Header=BB116_65 Depth=1
	s_delay_alu instid0(VALU_DEP_1) | instskip(SKIP_2) | instid1(VALU_DEP_3)
	v_lshlrev_b64_e32 v[8:9], 3, v[6:7]
	v_lshlrev_b64_e32 v[10:11], 3, v[2:3]
	v_add_co_u32 v24, null, s38, v0
                                        ; implicit-def: $vgpr18_vgpr19
	v_add_co_u32 v8, vcc_lo, s8, v8
	s_wait_alu 0xfffd
	s_delay_alu instid0(VALU_DEP_4) | instskip(NEXT) | instid1(VALU_DEP_4)
	v_add_co_ci_u32_e64 v9, null, s9, v9, vcc_lo
	v_add_co_u32 v10, vcc_lo, s10, v10
	s_wait_alu 0xfffd
	v_add_co_ci_u32_e64 v11, null, s11, v11, vcc_lo
	global_load_b64 v[8:9], v[8:9], off
	global_load_b64 v[10:11], v[10:11], off
	s_wait_loadcnt 0x1
	v_sub_co_u32 v8, vcc_lo, v8, s24
	s_wait_alu 0xfffd
	v_subrev_co_ci_u32_e64 v9, null, 0, v9, vcc_lo
	s_wait_loadcnt 0x0
	v_sub_co_u32 v16, s0, v10, s24
	s_wait_alu 0xf1ff
	v_subrev_co_ci_u32_e64 v17, null, 0, v11, s0
	v_cmp_lt_i64_e32 vcc_lo, v[2:3], v[8:9]
	v_cmp_le_i64_e64 s0, s[36:37], v[2:3]
	s_wait_alu 0xfffd
	v_dual_cndmask_b32 v7, v7, v5 :: v_dual_lshlrev_b32 v10, 4, v24
	v_cndmask_b32_e32 v6, v6, v4, vcc_lo
                                        ; implicit-def: $vgpr2_vgpr3
	s_delay_alu instid0(VALU_DEP_1) | instskip(SKIP_3) | instid1(SALU_CYCLE_1)
	v_cmp_eq_u64_e32 vcc_lo, v[16:17], v[6:7]
	s_or_b32 s0, vcc_lo, s0
	s_wait_alu 0xfffe
	s_and_saveexec_b32 s40, s0
	s_xor_b32 s0, exec_lo, s40
	s_cbranch_execz .LBB116_71
; %bb.70:                               ;   in Loop: Header=BB116_65 Depth=1
	ds_load_b128 v[2:5], v10
                                        ; implicit-def: $vgpr6_vgpr7
                                        ; implicit-def: $vgpr10
	s_wait_dscnt 0x0
	v_xor_b32_e32 v19, 0x80000000, v5
	v_mov_b32_e32 v18, v4
.LBB116_71:                             ;   in Loop: Header=BB116_65 Depth=1
	s_wait_alu 0xfffe
	s_and_not1_saveexec_b32 s40, s0
	s_cbranch_execz .LBB116_64
; %bb.72:                               ;   in Loop: Header=BB116_65 Depth=1
	v_cmp_gt_i64_e32 vcc_lo, s[12:13], v[16:17]
	v_cmp_le_i64_e64 s0, s[18:19], v[16:17]
	v_lshlrev_b64_e32 v[6:7], 4, v[6:7]
                                        ; implicit-def: $vgpr2_vgpr3
                                        ; implicit-def: $vgpr18_vgpr19
	s_or_b32 s0, vcc_lo, s0
	s_wait_alu 0xfffe
	s_and_saveexec_b32 s41, s0
	s_delay_alu instid0(SALU_CYCLE_1)
	s_xor_b32 s0, exec_lo, s41
	s_cbranch_execz .LBB116_78
; %bb.73:                               ;   in Loop: Header=BB116_65 Depth=1
	v_add_co_u32 v2, vcc_lo, s14, v6
	s_wait_alu 0xfffd
	v_add_co_ci_u32_e64 v3, null, s15, v7, vcc_lo
	s_mov_b32 s41, 0
	global_load_b128 v[6:9], v[2:3], off
	v_lshlrev_b64_e32 v[2:3], 4, v[16:17]
	s_delay_alu instid0(VALU_DEP_1) | instskip(SKIP_1) | instid1(VALU_DEP_2)
	v_add_co_u32 v20, vcc_lo, s20, v2
	s_wait_alu 0xfffd
	v_add_co_ci_u32_e64 v21, null, s21, v3, vcc_lo
	ds_load_b128 v[2:5], v10
	global_load_b64 v[12:13], v[20:21], off
	s_wait_dscnt 0x0
	v_xor_b32_e32 v19, 0x80000000, v5
	v_mov_b32_e32 v18, v4
	s_wait_loadcnt 0x1
	v_mul_f64_e64 v[10:11], v[8:9], -v[4:5]
	s_delay_alu instid0(VALU_DEP_1)
	v_fma_f64 v[22:23], v[2:3], v[6:7], v[10:11]
.LBB116_74:                             ;   Parent Loop BB116_65 Depth=1
                                        ; =>  This Inner Loop Header: Depth=2
	s_wait_loadcnt 0x0
	s_delay_alu instid0(VALU_DEP_1)
	v_add_f64_e32 v[10:11], v[12:13], v[22:23]
	global_atomic_cmpswap_b64 v[10:11], v[20:21], v[10:13], off th:TH_ATOMIC_RETURN scope:SCOPE_DEV
	s_wait_loadcnt 0x0
	v_cmp_eq_u64_e32 vcc_lo, v[10:11], v[12:13]
	v_dual_mov_b32 v13, v11 :: v_dual_mov_b32 v12, v10
	s_or_b32 s41, vcc_lo, s41
	s_delay_alu instid0(SALU_CYCLE_1)
	s_and_not1_b32 exec_lo, exec_lo, s41
	s_cbranch_execnz .LBB116_74
; %bb.75:                               ;   in Loop: Header=BB116_65 Depth=1
	s_or_b32 exec_lo, exec_lo, s41
	global_load_b64 v[10:11], v[20:21], off offset:8
	v_mul_f64_e32 v[8:9], v[8:9], v[2:3]
	s_mov_b32 s41, 0
	s_delay_alu instid0(VALU_DEP_1)
	v_fma_f64 v[6:7], v[4:5], v[6:7], v[8:9]
.LBB116_76:                             ;   Parent Loop BB116_65 Depth=1
                                        ; =>  This Inner Loop Header: Depth=2
	s_wait_loadcnt 0x0
	s_delay_alu instid0(VALU_DEP_1)
	v_add_f64_e32 v[8:9], v[10:11], v[6:7]
	global_atomic_cmpswap_b64 v[8:9], v[20:21], v[8:11], off offset:8 th:TH_ATOMIC_RETURN scope:SCOPE_DEV
	s_wait_loadcnt 0x0
	v_cmp_eq_u64_e32 vcc_lo, v[8:9], v[10:11]
	v_dual_mov_b32 v11, v9 :: v_dual_mov_b32 v10, v8
	s_or_b32 s41, vcc_lo, s41
	s_delay_alu instid0(SALU_CYCLE_1)
	s_and_not1_b32 exec_lo, exec_lo, s41
	s_cbranch_execnz .LBB116_76
; %bb.77:                               ;   in Loop: Header=BB116_65 Depth=1
	s_or_b32 exec_lo, exec_lo, s41
                                        ; implicit-def: $vgpr6_vgpr7
                                        ; implicit-def: $vgpr10
.LBB116_78:                             ;   in Loop: Header=BB116_65 Depth=1
	s_wait_alu 0xfffe
	s_and_not1_saveexec_b32 s0, s0
	s_cbranch_execz .LBB116_63
; %bb.79:                               ;   in Loop: Header=BB116_65 Depth=1
	v_add_co_u32 v2, vcc_lo, s14, v6
	s_wait_alu 0xfffd
	v_add_co_ci_u32_e64 v3, null, s15, v7, vcc_lo
	v_subrev_nc_u32_e32 v12, s12, v16
	s_mov_b32 s41, 0
	global_load_b128 v[6:9], v[2:3], off
	ds_load_b128 v[2:5], v10
	v_lshl_add_u32 v20, v12, 4, 0x4000
	ds_load_b64 v[12:13], v20
	s_wait_dscnt 0x1
	v_xor_b32_e32 v19, 0x80000000, v5
	v_mov_b32_e32 v18, v4
	s_wait_loadcnt 0x0
	v_mul_f64_e64 v[10:11], v[8:9], -v[4:5]
	s_delay_alu instid0(VALU_DEP_1)
	v_fma_f64 v[10:11], v[2:3], v[6:7], v[10:11]
.LBB116_80:                             ;   Parent Loop BB116_65 Depth=1
                                        ; =>  This Inner Loop Header: Depth=2
	s_wait_dscnt 0x0
	s_delay_alu instid0(VALU_DEP_1)
	v_add_f64_e32 v[21:22], v[12:13], v[10:11]
	ds_cmpstore_rtn_b64 v[21:22], v20, v[21:22], v[12:13]
	s_wait_dscnt 0x0
	v_cmp_eq_u64_e32 vcc_lo, v[21:22], v[12:13]
	v_dual_mov_b32 v12, v21 :: v_dual_mov_b32 v13, v22
	s_or_b32 s41, vcc_lo, s41
	s_delay_alu instid0(SALU_CYCLE_1)
	s_and_not1_b32 exec_lo, exec_lo, s41
	s_cbranch_execnz .LBB116_80
; %bb.81:                               ;   in Loop: Header=BB116_65 Depth=1
	s_or_b32 exec_lo, exec_lo, s41
	v_mul_f64_e32 v[8:9], v[8:9], v[2:3]
	s_mov_b32 s41, 0
	s_delay_alu instid0(VALU_DEP_1)
	v_fma_f64 v[6:7], v[4:5], v[6:7], v[8:9]
	ds_load_b64 v[8:9], v20 offset:8
.LBB116_82:                             ;   Parent Loop BB116_65 Depth=1
                                        ; =>  This Inner Loop Header: Depth=2
	s_wait_dscnt 0x0
	v_add_f64_e32 v[10:11], v[8:9], v[6:7]
	ds_cmpstore_rtn_b64 v[10:11], v20, v[10:11], v[8:9] offset:8
	s_wait_dscnt 0x0
	v_cmp_eq_u64_e32 vcc_lo, v[10:11], v[8:9]
	v_dual_mov_b32 v8, v10 :: v_dual_mov_b32 v9, v11
	s_or_b32 s41, vcc_lo, s41
	s_delay_alu instid0(SALU_CYCLE_1)
	s_and_not1_b32 exec_lo, exec_lo, s41
	s_cbranch_execnz .LBB116_82
; %bb.83:                               ;   in Loop: Header=BB116_65 Depth=1
	s_or_b32 exec_lo, exec_lo, s41
	s_branch .LBB116_63
.LBB116_84:
	s_or_b32 exec_lo, exec_lo, s29
                                        ; implicit-def: $vgpr16_vgpr17
                                        ; implicit-def: $vgpr14
                                        ; implicit-def: $vgpr6_vgpr7
.LBB116_85:
	s_wait_alu 0xfffe
	s_and_not1_saveexec_b32 s1, s7
	s_cbranch_execz .LBB116_159
; %bb.86:
	s_add_nc_u64 s[30:31], s[18:19], -1
	s_add_nc_u64 s[34:35], s[18:19], -2
	v_dual_mov_b32 v2, s16 :: v_dual_mov_b32 v3, s17
	s_wait_alu 0xfffe
	v_dual_mov_b32 v4, s30 :: v_dual_mov_b32 v5, s31
	s_cmp_lg_u64 s[16:17], s[34:35]
	s_cselect_b32 s7, -1, 0
	s_cmp_eq_u64 s[16:17], s[34:35]
	s_cbranch_scc1 .LBB116_90
; %bb.87:
	v_dual_mov_b32 v2, s16 :: v_dual_mov_b32 v3, s17
	v_dual_mov_b32 v4, s30 :: v_dual_mov_b32 v5, s31
	s_mov_b32 s29, 0
.LBB116_88:                             ; =>This Inner Loop Header: Depth=1
	s_delay_alu instid0(VALU_DEP_1) | instskip(SKIP_1) | instid1(VALU_DEP_2)
	v_add_co_u32 v8, vcc_lo, v4, v2
	s_wait_alu 0xfffd
	v_add_co_ci_u32_e64 v9, null, v5, v3, vcc_lo
	s_delay_alu instid0(VALU_DEP_1) | instskip(NEXT) | instid1(VALU_DEP_1)
	v_lshrrev_b32_e32 v10, 31, v9
	v_add_co_u32 v8, vcc_lo, v8, v10
	s_wait_alu 0xfffd
	v_add_co_ci_u32_e64 v9, null, 0, v9, vcc_lo
	s_delay_alu instid0(VALU_DEP_1) | instskip(NEXT) | instid1(VALU_DEP_1)
	v_ashrrev_i64 v[8:9], 1, v[8:9]
	v_lshlrev_b64_e32 v[10:11], 3, v[8:9]
	s_delay_alu instid0(VALU_DEP_1) | instskip(SKIP_1) | instid1(VALU_DEP_2)
	v_add_co_u32 v10, vcc_lo, s8, v10
	s_wait_alu 0xfffd
	v_add_co_ci_u32_e64 v11, null, s9, v11, vcc_lo
	global_load_b64 v[10:11], v[10:11], off
	s_wait_loadcnt 0x0
	v_sub_co_u32 v10, vcc_lo, v10, s24
	s_wait_alu 0xfffd
	v_subrev_co_ci_u32_e64 v11, null, 0, v11, vcc_lo
	s_delay_alu instid0(VALU_DEP_1) | instskip(SKIP_3) | instid1(VALU_DEP_2)
	v_cmp_lt_i64_e32 vcc_lo, v[14:15], v[10:11]
	s_wait_alu 0xfffd
	v_dual_cndmask_b32 v5, v5, v9 :: v_dual_cndmask_b32 v4, v4, v8
	v_dual_cndmask_b32 v3, v9, v3 :: v_dual_cndmask_b32 v2, v8, v2
	v_add_co_u32 v8, vcc_lo, v4, -1
	s_wait_alu 0xfffd
	s_delay_alu instid0(VALU_DEP_3) | instskip(NEXT) | instid1(VALU_DEP_3)
	v_add_co_ci_u32_e64 v9, null, -1, v5, vcc_lo
	v_cmp_ge_i64_e32 vcc_lo, v[2:3], v[4:5]
	s_delay_alu instid0(VALU_DEP_2)
	v_cmp_eq_u64_e64 s0, v[2:3], v[8:9]
	s_or_b32 s0, vcc_lo, s0
	s_wait_alu 0xfffe
	s_and_b32 s0, exec_lo, s0
	s_wait_alu 0xfffe
	s_or_b32 s29, s0, s29
	s_wait_alu 0xfffe
	s_and_not1_b32 exec_lo, exec_lo, s29
	s_cbranch_execnz .LBB116_88
; %bb.89:
	s_or_b32 exec_lo, exec_lo, s29
.LBB116_90:
	v_lshlrev_b64_e32 v[8:9], 3, v[4:5]
	s_mov_b32 s29, exec_lo
	s_delay_alu instid0(VALU_DEP_1) | instskip(SKIP_1) | instid1(VALU_DEP_2)
	v_add_co_u32 v8, vcc_lo, s8, v8
	s_wait_alu 0xfffd
	v_add_co_ci_u32_e64 v9, null, s9, v9, vcc_lo
	v_add_co_u32 v18, vcc_lo, s10, v6
	s_wait_alu 0xfffd
	v_add_co_ci_u32_e64 v19, null, s11, v7, vcc_lo
	global_load_b64 v[8:9], v[8:9], off
	s_lshl_b64 s[10:11], s[18:19], 3
	global_load_b64 v[6:7], v[18:19], off
	s_wait_alu 0xfffe
	s_add_nc_u64 s[10:11], s[8:9], s[10:11]
	s_wait_loadcnt 0x1
	v_sub_co_u32 v8, vcc_lo, v8, s24
	s_wait_alu 0xfffd
	v_subrev_co_ci_u32_e64 v9, null, 0, v9, vcc_lo
	s_delay_alu instid0(VALU_DEP_1)
	v_cmp_lt_i64_e32 vcc_lo, v[14:15], v[8:9]
	s_wait_alu 0xfffd
	v_dual_cndmask_b32 v3, v5, v3 :: v_dual_cndmask_b32 v2, v4, v2
	s_wait_loadcnt 0x0
	v_sub_co_u32 v20, vcc_lo, v6, s24
	s_wait_alu 0xfffd
	v_subrev_co_ci_u32_e64 v21, null, 0, v7, vcc_lo
	s_delay_alu instid0(VALU_DEP_1)
	v_cmpx_ne_u64_e64 v[20:21], v[2:3]
	s_cbranch_execz .LBB116_104
; %bb.91:
	s_load_b64 s[34:35], s[10:11], 0x0
	s_wait_kmcnt 0x0
	s_sub_nc_u64 s[34:35], s[34:35], s[24:25]
	s_wait_alu 0xfffe
	v_cmp_gt_i64_e32 vcc_lo, s[34:35], v[14:15]
	s_and_b32 exec_lo, exec_lo, vcc_lo
	s_cbranch_execz .LBB116_104
; %bb.92:
	v_cmp_gt_i64_e32 vcc_lo, s[12:13], v[20:21]
	v_cmp_le_i64_e64 s0, s[18:19], v[20:21]
	v_lshlrev_b64_e32 v[2:3], 4, v[2:3]
	s_or_b32 s0, vcc_lo, s0
	s_wait_alu 0xfffe
	s_and_saveexec_b32 s33, s0
	s_wait_alu 0xfffe
	s_xor_b32 s0, exec_lo, s33
	s_cbranch_execz .LBB116_98
; %bb.93:
	v_add_co_u32 v2, vcc_lo, s14, v2
	s_wait_alu 0xfffd
	v_add_co_ci_u32_e64 v3, null, s15, v3, vcc_lo
	v_lshlrev_b64_e32 v[6:7], 4, v[20:21]
	s_mov_b32 s33, 0
	global_load_b128 v[2:5], v[2:3], off
	v_add_co_u32 v22, vcc_lo, s20, v6
	s_wait_alu 0xfffd
	v_add_co_ci_u32_e64 v23, null, s21, v7, vcc_lo
	ds_load_b128 v[6:9], v26
	global_load_b64 v[12:13], v[22:23], off
	s_wait_loadcnt_dscnt 0x100
	v_mul_f64_e64 v[10:11], v[4:5], -v[8:9]
	s_delay_alu instid0(VALU_DEP_1)
	v_fma_f64 v[24:25], v[6:7], v[2:3], v[10:11]
.LBB116_94:                             ; =>This Inner Loop Header: Depth=1
	s_wait_loadcnt 0x0
	s_delay_alu instid0(VALU_DEP_1)
	v_add_f64_e32 v[10:11], v[12:13], v[24:25]
	global_atomic_cmpswap_b64 v[10:11], v[22:23], v[10:13], off th:TH_ATOMIC_RETURN scope:SCOPE_DEV
	s_wait_loadcnt 0x0
	v_cmp_eq_u64_e32 vcc_lo, v[10:11], v[12:13]
	v_dual_mov_b32 v13, v11 :: v_dual_mov_b32 v12, v10
	s_wait_alu 0xfffe
	s_or_b32 s33, vcc_lo, s33
	s_wait_alu 0xfffe
	s_and_not1_b32 exec_lo, exec_lo, s33
	s_cbranch_execnz .LBB116_94
; %bb.95:
	s_or_b32 exec_lo, exec_lo, s33
	global_load_b64 v[10:11], v[22:23], off offset:8
	v_mul_f64_e32 v[4:5], v[4:5], v[6:7]
	s_mov_b32 s33, 0
	s_delay_alu instid0(VALU_DEP_1)
	v_fma_f64 v[2:3], v[8:9], v[2:3], v[4:5]
.LBB116_96:                             ; =>This Inner Loop Header: Depth=1
	s_wait_loadcnt 0x0
	s_delay_alu instid0(VALU_DEP_1)
	v_add_f64_e32 v[8:9], v[10:11], v[2:3]
	global_atomic_cmpswap_b64 v[4:5], v[22:23], v[8:11], off offset:8 th:TH_ATOMIC_RETURN scope:SCOPE_DEV
	s_wait_loadcnt 0x0
	v_cmp_eq_u64_e32 vcc_lo, v[4:5], v[10:11]
	v_dual_mov_b32 v11, v5 :: v_dual_mov_b32 v10, v4
	s_wait_alu 0xfffe
	s_or_b32 s33, vcc_lo, s33
	s_wait_alu 0xfffe
	s_and_not1_b32 exec_lo, exec_lo, s33
	s_cbranch_execnz .LBB116_96
; %bb.97:
	s_or_b32 exec_lo, exec_lo, s33
                                        ; implicit-def: $vgpr2_vgpr3
.LBB116_98:
	s_wait_alu 0xfffe
	s_and_not1_saveexec_b32 s0, s0
	s_cbranch_execz .LBB116_104
; %bb.99:
	v_add_co_u32 v2, vcc_lo, s14, v2
	s_wait_alu 0xfffd
	v_add_co_ci_u32_e64 v3, null, s15, v3, vcc_lo
	ds_load_b128 v[6:9], v26
	v_subrev_nc_u32_e32 v12, s12, v20
	s_mov_b32 s0, 0
	global_load_b128 v[2:5], v[2:3], off
	v_lshl_add_u32 v22, v12, 4, 0x4000
	ds_load_b64 v[12:13], v22
	s_wait_loadcnt_dscnt 0x1
	v_mul_f64_e64 v[10:11], v[4:5], -v[8:9]
	s_delay_alu instid0(VALU_DEP_1)
	v_fma_f64 v[10:11], v[6:7], v[2:3], v[10:11]
.LBB116_100:                            ; =>This Inner Loop Header: Depth=1
	s_wait_dscnt 0x0
	s_delay_alu instid0(VALU_DEP_1)
	v_add_f64_e32 v[23:24], v[12:13], v[10:11]
	ds_cmpstore_rtn_b64 v[23:24], v22, v[23:24], v[12:13]
	s_wait_dscnt 0x0
	v_cmp_eq_u64_e32 vcc_lo, v[23:24], v[12:13]
	v_dual_mov_b32 v12, v23 :: v_dual_mov_b32 v13, v24
	s_wait_alu 0xfffe
	s_or_b32 s0, vcc_lo, s0
	s_wait_alu 0xfffe
	s_and_not1_b32 exec_lo, exec_lo, s0
	s_cbranch_execnz .LBB116_100
; %bb.101:
	s_or_b32 exec_lo, exec_lo, s0
	v_mul_f64_e32 v[4:5], v[4:5], v[6:7]
	s_mov_b32 s0, 0
	s_delay_alu instid0(VALU_DEP_1)
	v_fma_f64 v[2:3], v[8:9], v[2:3], v[4:5]
	ds_load_b64 v[4:5], v22 offset:8
.LBB116_102:                            ; =>This Inner Loop Header: Depth=1
	s_wait_dscnt 0x0
	v_add_f64_e32 v[6:7], v[4:5], v[2:3]
	ds_cmpstore_rtn_b64 v[6:7], v22, v[6:7], v[4:5] offset:8
	s_wait_dscnt 0x0
	v_cmp_eq_u64_e32 vcc_lo, v[6:7], v[4:5]
	v_dual_mov_b32 v4, v6 :: v_dual_mov_b32 v5, v7
	s_wait_alu 0xfffe
	s_or_b32 s0, vcc_lo, s0
	s_wait_alu 0xfffe
	s_and_not1_b32 exec_lo, exec_lo, s0
	s_cbranch_execnz .LBB116_102
; %bb.103:
	s_or_b32 exec_lo, exec_lo, s0
.LBB116_104:
	s_delay_alu instid0(SALU_CYCLE_1)
	s_or_b32 exec_lo, exec_lo, s29
	v_lshlrev_b64_e32 v[2:3], 4, v[20:21]
	ds_load_b128 v[6:9], v26
	v_cndmask_b32_e64 v27, 0, 1, s7
	v_add_co_u32 v2, vcc_lo, s14, v2
	s_wait_alu 0xfffd
	v_add_co_ci_u32_e64 v3, null, s15, v3, vcc_lo
	global_load_b128 v[2:5], v[2:3], off
	s_wait_loadcnt_dscnt 0x0
	v_mul_f64_e64 v[10:11], v[4:5], -v[8:9]
	v_mul_f64_e32 v[4:5], v[4:5], v[6:7]
	s_delay_alu instid0(VALU_DEP_2) | instskip(NEXT) | instid1(VALU_DEP_2)
	v_fma_f64 v[10:11], v[6:7], v[2:3], v[10:11]
	v_fma_f64 v[12:13], v[8:9], v[2:3], v[4:5]
	v_add_co_u32 v2, vcc_lo, 0x100, v14
	s_wait_alu 0xfffd
	v_add_co_ci_u32_e64 v3, null, 0, v15, vcc_lo
	v_dual_mov_b32 v4, s16 :: v_dual_mov_b32 v5, s17
	v_dual_mov_b32 v6, s30 :: v_dual_mov_b32 v7, s31
	s_and_not1_b32 vcc_lo, exec_lo, s7
	ds_store_b128 v26, v[10:13]
	s_wait_alu 0xfffe
	s_cbranch_vccnz .LBB116_108
; %bb.105:
	v_dual_mov_b32 v4, s16 :: v_dual_mov_b32 v5, s17
	v_dual_mov_b32 v6, s30 :: v_dual_mov_b32 v7, s31
	s_mov_b32 s7, 0
.LBB116_106:                            ; =>This Inner Loop Header: Depth=1
	s_delay_alu instid0(VALU_DEP_1) | instskip(SKIP_1) | instid1(VALU_DEP_2)
	v_add_co_u32 v8, vcc_lo, v6, v4
	s_wait_alu 0xfffd
	v_add_co_ci_u32_e64 v9, null, v7, v5, vcc_lo
	s_delay_alu instid0(VALU_DEP_1) | instskip(NEXT) | instid1(VALU_DEP_1)
	v_lshrrev_b32_e32 v10, 31, v9
	v_add_co_u32 v8, vcc_lo, v8, v10
	s_wait_alu 0xfffd
	v_add_co_ci_u32_e64 v9, null, 0, v9, vcc_lo
	s_delay_alu instid0(VALU_DEP_1) | instskip(NEXT) | instid1(VALU_DEP_1)
	v_ashrrev_i64 v[8:9], 1, v[8:9]
	v_lshlrev_b64_e32 v[10:11], 3, v[8:9]
	s_delay_alu instid0(VALU_DEP_1) | instskip(SKIP_1) | instid1(VALU_DEP_2)
	v_add_co_u32 v10, vcc_lo, s8, v10
	s_wait_alu 0xfffd
	v_add_co_ci_u32_e64 v11, null, s9, v11, vcc_lo
	global_load_b64 v[10:11], v[10:11], off
	s_wait_loadcnt 0x0
	v_sub_co_u32 v10, vcc_lo, v10, s24
	s_wait_alu 0xfffd
	v_subrev_co_ci_u32_e64 v11, null, 0, v11, vcc_lo
	s_delay_alu instid0(VALU_DEP_1) | instskip(SKIP_3) | instid1(VALU_DEP_2)
	v_cmp_lt_i64_e32 vcc_lo, v[2:3], v[10:11]
	s_wait_alu 0xfffd
	v_dual_cndmask_b32 v7, v7, v9 :: v_dual_cndmask_b32 v6, v6, v8
	v_dual_cndmask_b32 v5, v9, v5 :: v_dual_cndmask_b32 v4, v8, v4
	v_add_co_u32 v8, vcc_lo, v6, -1
	s_wait_alu 0xfffd
	s_delay_alu instid0(VALU_DEP_3) | instskip(NEXT) | instid1(VALU_DEP_3)
	v_add_co_ci_u32_e64 v9, null, -1, v7, vcc_lo
	v_cmp_ge_i64_e32 vcc_lo, v[4:5], v[6:7]
	s_delay_alu instid0(VALU_DEP_2)
	v_cmp_eq_u64_e64 s0, v[4:5], v[8:9]
	s_or_b32 s0, vcc_lo, s0
	s_wait_alu 0xfffe
	s_and_b32 s0, exec_lo, s0
	s_wait_alu 0xfffe
	s_or_b32 s7, s0, s7
	s_wait_alu 0xfffe
	s_and_not1_b32 exec_lo, exec_lo, s7
	s_cbranch_execnz .LBB116_106
; %bb.107:
	s_or_b32 exec_lo, exec_lo, s7
.LBB116_108:
	v_lshlrev_b64_e32 v[8:9], 3, v[6:7]
	s_mov_b32 s7, exec_lo
	s_delay_alu instid0(VALU_DEP_1) | instskip(SKIP_1) | instid1(VALU_DEP_2)
	v_add_co_u32 v8, vcc_lo, s8, v8
	s_wait_alu 0xfffd
	v_add_co_ci_u32_e64 v9, null, s9, v9, vcc_lo
	global_load_b64 v[8:9], v[8:9], off
	global_load_b64 v[10:11], v[18:19], off offset:2048
	s_wait_loadcnt 0x1
	v_sub_co_u32 v8, vcc_lo, v8, s24
	s_wait_alu 0xfffd
	v_subrev_co_ci_u32_e64 v9, null, 0, v9, vcc_lo
	s_delay_alu instid0(VALU_DEP_1)
	v_cmp_lt_i64_e32 vcc_lo, v[2:3], v[8:9]
	s_wait_alu 0xfffd
	v_dual_cndmask_b32 v5, v7, v5 :: v_dual_cndmask_b32 v4, v6, v4
	s_wait_loadcnt 0x0
	v_sub_co_u32 v20, vcc_lo, v10, s24
	s_wait_alu 0xfffd
	v_subrev_co_ci_u32_e64 v21, null, 0, v11, vcc_lo
	s_delay_alu instid0(VALU_DEP_1)
	v_cmpx_ne_u64_e64 v[20:21], v[4:5]
	s_cbranch_execz .LBB116_122
; %bb.109:
	s_load_b64 s[34:35], s[10:11], 0x0
	s_wait_kmcnt 0x0
	s_sub_nc_u64 s[34:35], s[34:35], s[24:25]
	s_wait_alu 0xfffe
	v_cmp_gt_i64_e32 vcc_lo, s[34:35], v[2:3]
	s_and_b32 exec_lo, exec_lo, vcc_lo
	s_cbranch_execz .LBB116_122
; %bb.110:
	v_cmp_gt_i64_e32 vcc_lo, s[12:13], v[20:21]
	v_cmp_le_i64_e64 s0, s[18:19], v[20:21]
	v_lshlrev_b64_e32 v[2:3], 4, v[4:5]
	s_or_b32 s0, vcc_lo, s0
	s_wait_alu 0xfffe
	s_and_saveexec_b32 s29, s0
	s_wait_alu 0xfffe
	s_xor_b32 s0, exec_lo, s29
	s_cbranch_execz .LBB116_116
; %bb.111:
	v_add_co_u32 v2, vcc_lo, s14, v2
	s_wait_alu 0xfffd
	v_add_co_ci_u32_e64 v3, null, s15, v3, vcc_lo
	v_lshlrev_b64_e32 v[6:7], 4, v[20:21]
	s_mov_b32 s29, 0
	global_load_b128 v[2:5], v[2:3], off
	v_add_co_u32 v22, vcc_lo, s20, v6
	s_wait_alu 0xfffd
	v_add_co_ci_u32_e64 v23, null, s21, v7, vcc_lo
	ds_load_b128 v[6:9], v26 offset:4096
	global_load_b64 v[12:13], v[22:23], off
	s_wait_loadcnt_dscnt 0x100
	v_mul_f64_e64 v[10:11], v[4:5], -v[8:9]
	s_delay_alu instid0(VALU_DEP_1)
	v_fma_f64 v[24:25], v[6:7], v[2:3], v[10:11]
.LBB116_112:                            ; =>This Inner Loop Header: Depth=1
	s_wait_loadcnt 0x0
	s_delay_alu instid0(VALU_DEP_1)
	v_add_f64_e32 v[10:11], v[12:13], v[24:25]
	global_atomic_cmpswap_b64 v[10:11], v[22:23], v[10:13], off th:TH_ATOMIC_RETURN scope:SCOPE_DEV
	s_wait_loadcnt 0x0
	v_cmp_eq_u64_e32 vcc_lo, v[10:11], v[12:13]
	v_dual_mov_b32 v13, v11 :: v_dual_mov_b32 v12, v10
	s_wait_alu 0xfffe
	s_or_b32 s29, vcc_lo, s29
	s_wait_alu 0xfffe
	s_and_not1_b32 exec_lo, exec_lo, s29
	s_cbranch_execnz .LBB116_112
; %bb.113:
	s_or_b32 exec_lo, exec_lo, s29
	global_load_b64 v[10:11], v[22:23], off offset:8
	v_mul_f64_e32 v[4:5], v[4:5], v[6:7]
	s_mov_b32 s29, 0
	s_delay_alu instid0(VALU_DEP_1)
	v_fma_f64 v[2:3], v[8:9], v[2:3], v[4:5]
.LBB116_114:                            ; =>This Inner Loop Header: Depth=1
	s_wait_loadcnt 0x0
	s_delay_alu instid0(VALU_DEP_1)
	v_add_f64_e32 v[8:9], v[10:11], v[2:3]
	global_atomic_cmpswap_b64 v[4:5], v[22:23], v[8:11], off offset:8 th:TH_ATOMIC_RETURN scope:SCOPE_DEV
	s_wait_loadcnt 0x0
	v_cmp_eq_u64_e32 vcc_lo, v[4:5], v[10:11]
	v_dual_mov_b32 v11, v5 :: v_dual_mov_b32 v10, v4
	s_wait_alu 0xfffe
	s_or_b32 s29, vcc_lo, s29
	s_wait_alu 0xfffe
	s_and_not1_b32 exec_lo, exec_lo, s29
	s_cbranch_execnz .LBB116_114
; %bb.115:
	s_or_b32 exec_lo, exec_lo, s29
                                        ; implicit-def: $vgpr2_vgpr3
.LBB116_116:
	s_wait_alu 0xfffe
	s_and_not1_saveexec_b32 s0, s0
	s_cbranch_execz .LBB116_122
; %bb.117:
	v_add_co_u32 v2, vcc_lo, s14, v2
	s_wait_alu 0xfffd
	v_add_co_ci_u32_e64 v3, null, s15, v3, vcc_lo
	ds_load_b128 v[6:9], v26 offset:4096
	v_subrev_nc_u32_e32 v12, s12, v20
	s_mov_b32 s0, 0
	global_load_b128 v[2:5], v[2:3], off
	v_lshl_add_u32 v22, v12, 4, 0x4000
	ds_load_b64 v[12:13], v22
	s_wait_loadcnt_dscnt 0x1
	v_mul_f64_e64 v[10:11], v[4:5], -v[8:9]
	s_delay_alu instid0(VALU_DEP_1)
	v_fma_f64 v[10:11], v[6:7], v[2:3], v[10:11]
.LBB116_118:                            ; =>This Inner Loop Header: Depth=1
	s_wait_dscnt 0x0
	s_delay_alu instid0(VALU_DEP_1)
	v_add_f64_e32 v[23:24], v[12:13], v[10:11]
	ds_cmpstore_rtn_b64 v[23:24], v22, v[23:24], v[12:13]
	s_wait_dscnt 0x0
	v_cmp_eq_u64_e32 vcc_lo, v[23:24], v[12:13]
	v_dual_mov_b32 v12, v23 :: v_dual_mov_b32 v13, v24
	s_wait_alu 0xfffe
	s_or_b32 s0, vcc_lo, s0
	s_wait_alu 0xfffe
	s_and_not1_b32 exec_lo, exec_lo, s0
	s_cbranch_execnz .LBB116_118
; %bb.119:
	s_or_b32 exec_lo, exec_lo, s0
	v_mul_f64_e32 v[4:5], v[4:5], v[6:7]
	s_mov_b32 s0, 0
	s_delay_alu instid0(VALU_DEP_1)
	v_fma_f64 v[2:3], v[8:9], v[2:3], v[4:5]
	ds_load_b64 v[4:5], v22 offset:8
.LBB116_120:                            ; =>This Inner Loop Header: Depth=1
	s_wait_dscnt 0x0
	v_add_f64_e32 v[6:7], v[4:5], v[2:3]
	ds_cmpstore_rtn_b64 v[6:7], v22, v[6:7], v[4:5] offset:8
	s_wait_dscnt 0x0
	v_cmp_eq_u64_e32 vcc_lo, v[6:7], v[4:5]
	v_dual_mov_b32 v4, v6 :: v_dual_mov_b32 v5, v7
	s_wait_alu 0xfffe
	s_or_b32 s0, vcc_lo, s0
	s_wait_alu 0xfffe
	s_and_not1_b32 exec_lo, exec_lo, s0
	s_cbranch_execnz .LBB116_120
; %bb.121:
	s_or_b32 exec_lo, exec_lo, s0
.LBB116_122:
	s_wait_alu 0xfffe
	s_or_b32 exec_lo, exec_lo, s7
	v_lshlrev_b64_e32 v[2:3], 4, v[20:21]
	ds_load_b128 v[6:9], v26 offset:4096
	v_add_co_u32 v2, vcc_lo, s14, v2
	s_wait_alu 0xfffd
	v_add_co_ci_u32_e64 v3, null, s15, v3, vcc_lo
	v_cmp_ne_u32_e32 vcc_lo, 1, v27
	global_load_b128 v[2:5], v[2:3], off
	s_and_b32 vcc_lo, exec_lo, vcc_lo
	s_wait_loadcnt_dscnt 0x0
	v_mul_f64_e64 v[10:11], v[4:5], -v[8:9]
	v_mul_f64_e32 v[4:5], v[4:5], v[6:7]
	s_delay_alu instid0(VALU_DEP_2) | instskip(NEXT) | instid1(VALU_DEP_2)
	v_fma_f64 v[10:11], v[6:7], v[2:3], v[10:11]
	v_fma_f64 v[12:13], v[8:9], v[2:3], v[4:5]
	v_add_co_u32 v2, s0, 0x200, v14
	s_wait_alu 0xf1ff
	v_add_co_ci_u32_e64 v3, null, 0, v15, s0
	v_dual_mov_b32 v4, s16 :: v_dual_mov_b32 v5, s17
	v_dual_mov_b32 v6, s30 :: v_dual_mov_b32 v7, s31
	ds_store_b128 v26, v[10:13] offset:4096
	s_wait_alu 0xfffe
	s_cbranch_vccnz .LBB116_126
; %bb.123:
	v_dual_mov_b32 v4, s16 :: v_dual_mov_b32 v5, s17
	v_dual_mov_b32 v6, s30 :: v_dual_mov_b32 v7, s31
	s_mov_b32 s7, 0
.LBB116_124:                            ; =>This Inner Loop Header: Depth=1
	s_delay_alu instid0(VALU_DEP_1) | instskip(SKIP_1) | instid1(VALU_DEP_2)
	v_add_co_u32 v8, vcc_lo, v6, v4
	s_wait_alu 0xfffd
	v_add_co_ci_u32_e64 v9, null, v7, v5, vcc_lo
	s_delay_alu instid0(VALU_DEP_1) | instskip(NEXT) | instid1(VALU_DEP_1)
	v_lshrrev_b32_e32 v10, 31, v9
	v_add_co_u32 v8, vcc_lo, v8, v10
	s_wait_alu 0xfffd
	v_add_co_ci_u32_e64 v9, null, 0, v9, vcc_lo
	s_delay_alu instid0(VALU_DEP_1) | instskip(NEXT) | instid1(VALU_DEP_1)
	v_ashrrev_i64 v[8:9], 1, v[8:9]
	v_lshlrev_b64_e32 v[10:11], 3, v[8:9]
	s_delay_alu instid0(VALU_DEP_1) | instskip(SKIP_1) | instid1(VALU_DEP_2)
	v_add_co_u32 v10, vcc_lo, s8, v10
	s_wait_alu 0xfffd
	v_add_co_ci_u32_e64 v11, null, s9, v11, vcc_lo
	global_load_b64 v[10:11], v[10:11], off
	s_wait_loadcnt 0x0
	v_sub_co_u32 v10, vcc_lo, v10, s24
	s_wait_alu 0xfffd
	v_subrev_co_ci_u32_e64 v11, null, 0, v11, vcc_lo
	s_delay_alu instid0(VALU_DEP_1) | instskip(SKIP_3) | instid1(VALU_DEP_2)
	v_cmp_lt_i64_e32 vcc_lo, v[2:3], v[10:11]
	s_wait_alu 0xfffd
	v_dual_cndmask_b32 v7, v7, v9 :: v_dual_cndmask_b32 v6, v6, v8
	v_dual_cndmask_b32 v5, v9, v5 :: v_dual_cndmask_b32 v4, v8, v4
	v_add_co_u32 v8, vcc_lo, v6, -1
	s_wait_alu 0xfffd
	s_delay_alu instid0(VALU_DEP_3) | instskip(NEXT) | instid1(VALU_DEP_3)
	v_add_co_ci_u32_e64 v9, null, -1, v7, vcc_lo
	v_cmp_ge_i64_e32 vcc_lo, v[4:5], v[6:7]
	s_delay_alu instid0(VALU_DEP_2)
	v_cmp_eq_u64_e64 s0, v[4:5], v[8:9]
	s_or_b32 s0, vcc_lo, s0
	s_wait_alu 0xfffe
	s_and_b32 s0, exec_lo, s0
	s_wait_alu 0xfffe
	s_or_b32 s7, s0, s7
	s_wait_alu 0xfffe
	s_and_not1_b32 exec_lo, exec_lo, s7
	s_cbranch_execnz .LBB116_124
; %bb.125:
	s_or_b32 exec_lo, exec_lo, s7
.LBB116_126:
	v_lshlrev_b64_e32 v[8:9], 3, v[6:7]
	s_mov_b32 s7, exec_lo
	s_delay_alu instid0(VALU_DEP_1) | instskip(SKIP_1) | instid1(VALU_DEP_2)
	v_add_co_u32 v8, vcc_lo, s8, v8
	s_wait_alu 0xfffd
	v_add_co_ci_u32_e64 v9, null, s9, v9, vcc_lo
	global_load_b64 v[8:9], v[8:9], off
	global_load_b64 v[10:11], v[18:19], off offset:4096
	s_wait_loadcnt 0x1
	v_sub_co_u32 v8, vcc_lo, v8, s24
	s_wait_alu 0xfffd
	v_subrev_co_ci_u32_e64 v9, null, 0, v9, vcc_lo
	s_delay_alu instid0(VALU_DEP_1)
	v_cmp_lt_i64_e32 vcc_lo, v[2:3], v[8:9]
	s_wait_alu 0xfffd
	v_dual_cndmask_b32 v5, v7, v5 :: v_dual_cndmask_b32 v4, v6, v4
	s_wait_loadcnt 0x0
	v_sub_co_u32 v14, vcc_lo, v10, s24
	s_wait_alu 0xfffd
	v_subrev_co_ci_u32_e64 v15, null, 0, v11, vcc_lo
	s_delay_alu instid0(VALU_DEP_1)
	v_cmpx_ne_u64_e64 v[14:15], v[4:5]
	s_cbranch_execz .LBB116_140
; %bb.127:
	s_load_b64 s[34:35], s[10:11], 0x0
	s_wait_kmcnt 0x0
	s_sub_nc_u64 s[34:35], s[34:35], s[24:25]
	s_wait_alu 0xfffe
	v_cmp_gt_i64_e32 vcc_lo, s[34:35], v[2:3]
	s_and_b32 exec_lo, exec_lo, vcc_lo
	s_cbranch_execz .LBB116_140
; %bb.128:
	v_cmp_gt_i64_e32 vcc_lo, s[12:13], v[14:15]
	v_cmp_le_i64_e64 s0, s[18:19], v[14:15]
	v_lshlrev_b64_e32 v[2:3], 4, v[4:5]
	s_or_b32 s0, vcc_lo, s0
	s_wait_alu 0xfffe
	s_and_saveexec_b32 s29, s0
	s_wait_alu 0xfffe
	s_xor_b32 s0, exec_lo, s29
	s_cbranch_execz .LBB116_134
; %bb.129:
	v_add_co_u32 v2, vcc_lo, s14, v2
	s_wait_alu 0xfffd
	v_add_co_ci_u32_e64 v3, null, s15, v3, vcc_lo
	v_lshlrev_b64_e32 v[6:7], 4, v[14:15]
	s_mov_b32 s29, 0
	global_load_b128 v[2:5], v[2:3], off
	v_add_co_u32 v20, vcc_lo, s20, v6
	s_wait_alu 0xfffd
	v_add_co_ci_u32_e64 v21, null, s21, v7, vcc_lo
	ds_load_b128 v[6:9], v26 offset:8192
	global_load_b64 v[12:13], v[20:21], off
	s_wait_loadcnt_dscnt 0x100
	v_mul_f64_e64 v[10:11], v[4:5], -v[8:9]
	s_delay_alu instid0(VALU_DEP_1)
	v_fma_f64 v[22:23], v[6:7], v[2:3], v[10:11]
.LBB116_130:                            ; =>This Inner Loop Header: Depth=1
	s_wait_loadcnt 0x0
	s_delay_alu instid0(VALU_DEP_1)
	v_add_f64_e32 v[10:11], v[12:13], v[22:23]
	global_atomic_cmpswap_b64 v[10:11], v[20:21], v[10:13], off th:TH_ATOMIC_RETURN scope:SCOPE_DEV
	s_wait_loadcnt 0x0
	v_cmp_eq_u64_e32 vcc_lo, v[10:11], v[12:13]
	v_dual_mov_b32 v13, v11 :: v_dual_mov_b32 v12, v10
	s_wait_alu 0xfffe
	s_or_b32 s29, vcc_lo, s29
	s_wait_alu 0xfffe
	s_and_not1_b32 exec_lo, exec_lo, s29
	s_cbranch_execnz .LBB116_130
; %bb.131:
	s_or_b32 exec_lo, exec_lo, s29
	global_load_b64 v[10:11], v[20:21], off offset:8
	v_mul_f64_e32 v[4:5], v[4:5], v[6:7]
	s_mov_b32 s29, 0
	s_delay_alu instid0(VALU_DEP_1)
	v_fma_f64 v[2:3], v[8:9], v[2:3], v[4:5]
.LBB116_132:                            ; =>This Inner Loop Header: Depth=1
	s_wait_loadcnt 0x0
	s_delay_alu instid0(VALU_DEP_1)
	v_add_f64_e32 v[8:9], v[10:11], v[2:3]
	global_atomic_cmpswap_b64 v[4:5], v[20:21], v[8:11], off offset:8 th:TH_ATOMIC_RETURN scope:SCOPE_DEV
	s_wait_loadcnt 0x0
	v_cmp_eq_u64_e32 vcc_lo, v[4:5], v[10:11]
	v_dual_mov_b32 v11, v5 :: v_dual_mov_b32 v10, v4
	s_wait_alu 0xfffe
	s_or_b32 s29, vcc_lo, s29
	s_wait_alu 0xfffe
	s_and_not1_b32 exec_lo, exec_lo, s29
	s_cbranch_execnz .LBB116_132
; %bb.133:
	s_or_b32 exec_lo, exec_lo, s29
                                        ; implicit-def: $vgpr2_vgpr3
.LBB116_134:
	s_wait_alu 0xfffe
	s_and_not1_saveexec_b32 s0, s0
	s_cbranch_execz .LBB116_140
; %bb.135:
	v_add_co_u32 v2, vcc_lo, s14, v2
	s_wait_alu 0xfffd
	v_add_co_ci_u32_e64 v3, null, s15, v3, vcc_lo
	ds_load_b128 v[6:9], v26 offset:8192
	v_subrev_nc_u32_e32 v12, s12, v14
	s_mov_b32 s0, 0
	global_load_b128 v[2:5], v[2:3], off
	v_lshl_add_u32 v20, v12, 4, 0x4000
	ds_load_b64 v[12:13], v20
	s_wait_loadcnt_dscnt 0x1
	v_mul_f64_e64 v[10:11], v[4:5], -v[8:9]
	s_delay_alu instid0(VALU_DEP_1)
	v_fma_f64 v[10:11], v[6:7], v[2:3], v[10:11]
.LBB116_136:                            ; =>This Inner Loop Header: Depth=1
	s_wait_dscnt 0x0
	s_delay_alu instid0(VALU_DEP_1)
	v_add_f64_e32 v[21:22], v[12:13], v[10:11]
	ds_cmpstore_rtn_b64 v[21:22], v20, v[21:22], v[12:13]
	s_wait_dscnt 0x0
	v_cmp_eq_u64_e32 vcc_lo, v[21:22], v[12:13]
	v_dual_mov_b32 v12, v21 :: v_dual_mov_b32 v13, v22
	s_wait_alu 0xfffe
	s_or_b32 s0, vcc_lo, s0
	s_wait_alu 0xfffe
	s_and_not1_b32 exec_lo, exec_lo, s0
	s_cbranch_execnz .LBB116_136
; %bb.137:
	s_or_b32 exec_lo, exec_lo, s0
	v_mul_f64_e32 v[4:5], v[4:5], v[6:7]
	s_mov_b32 s0, 0
	s_delay_alu instid0(VALU_DEP_1)
	v_fma_f64 v[2:3], v[8:9], v[2:3], v[4:5]
	ds_load_b64 v[4:5], v20 offset:8
.LBB116_138:                            ; =>This Inner Loop Header: Depth=1
	s_wait_dscnt 0x0
	v_add_f64_e32 v[6:7], v[4:5], v[2:3]
	ds_cmpstore_rtn_b64 v[6:7], v20, v[6:7], v[4:5] offset:8
	s_wait_dscnt 0x0
	v_cmp_eq_u64_e32 vcc_lo, v[6:7], v[4:5]
	v_dual_mov_b32 v4, v6 :: v_dual_mov_b32 v5, v7
	s_wait_alu 0xfffe
	s_or_b32 s0, vcc_lo, s0
	s_wait_alu 0xfffe
	s_and_not1_b32 exec_lo, exec_lo, s0
	s_cbranch_execnz .LBB116_138
; %bb.139:
	s_or_b32 exec_lo, exec_lo, s0
.LBB116_140:
	s_wait_alu 0xfffe
	s_or_b32 exec_lo, exec_lo, s7
	v_lshlrev_b64_e32 v[2:3], 4, v[14:15]
	ds_load_b128 v[6:9], v26 offset:8192
	v_add_co_u32 v2, vcc_lo, s14, v2
	s_wait_alu 0xfffd
	v_add_co_ci_u32_e64 v3, null, s15, v3, vcc_lo
	v_cmp_ne_u32_e32 vcc_lo, 1, v27
	global_load_b128 v[2:5], v[2:3], off
	s_and_b32 vcc_lo, exec_lo, vcc_lo
	s_wait_loadcnt_dscnt 0x0
	v_mul_f64_e64 v[10:11], v[4:5], -v[8:9]
	v_mul_f64_e32 v[4:5], v[4:5], v[6:7]
	s_delay_alu instid0(VALU_DEP_2) | instskip(NEXT) | instid1(VALU_DEP_2)
	v_fma_f64 v[6:7], v[6:7], v[2:3], v[10:11]
	v_fma_f64 v[8:9], v[8:9], v[2:3], v[4:5]
	v_dual_mov_b32 v2, s16 :: v_dual_mov_b32 v3, s17
	v_dual_mov_b32 v4, s30 :: v_dual_mov_b32 v5, s31
	ds_store_b128 v26, v[6:9] offset:8192
	s_wait_alu 0xfffe
	s_cbranch_vccnz .LBB116_144
; %bb.141:
	v_dual_mov_b32 v2, s16 :: v_dual_mov_b32 v3, s17
	v_dual_mov_b32 v4, s30 :: v_dual_mov_b32 v5, s31
	s_mov_b32 s7, 0
.LBB116_142:                            ; =>This Inner Loop Header: Depth=1
	s_delay_alu instid0(VALU_DEP_1) | instskip(SKIP_1) | instid1(VALU_DEP_2)
	v_add_co_u32 v6, vcc_lo, v4, v2
	s_wait_alu 0xfffd
	v_add_co_ci_u32_e64 v7, null, v5, v3, vcc_lo
	s_delay_alu instid0(VALU_DEP_1) | instskip(NEXT) | instid1(VALU_DEP_1)
	v_lshrrev_b32_e32 v8, 31, v7
	v_add_co_u32 v6, vcc_lo, v6, v8
	s_wait_alu 0xfffd
	v_add_co_ci_u32_e64 v7, null, 0, v7, vcc_lo
	s_delay_alu instid0(VALU_DEP_1) | instskip(NEXT) | instid1(VALU_DEP_1)
	v_ashrrev_i64 v[6:7], 1, v[6:7]
	v_lshlrev_b64_e32 v[8:9], 3, v[6:7]
	s_delay_alu instid0(VALU_DEP_1) | instskip(SKIP_1) | instid1(VALU_DEP_2)
	v_add_co_u32 v8, vcc_lo, s8, v8
	s_wait_alu 0xfffd
	v_add_co_ci_u32_e64 v9, null, s9, v9, vcc_lo
	global_load_b64 v[8:9], v[8:9], off
	s_wait_loadcnt 0x0
	v_sub_co_u32 v8, vcc_lo, v8, s24
	s_wait_alu 0xfffd
	v_subrev_co_ci_u32_e64 v9, null, 0, v9, vcc_lo
	s_delay_alu instid0(VALU_DEP_1) | instskip(SKIP_3) | instid1(VALU_DEP_2)
	v_cmp_lt_i64_e32 vcc_lo, v[16:17], v[8:9]
	s_wait_alu 0xfffd
	v_dual_cndmask_b32 v5, v5, v7 :: v_dual_cndmask_b32 v4, v4, v6
	v_dual_cndmask_b32 v3, v7, v3 :: v_dual_cndmask_b32 v2, v6, v2
	v_add_co_u32 v6, vcc_lo, v4, -1
	s_wait_alu 0xfffd
	s_delay_alu instid0(VALU_DEP_3) | instskip(NEXT) | instid1(VALU_DEP_3)
	v_add_co_ci_u32_e64 v7, null, -1, v5, vcc_lo
	v_cmp_ge_i64_e32 vcc_lo, v[2:3], v[4:5]
	s_delay_alu instid0(VALU_DEP_2)
	v_cmp_eq_u64_e64 s0, v[2:3], v[6:7]
	s_or_b32 s0, vcc_lo, s0
	s_wait_alu 0xfffe
	s_and_b32 s0, exec_lo, s0
	s_wait_alu 0xfffe
	s_or_b32 s7, s0, s7
	s_wait_alu 0xfffe
	s_and_not1_b32 exec_lo, exec_lo, s7
	s_cbranch_execnz .LBB116_142
; %bb.143:
	s_or_b32 exec_lo, exec_lo, s7
.LBB116_144:
	v_lshlrev_b64_e32 v[6:7], 3, v[4:5]
	s_mov_b32 s7, exec_lo
	s_delay_alu instid0(VALU_DEP_1) | instskip(SKIP_1) | instid1(VALU_DEP_2)
	v_add_co_u32 v6, vcc_lo, s8, v6
	s_wait_alu 0xfffd
	v_add_co_ci_u32_e64 v7, null, s9, v7, vcc_lo
	global_load_b64 v[6:7], v[6:7], off
	global_load_b64 v[8:9], v[18:19], off offset:6144
	s_wait_loadcnt 0x1
	v_sub_co_u32 v6, vcc_lo, v6, s24
	s_wait_alu 0xfffd
	v_subrev_co_ci_u32_e64 v7, null, 0, v7, vcc_lo
	s_delay_alu instid0(VALU_DEP_1)
	v_cmp_lt_i64_e32 vcc_lo, v[16:17], v[6:7]
	s_wait_alu 0xfffd
	v_dual_cndmask_b32 v3, v5, v3 :: v_dual_cndmask_b32 v2, v4, v2
	s_wait_loadcnt 0x0
	v_sub_co_u32 v14, vcc_lo, v8, s24
	s_wait_alu 0xfffd
	v_subrev_co_ci_u32_e64 v15, null, 0, v9, vcc_lo
	s_delay_alu instid0(VALU_DEP_1)
	v_cmpx_ne_u64_e64 v[14:15], v[2:3]
	s_cbranch_execz .LBB116_158
; %bb.145:
	s_load_b64 s[10:11], s[10:11], 0x0
	s_wait_kmcnt 0x0
	s_sub_nc_u64 s[10:11], s[10:11], s[24:25]
	s_wait_alu 0xfffe
	v_cmp_gt_i64_e32 vcc_lo, s[10:11], v[16:17]
	s_and_b32 exec_lo, exec_lo, vcc_lo
	s_cbranch_execz .LBB116_158
; %bb.146:
	v_cmp_gt_i64_e32 vcc_lo, s[12:13], v[14:15]
	v_cmp_le_i64_e64 s0, s[18:19], v[14:15]
	v_lshlrev_b64_e32 v[2:3], 4, v[2:3]
	s_or_b32 s0, vcc_lo, s0
	s_wait_alu 0xfffe
	s_and_saveexec_b32 s10, s0
	s_wait_alu 0xfffe
	s_xor_b32 s0, exec_lo, s10
	s_cbranch_execz .LBB116_152
; %bb.147:
	v_add_co_u32 v2, vcc_lo, s14, v2
	s_wait_alu 0xfffd
	v_add_co_ci_u32_e64 v3, null, s15, v3, vcc_lo
	v_lshlrev_b64_e32 v[6:7], 4, v[14:15]
	s_mov_b32 s10, 0
	global_load_b128 v[2:5], v[2:3], off
	v_add_co_u32 v16, vcc_lo, s20, v6
	s_wait_alu 0xfffd
	v_add_co_ci_u32_e64 v17, null, s21, v7, vcc_lo
	ds_load_b128 v[6:9], v26 offset:12288
	global_load_b64 v[12:13], v[16:17], off
	s_wait_loadcnt_dscnt 0x100
	v_mul_f64_e64 v[10:11], v[4:5], -v[8:9]
	s_delay_alu instid0(VALU_DEP_1)
	v_fma_f64 v[18:19], v[6:7], v[2:3], v[10:11]
.LBB116_148:                            ; =>This Inner Loop Header: Depth=1
	s_wait_loadcnt 0x0
	s_delay_alu instid0(VALU_DEP_1)
	v_add_f64_e32 v[10:11], v[12:13], v[18:19]
	global_atomic_cmpswap_b64 v[10:11], v[16:17], v[10:13], off th:TH_ATOMIC_RETURN scope:SCOPE_DEV
	s_wait_loadcnt 0x0
	v_cmp_eq_u64_e32 vcc_lo, v[10:11], v[12:13]
	v_dual_mov_b32 v13, v11 :: v_dual_mov_b32 v12, v10
	s_wait_alu 0xfffe
	s_or_b32 s10, vcc_lo, s10
	s_wait_alu 0xfffe
	s_and_not1_b32 exec_lo, exec_lo, s10
	s_cbranch_execnz .LBB116_148
; %bb.149:
	s_or_b32 exec_lo, exec_lo, s10
	global_load_b64 v[10:11], v[16:17], off offset:8
	v_mul_f64_e32 v[4:5], v[4:5], v[6:7]
	s_mov_b32 s10, 0
	s_delay_alu instid0(VALU_DEP_1)
	v_fma_f64 v[2:3], v[8:9], v[2:3], v[4:5]
.LBB116_150:                            ; =>This Inner Loop Header: Depth=1
	s_wait_loadcnt 0x0
	s_delay_alu instid0(VALU_DEP_1)
	v_add_f64_e32 v[8:9], v[10:11], v[2:3]
	global_atomic_cmpswap_b64 v[4:5], v[16:17], v[8:11], off offset:8 th:TH_ATOMIC_RETURN scope:SCOPE_DEV
	s_wait_loadcnt 0x0
	v_cmp_eq_u64_e32 vcc_lo, v[4:5], v[10:11]
	v_dual_mov_b32 v11, v5 :: v_dual_mov_b32 v10, v4
	s_wait_alu 0xfffe
	s_or_b32 s10, vcc_lo, s10
	s_wait_alu 0xfffe
	s_and_not1_b32 exec_lo, exec_lo, s10
	s_cbranch_execnz .LBB116_150
; %bb.151:
	s_or_b32 exec_lo, exec_lo, s10
                                        ; implicit-def: $vgpr2_vgpr3
.LBB116_152:
	s_wait_alu 0xfffe
	s_and_not1_saveexec_b32 s0, s0
	s_cbranch_execz .LBB116_158
; %bb.153:
	v_add_co_u32 v2, vcc_lo, s14, v2
	s_wait_alu 0xfffd
	v_add_co_ci_u32_e64 v3, null, s15, v3, vcc_lo
	ds_load_b128 v[6:9], v26 offset:12288
	v_subrev_nc_u32_e32 v12, s12, v14
	s_mov_b32 s0, 0
	global_load_b128 v[2:5], v[2:3], off
	v_lshl_add_u32 v16, v12, 4, 0x4000
	ds_load_b64 v[12:13], v16
	s_wait_loadcnt_dscnt 0x1
	v_mul_f64_e64 v[10:11], v[4:5], -v[8:9]
	s_delay_alu instid0(VALU_DEP_1)
	v_fma_f64 v[10:11], v[6:7], v[2:3], v[10:11]
.LBB116_154:                            ; =>This Inner Loop Header: Depth=1
	s_wait_dscnt 0x0
	s_delay_alu instid0(VALU_DEP_1)
	v_add_f64_e32 v[17:18], v[12:13], v[10:11]
	ds_cmpstore_rtn_b64 v[17:18], v16, v[17:18], v[12:13]
	s_wait_dscnt 0x0
	v_cmp_eq_u64_e32 vcc_lo, v[17:18], v[12:13]
	v_dual_mov_b32 v12, v17 :: v_dual_mov_b32 v13, v18
	s_wait_alu 0xfffe
	s_or_b32 s0, vcc_lo, s0
	s_wait_alu 0xfffe
	s_and_not1_b32 exec_lo, exec_lo, s0
	s_cbranch_execnz .LBB116_154
; %bb.155:
	s_or_b32 exec_lo, exec_lo, s0
	v_mul_f64_e32 v[4:5], v[4:5], v[6:7]
	s_mov_b32 s0, 0
	s_delay_alu instid0(VALU_DEP_1)
	v_fma_f64 v[2:3], v[8:9], v[2:3], v[4:5]
	ds_load_b64 v[4:5], v16 offset:8
.LBB116_156:                            ; =>This Inner Loop Header: Depth=1
	s_wait_dscnt 0x0
	v_add_f64_e32 v[6:7], v[4:5], v[2:3]
	ds_cmpstore_rtn_b64 v[6:7], v16, v[6:7], v[4:5] offset:8
	s_wait_dscnt 0x0
	v_cmp_eq_u64_e32 vcc_lo, v[6:7], v[4:5]
	v_dual_mov_b32 v4, v6 :: v_dual_mov_b32 v5, v7
	s_wait_alu 0xfffe
	s_or_b32 s0, vcc_lo, s0
	s_wait_alu 0xfffe
	s_and_not1_b32 exec_lo, exec_lo, s0
	s_cbranch_execnz .LBB116_156
; %bb.157:
	s_or_b32 exec_lo, exec_lo, s0
.LBB116_158:
	s_wait_alu 0xfffe
	s_or_b32 exec_lo, exec_lo, s7
	v_lshlrev_b64_e32 v[2:3], 4, v[14:15]
	ds_load_b128 v[6:9], v26 offset:12288
	v_add_co_u32 v2, vcc_lo, s14, v2
	s_wait_alu 0xfffd
	v_add_co_ci_u32_e64 v3, null, s15, v3, vcc_lo
	global_load_b128 v[2:5], v[2:3], off
	s_wait_loadcnt_dscnt 0x0
	v_mul_f64_e64 v[10:11], v[4:5], -v[8:9]
	v_mul_f64_e32 v[12:13], v[4:5], v[6:7]
	s_delay_alu instid0(VALU_DEP_2) | instskip(NEXT) | instid1(VALU_DEP_2)
	v_fma_f64 v[4:5], v[6:7], v[2:3], v[10:11]
	v_fma_f64 v[6:7], v[8:9], v[2:3], v[12:13]
	ds_store_b128 v26, v[4:7] offset:12288
.LBB116_159:
	s_wait_alu 0xfffe
	s_or_b32 exec_lo, exec_lo, s1
	v_cmp_lt_i64_e64 s0, s[18:19], s[2:3]
	s_wait_loadcnt_dscnt 0x0
	s_barrier_signal -1
	s_barrier_wait -1
	global_inv scope:SCOPE_SE
	s_and_b32 s0, s0, exec_lo
	s_cselect_b32 s1, s19, s3
	s_cselect_b32 s0, s18, s2
	s_wait_alu 0xfffe
	s_sub_nc_u64 s[2:3], s[0:1], s[22:23]
	s_mov_b32 s1, exec_lo
	s_wait_alu 0xfffe
	v_cmpx_gt_i64_e64 s[2:3], v[0:1]
	s_cbranch_execz .LBB116_166
; %bb.160:
	v_dual_mov_b32 v11, v1 :: v_dual_mov_b32 v10, v0
	s_lshl_b64 s[10:11], s[12:13], 4
	s_mov_b32 s7, 0
	s_wait_alu 0xfffe
	s_add_nc_u64 s[10:11], s[20:21], s[10:11]
.LBB116_161:                            ; =>This Loop Header: Depth=1
                                        ;     Child Loop BB116_162 Depth 2
                                        ;     Child Loop BB116_164 Depth 2
	v_lshlrev_b64_e32 v[2:3], 4, v[10:11]
	s_mov_b32 s12, 0
	s_wait_alu 0xfffe
	s_delay_alu instid0(VALU_DEP_1) | instskip(SKIP_1) | instid1(VALU_DEP_2)
	v_add_co_u32 v12, vcc_lo, s10, v2
	s_wait_alu 0xfffd
	v_add_co_ci_u32_e64 v13, null, s11, v3, vcc_lo
	v_lshl_add_u32 v2, v10, 4, 0x4000
	global_load_b64 v[8:9], v[12:13], off
	ds_load_2addr_b64 v[2:5], v2 offset1:1
.LBB116_162:                            ;   Parent Loop BB116_161 Depth=1
                                        ; =>  This Inner Loop Header: Depth=2
	s_wait_loadcnt_dscnt 0x0
	v_add_f64_e32 v[6:7], v[8:9], v[2:3]
	global_atomic_cmpswap_b64 v[6:7], v[12:13], v[6:9], off th:TH_ATOMIC_RETURN scope:SCOPE_DEV
	s_wait_loadcnt 0x0
	v_cmp_eq_u64_e32 vcc_lo, v[6:7], v[8:9]
	v_dual_mov_b32 v9, v7 :: v_dual_mov_b32 v8, v6
	s_or_b32 s12, vcc_lo, s12
	s_wait_alu 0xfffe
	s_and_not1_b32 exec_lo, exec_lo, s12
	s_cbranch_execnz .LBB116_162
; %bb.163:                              ;   in Loop: Header=BB116_161 Depth=1
	s_or_b32 exec_lo, exec_lo, s12
	global_load_b64 v[8:9], v[12:13], off offset:8
	s_mov_b32 s12, 0
.LBB116_164:                            ;   Parent Loop BB116_161 Depth=1
                                        ; =>  This Inner Loop Header: Depth=2
	s_wait_loadcnt 0x0
	v_add_f64_e32 v[6:7], v[8:9], v[4:5]
	global_atomic_cmpswap_b64 v[2:3], v[12:13], v[6:9], off offset:8 th:TH_ATOMIC_RETURN scope:SCOPE_DEV
	s_wait_loadcnt 0x0
	v_cmp_eq_u64_e32 vcc_lo, v[2:3], v[8:9]
	v_dual_mov_b32 v9, v3 :: v_dual_mov_b32 v8, v2
	s_wait_alu 0xfffe
	s_or_b32 s12, vcc_lo, s12
	s_wait_alu 0xfffe
	s_and_not1_b32 exec_lo, exec_lo, s12
	s_cbranch_execnz .LBB116_164
; %bb.165:                              ;   in Loop: Header=BB116_161 Depth=1
	s_or_b32 exec_lo, exec_lo, s12
	v_add_co_u32 v10, vcc_lo, 0x100, v10
	s_wait_alu 0xfffd
	v_add_co_ci_u32_e64 v11, null, 0, v11, vcc_lo
	s_delay_alu instid0(VALU_DEP_1)
	v_cmp_le_i64_e32 vcc_lo, s[2:3], v[10:11]
	s_or_b32 s7, vcc_lo, s7
	s_wait_alu 0xfffe
	s_and_not1_b32 exec_lo, exec_lo, s7
	s_cbranch_execnz .LBB116_161
.LBB116_166:
	s_or_b32 exec_lo, exec_lo, s1
	s_add_co_i32 s1, s28, -1
	v_add_co_u32 v10, s7, s16, v0
	s_wait_alu 0xfffe
	s_ashr_i32 s3, s1, 1
	v_add_co_ci_u32_e64 v11, null, s17, 0, s7
	s_wait_alu 0xfffe
	s_or_b32 s1, s3, s1
	s_wait_loadcnt 0x0
	s_wait_alu 0xfffe
	s_ashr_i32 s3, s1, 2
	s_barrier_signal -1
	s_wait_alu 0xfffe
	s_or_b32 s1, s3, s1
	s_barrier_wait -1
	s_wait_alu 0xfffe
	s_ashr_i32 s3, s1, 4
	global_inv scope:SCOPE_SE
	s_wait_alu 0xfffe
	s_or_b32 s1, s3, s1
	s_wait_alu 0xfffe
	s_ashr_i32 s3, s1, 8
	s_wait_alu 0xfffe
	s_or_b32 s1, s3, s1
	s_wait_alu 0xfffe
	s_ashr_i32 s3, s1, 16
	s_wait_alu 0xfffe
	s_or_b32 s3, s3, s1
	s_mov_b32 s1, -1
	s_wait_alu 0xfffe
	s_add_co_i32 s3, s3, 1
	s_wait_alu 0xfffe
	s_ashr_i32 s10, s3, 1
	s_wait_alu 0xfffe
	s_cmp_gt_i32 s10, 1
	s_cbranch_scc1 .LBB116_179
; %bb.167:
	s_mov_b32 s1, exec_lo
	v_cmpx_gt_i64_e64 s[18:19], v[10:11]
	s_cbranch_execz .LBB116_178
; %bb.168:
	s_sub_co_i32 s0, s0, s18
	v_dual_mov_b32 v13, v11 :: v_dual_mov_b32 v12, v10
	s_lshl_b32 s7, s4, 4
	s_wait_alu 0xfffe
	s_lshl_b32 s0, s0, 4
	s_mov_b32 s3, 0
	s_wait_alu 0xfffe
	s_addk_co_i32 s0, 0x4000
	s_sub_co_i32 s7, 0, s7
.LBB116_169:                            ; =>This Loop Header: Depth=1
                                        ;     Child Loop BB116_171 Depth 2
                                        ;     Child Loop BB116_174 Depth 2
	;; [unrolled: 1-line block ×3, first 2 shown]
	v_lshlrev_b64_e32 v[2:3], 3, v[12:13]
	v_mov_b32_e32 v14, 0
	v_dual_mov_b32 v15, 0 :: v_dual_mov_b32 v6, 0
	v_mov_b32_e32 v7, 0
	s_mov_b32 s11, exec_lo
	s_delay_alu instid0(VALU_DEP_4)
	v_add_co_u32 v2, vcc_lo, s8, v2
	s_wait_alu 0xfffd
	v_add_co_ci_u32_e64 v3, null, s9, v3, vcc_lo
	global_load_b128 v[2:5], v[2:3], off
	s_wait_loadcnt 0x0
	v_cmpx_lt_i64_e64 v[2:3], v[4:5]
	s_cbranch_execz .LBB116_173
; %bb.170:                              ;   in Loop: Header=BB116_169 Depth=1
	v_sub_co_u32 v4, vcc_lo, v4, s4
	s_wait_alu 0xfffd
	v_subrev_co_ci_u32_e64 v5, null, s5, v5, vcc_lo
	v_sub_co_u32 v8, vcc_lo, v2, s4
	v_mov_b32_e32 v14, 0
	v_dual_mov_b32 v15, 0 :: v_dual_mov_b32 v6, 0
	s_wait_alu 0xfffd
	v_subrev_co_ci_u32_e64 v9, null, s5, v3, vcc_lo
	v_mov_b32_e32 v7, 0
	s_wait_alu 0xfffe
	v_lshl_add_u32 v2, v2, 4, s7
	s_mov_b32 s12, 0
.LBB116_171:                            ;   Parent Loop BB116_169 Depth=1
                                        ; =>  This Inner Loop Header: Depth=2
	ds_load_b128 v[16:19], v2
	v_add_co_u32 v8, vcc_lo, v8, 1
	s_wait_alu 0xfffd
	v_add_co_ci_u32_e64 v9, null, 0, v9, vcc_lo
	v_add_nc_u32_e32 v2, 16, v2
	s_delay_alu instid0(VALU_DEP_2)
	v_cmp_ge_i64_e32 vcc_lo, v[8:9], v[4:5]
	s_wait_alu 0xfffe
	s_or_b32 s12, vcc_lo, s12
	s_wait_dscnt 0x0
	v_add_f64_e32 v[6:7], v[6:7], v[16:17]
	v_add_f64_e32 v[14:15], v[14:15], v[18:19]
	s_wait_alu 0xfffe
	s_and_not1_b32 exec_lo, exec_lo, s12
	s_cbranch_execnz .LBB116_171
; %bb.172:                              ;   in Loop: Header=BB116_169 Depth=1
	s_or_b32 exec_lo, exec_lo, s12
.LBB116_173:                            ;   in Loop: Header=BB116_169 Depth=1
	s_wait_alu 0xfffe
	s_or_b32 exec_lo, exec_lo, s11
	v_lshlrev_b64_e32 v[2:3], 4, v[12:13]
	s_mov_b32 s11, 0
	s_delay_alu instid0(VALU_DEP_1) | instskip(SKIP_1) | instid1(VALU_DEP_2)
	v_add_co_u32 v16, vcc_lo, s20, v2
	s_wait_alu 0xfffd
	v_add_co_ci_u32_e64 v17, null, s21, v3, vcc_lo
	v_lshl_add_u32 v2, v12, 4, s0
	global_load_b64 v[8:9], v[16:17], off
	ds_load_2addr_b64 v[2:5], v2 offset1:1
	s_wait_dscnt 0x0
	v_add_f64_e32 v[2:3], v[6:7], v[2:3]
.LBB116_174:                            ;   Parent Loop BB116_169 Depth=1
                                        ; =>  This Inner Loop Header: Depth=2
	s_wait_loadcnt 0x0
	s_delay_alu instid0(VALU_DEP_1)
	v_add_f64_e32 v[6:7], v[8:9], v[2:3]
	global_atomic_cmpswap_b64 v[6:7], v[16:17], v[6:9], off th:TH_ATOMIC_RETURN scope:SCOPE_DEV
	s_wait_loadcnt 0x0
	v_cmp_eq_u64_e32 vcc_lo, v[6:7], v[8:9]
	v_dual_mov_b32 v9, v7 :: v_dual_mov_b32 v8, v6
	s_wait_alu 0xfffe
	s_or_b32 s11, vcc_lo, s11
	s_wait_alu 0xfffe
	s_and_not1_b32 exec_lo, exec_lo, s11
	s_cbranch_execnz .LBB116_174
; %bb.175:                              ;   in Loop: Header=BB116_169 Depth=1
	s_or_b32 exec_lo, exec_lo, s11
	global_load_b64 v[6:7], v[16:17], off offset:8
	v_add_f64_e32 v[2:3], v[14:15], v[4:5]
	s_mov_b32 s11, 0
.LBB116_176:                            ;   Parent Loop BB116_169 Depth=1
                                        ; =>  This Inner Loop Header: Depth=2
	s_wait_loadcnt 0x0
	s_delay_alu instid0(VALU_DEP_1)
	v_add_f64_e32 v[4:5], v[6:7], v[2:3]
	global_atomic_cmpswap_b64 v[4:5], v[16:17], v[4:7], off offset:8 th:TH_ATOMIC_RETURN scope:SCOPE_DEV
	s_wait_loadcnt 0x0
	v_cmp_eq_u64_e32 vcc_lo, v[4:5], v[6:7]
	v_dual_mov_b32 v7, v5 :: v_dual_mov_b32 v6, v4
	s_wait_alu 0xfffe
	s_or_b32 s11, vcc_lo, s11
	s_wait_alu 0xfffe
	s_and_not1_b32 exec_lo, exec_lo, s11
	s_cbranch_execnz .LBB116_176
; %bb.177:                              ;   in Loop: Header=BB116_169 Depth=1
	s_or_b32 exec_lo, exec_lo, s11
	v_add_co_u32 v12, vcc_lo, v12, s6
	s_wait_alu 0xfffd
	v_add_co_ci_u32_e64 v13, null, 0, v13, vcc_lo
	s_delay_alu instid0(VALU_DEP_1)
	v_cmp_le_i64_e32 vcc_lo, s[18:19], v[12:13]
	s_or_b32 s3, vcc_lo, s3
	s_wait_alu 0xfffe
	s_and_not1_b32 exec_lo, exec_lo, s3
	s_cbranch_execnz .LBB116_169
.LBB116_178:
	s_wait_alu 0xfffe
	s_or_b32 exec_lo, exec_lo, s1
	s_mov_b32 s1, 0
.LBB116_179:
	s_wait_alu 0xfffe
	s_and_not1_b32 vcc_lo, exec_lo, s1
	s_wait_alu 0xfffe
	s_cbranch_vccnz .LBB116_199
; %bb.180:
	s_cvt_f32_u32 s0, s10
	s_sub_co_i32 s1, 0, s10
	s_mov_b32 s11, 0
	s_wait_alu 0xfffe
	v_rcp_iflag_f32_e32 v2, s0
	s_delay_alu instid0(TRANS32_DEP_1) | instskip(SKIP_2) | instid1(SALU_CYCLE_2)
	v_readfirstlane_b32 s0, v2
	s_mul_f32 s0, s0, 0x4f7ffffe
	s_wait_alu 0xfffe
	s_cvt_u32_f32 s0, s0
	s_wait_alu 0xfffe
	s_delay_alu instid0(SALU_CYCLE_2)
	s_mul_i32 s3, s1, s0
	s_wait_alu 0xfffe
	s_mul_hi_u32 s3, s0, s3
	s_wait_alu 0xfffe
	s_add_co_i32 s0, s0, s3
	s_wait_alu 0xfffe
	v_mul_hi_u32 v2, v0, s0
	s_mov_b32 s0, exec_lo
	s_delay_alu instid0(VALU_DEP_1) | instskip(SKIP_1) | instid1(VALU_DEP_2)
	v_mul_lo_u32 v3, v2, s10
	v_add_nc_u32_e32 v4, 1, v2
	v_sub_nc_u32_e32 v3, v0, v3
	s_delay_alu instid0(VALU_DEP_1) | instskip(SKIP_3) | instid1(VALU_DEP_3)
	v_subrev_nc_u32_e32 v5, s10, v3
	v_cmp_le_u32_e32 vcc_lo, s10, v3
	s_wait_alu 0xfffd
	v_cndmask_b32_e32 v2, v2, v4, vcc_lo
	v_dual_cndmask_b32 v4, v3, v5 :: v_dual_mov_b32 v3, 0
	s_delay_alu instid0(VALU_DEP_2) | instskip(NEXT) | instid1(VALU_DEP_2)
	v_add_nc_u32_e32 v5, 1, v2
	v_cmp_le_u32_e32 vcc_lo, s10, v4
	s_wait_alu 0xfffd
	s_delay_alu instid0(VALU_DEP_2) | instskip(NEXT) | instid1(VALU_DEP_1)
	v_cndmask_b32_e32 v2, v2, v5, vcc_lo
	v_lshlrev_b64_e32 v[4:5], 3, v[2:3]
	s_delay_alu instid0(VALU_DEP_1) | instskip(SKIP_1) | instid1(VALU_DEP_2)
	v_add_co_u32 v4, vcc_lo, s26, v4
	s_wait_alu 0xfffd
	v_add_co_ci_u32_e64 v5, null, s27, v5, vcc_lo
	global_load_b128 v[6:9], v[4:5], off
	v_mov_b32_e32 v4, v3
	s_wait_loadcnt 0x0
	v_sub_co_u32 v6, vcc_lo, v6, s4
	s_wait_alu 0xfffd
	v_subrev_co_ci_u32_e64 v7, null, s5, v7, vcc_lo
	v_sub_co_u32 v15, vcc_lo, v8, s4
	s_wait_alu 0xfffd
	v_subrev_co_ci_u32_e64 v16, null, s5, v9, vcc_lo
                                        ; implicit-def: $vgpr8_vgpr9
	s_delay_alu instid0(VALU_DEP_2) | instskip(SKIP_1) | instid1(VALU_DEP_2)
	v_sub_co_u32 v12, vcc_lo, v15, v6
	s_wait_alu 0xfffd
	v_sub_co_ci_u32_e64 v5, null, v16, v7, vcc_lo
	s_delay_alu instid0(VALU_DEP_1)
	v_cmpx_ne_u64_e32 0, v[4:5]
	s_wait_alu 0xfffe
	s_xor_b32 s3, exec_lo, s0
	s_cbranch_execz .LBB116_182
; %bb.181:
	s_add_nc_u64 s[4:5], s[10:11], 0
	s_mov_b32 s13, s11
	s_wait_alu 0xfffe
	s_xor_b64 s[4:5], s[4:5], 0
	s_mov_b32 s17, s11
	s_wait_alu 0xfffe
	s_cvt_f32_u32 s0, s4
	s_cvt_f32_u32 s6, s5
	s_sub_nc_u64 s[8:9], 0, s[4:5]
	v_ashrrev_i32_e32 v14, 31, v5
	s_wait_alu 0xfffe
	s_fmamk_f32 s0, s6, 0x4f800000, s0
	s_delay_alu instid0(VALU_DEP_1) | instskip(SKIP_1) | instid1(SALU_CYCLE_1)
	v_add_co_u32 v4, vcc_lo, v12, v14
	s_wait_alu 0xfffe
	v_s_rcp_f32 s0, s0
	s_wait_alu 0xfffd
	v_add_co_ci_u32_e64 v5, null, v5, v14, vcc_lo
	v_xor_b32_e32 v17, v4, v14
	s_delay_alu instid0(VALU_DEP_2) | instskip(NEXT) | instid1(TRANS32_DEP_1)
	v_xor_b32_e32 v18, v5, v14
	s_mul_f32 s0, s0, 0x5f7ffffc
	s_wait_alu 0xfffe
	s_delay_alu instid0(SALU_CYCLE_2) | instskip(SKIP_1) | instid1(SALU_CYCLE_2)
	s_mul_f32 s6, s0, 0x2f800000
	s_wait_alu 0xfffe
	s_trunc_f32 s6, s6
	s_wait_alu 0xfffe
	s_delay_alu instid0(SALU_CYCLE_2) | instskip(SKIP_2) | instid1(SALU_CYCLE_1)
	s_fmamk_f32 s0, s6, 0xcf800000, s0
	s_cvt_u32_f32 s7, s6
	s_wait_alu 0xfffe
	s_cvt_u32_f32 s6, s0
	s_wait_alu 0xfffe
	s_delay_alu instid0(SALU_CYCLE_2)
	s_mul_u64 s[14:15], s[8:9], s[6:7]
	s_wait_alu 0xfffe
	s_mul_hi_u32 s19, s6, s15
	s_mul_i32 s18, s6, s15
	s_mul_hi_u32 s12, s6, s14
	s_mul_i32 s16, s7, s14
	s_wait_alu 0xfffe
	s_add_nc_u64 s[12:13], s[12:13], s[18:19]
	s_mul_hi_u32 s0, s7, s14
	s_mul_hi_u32 s24, s7, s15
	s_wait_alu 0xfffe
	s_add_co_u32 s12, s12, s16
	s_add_co_ci_u32 s16, s13, s0
	s_mul_i32 s14, s7, s15
	s_add_co_ci_u32 s15, s24, 0
	s_wait_alu 0xfffe
	s_add_nc_u64 s[12:13], s[16:17], s[14:15]
	s_mov_b32 s15, s11
	s_wait_alu 0xfffe
	s_add_co_u32 s6, s6, s12
	s_cselect_b32 s0, -1, 0
	s_wait_alu 0xfffe
	s_cmp_lg_u32 s0, 0
	s_add_co_ci_u32 s7, s7, s13
	s_mov_b32 s13, s11
	s_wait_alu 0xfffe
	s_mul_u64 s[8:9], s[8:9], s[6:7]
	s_wait_alu 0xfffe
	s_mul_hi_u32 s17, s6, s9
	s_mul_i32 s16, s6, s9
	s_mul_hi_u32 s14, s6, s8
	s_mul_i32 s11, s7, s8
	s_wait_alu 0xfffe
	s_add_nc_u64 s[14:15], s[14:15], s[16:17]
	s_mul_hi_u32 s0, s7, s8
	s_mul_hi_u32 s18, s7, s9
	s_mul_i32 s8, s7, s9
	s_wait_alu 0xfffe
	s_add_co_u32 s9, s14, s11
	s_add_co_ci_u32 s12, s15, s0
	s_add_co_ci_u32 s9, s18, 0
	s_wait_alu 0xfffe
	s_add_nc_u64 s[8:9], s[12:13], s[8:9]
	s_wait_alu 0xfffe
	s_add_co_u32 s0, s6, s8
	s_cselect_b32 s6, -1, 0
	s_wait_alu 0xfffe
	v_mul_hi_u32 v19, v17, s0
	s_cmp_lg_u32 s6, 0
	v_mad_co_u64_u32 v[8:9], null, v18, s0, 0
	s_add_co_ci_u32 s6, s7, s9
	s_wait_alu 0xfffe
	v_mad_co_u64_u32 v[4:5], null, v17, s6, 0
	v_mad_co_u64_u32 v[12:13], null, v18, s6, 0
	s_delay_alu instid0(VALU_DEP_2) | instskip(SKIP_1) | instid1(VALU_DEP_3)
	v_add_co_u32 v4, vcc_lo, v19, v4
	s_wait_alu 0xfffd
	v_add_co_ci_u32_e64 v5, null, 0, v5, vcc_lo
	s_delay_alu instid0(VALU_DEP_2) | instskip(SKIP_1) | instid1(VALU_DEP_2)
	v_add_co_u32 v4, vcc_lo, v4, v8
	s_wait_alu 0xfffd
	v_add_co_ci_u32_e32 v4, vcc_lo, v5, v9, vcc_lo
	s_wait_alu 0xfffd
	v_add_co_ci_u32_e32 v5, vcc_lo, 0, v13, vcc_lo
	s_delay_alu instid0(VALU_DEP_2) | instskip(SKIP_1) | instid1(VALU_DEP_2)
	v_add_co_u32 v8, vcc_lo, v4, v12
	s_wait_alu 0xfffd
	v_add_co_ci_u32_e64 v9, null, 0, v5, vcc_lo
	s_delay_alu instid0(VALU_DEP_2) | instskip(SKIP_1) | instid1(VALU_DEP_3)
	v_mul_lo_u32 v12, s5, v8
	v_mad_co_u64_u32 v[4:5], null, s4, v8, 0
	v_mul_lo_u32 v13, s4, v9
	s_delay_alu instid0(VALU_DEP_2) | instskip(NEXT) | instid1(VALU_DEP_2)
	v_sub_co_u32 v4, vcc_lo, v17, v4
	v_add3_u32 v5, v5, v13, v12
	v_add_co_u32 v13, s0, v8, 2
	s_wait_alu 0xf1ff
	v_add_co_ci_u32_e64 v17, null, 0, v9, s0
	s_delay_alu instid0(VALU_DEP_3) | instskip(SKIP_3) | instid1(VALU_DEP_3)
	v_sub_nc_u32_e32 v12, v18, v5
	v_sub_co_u32 v19, s0, v4, s4
	s_wait_alu 0xfffd
	v_sub_co_ci_u32_e64 v5, null, v18, v5, vcc_lo
	v_subrev_co_ci_u32_e64 v12, null, s5, v12, vcc_lo
	s_delay_alu instid0(VALU_DEP_3) | instskip(SKIP_1) | instid1(VALU_DEP_2)
	v_cmp_le_u32_e32 vcc_lo, s4, v19
	s_wait_alu 0xf1ff
	v_subrev_co_ci_u32_e64 v12, null, 0, v12, s0
	s_wait_alu 0xfffd
	v_cndmask_b32_e64 v18, 0, -1, vcc_lo
	v_cmp_eq_u32_e64 s0, s5, v5
	s_delay_alu instid0(VALU_DEP_3)
	v_cmp_le_u32_e32 vcc_lo, s5, v12
	s_wait_alu 0xfffd
	v_cndmask_b32_e64 v19, 0, -1, vcc_lo
	v_cmp_le_u32_e32 vcc_lo, s4, v4
	s_wait_alu 0xfffd
	v_cndmask_b32_e64 v4, 0, -1, vcc_lo
	v_cmp_le_u32_e32 vcc_lo, s5, v5
	s_wait_alu 0xfffd
	v_cndmask_b32_e64 v20, 0, -1, vcc_lo
	v_cmp_eq_u32_e32 vcc_lo, s5, v12
	s_wait_alu 0xf1ff
	s_delay_alu instid0(VALU_DEP_2)
	v_cndmask_b32_e64 v4, v20, v4, s0
	s_wait_alu 0xfffd
	v_cndmask_b32_e32 v12, v19, v18, vcc_lo
	v_add_co_u32 v18, vcc_lo, v8, 1
	s_wait_alu 0xfffd
	v_add_co_ci_u32_e64 v19, null, 0, v9, vcc_lo
	s_delay_alu instid0(VALU_DEP_3) | instskip(SKIP_1) | instid1(VALU_DEP_2)
	v_cmp_ne_u32_e32 vcc_lo, 0, v12
	s_wait_alu 0xfffd
	v_cndmask_b32_e32 v5, v19, v17, vcc_lo
	v_cndmask_b32_e32 v12, v18, v13, vcc_lo
	v_cmp_ne_u32_e32 vcc_lo, 0, v4
	s_wait_alu 0xfffd
	s_delay_alu instid0(VALU_DEP_2) | instskip(NEXT) | instid1(VALU_DEP_1)
	v_dual_cndmask_b32 v4, v9, v5 :: v_dual_cndmask_b32 v5, v8, v12
                                        ; implicit-def: $vgpr12
	v_xor_b32_e32 v4, v4, v14
	s_delay_alu instid0(VALU_DEP_2) | instskip(NEXT) | instid1(VALU_DEP_1)
	v_xor_b32_e32 v5, v5, v14
	v_sub_co_u32 v8, vcc_lo, v5, v14
	s_wait_alu 0xfffd
	s_delay_alu instid0(VALU_DEP_3)
	v_sub_co_ci_u32_e64 v9, null, v4, v14, vcc_lo
.LBB116_182:
	s_wait_alu 0xfffe
	s_and_not1_saveexec_b32 s0, s3
	s_cbranch_execz .LBB116_184
; %bb.183:
	v_cvt_f32_u32_e32 v4, s10
	s_delay_alu instid0(VALU_DEP_1) | instskip(NEXT) | instid1(TRANS32_DEP_1)
	v_rcp_iflag_f32_e32 v4, v4
	v_mul_f32_e32 v4, 0x4f7ffffe, v4
	s_delay_alu instid0(VALU_DEP_1) | instskip(NEXT) | instid1(VALU_DEP_1)
	v_cvt_u32_f32_e32 v4, v4
	v_mul_lo_u32 v5, s1, v4
	s_delay_alu instid0(VALU_DEP_1) | instskip(NEXT) | instid1(VALU_DEP_1)
	v_mul_hi_u32 v5, v4, v5
	v_add_nc_u32_e32 v4, v4, v5
	s_delay_alu instid0(VALU_DEP_1) | instskip(NEXT) | instid1(VALU_DEP_1)
	v_mul_hi_u32 v4, v12, v4
	v_mul_lo_u32 v5, v4, s10
	v_add_nc_u32_e32 v8, 1, v4
	s_delay_alu instid0(VALU_DEP_2) | instskip(NEXT) | instid1(VALU_DEP_1)
	v_sub_nc_u32_e32 v5, v12, v5
	v_subrev_nc_u32_e32 v9, s10, v5
	v_cmp_le_u32_e32 vcc_lo, s10, v5
	s_wait_alu 0xfffd
	s_delay_alu instid0(VALU_DEP_2) | instskip(SKIP_1) | instid1(VALU_DEP_2)
	v_dual_cndmask_b32 v5, v5, v9 :: v_dual_cndmask_b32 v4, v4, v8
	v_mov_b32_e32 v9, 0
	v_cmp_le_u32_e32 vcc_lo, s10, v5
	s_delay_alu instid0(VALU_DEP_3) | instskip(SKIP_1) | instid1(VALU_DEP_1)
	v_add_nc_u32_e32 v8, 1, v4
	s_wait_alu 0xfffd
	v_cndmask_b32_e32 v8, v4, v8, vcc_lo
.LBB116_184:
	s_wait_alu 0xfffe
	s_or_b32 exec_lo, exec_lo, s0
	v_mov_b32_e32 v4, 0
	v_cmp_gt_i64_e32 vcc_lo, s[22:23], v[2:3]
	v_dual_mov_b32 v5, 0 :: v_dual_mov_b32 v2, 0
	v_mov_b32_e32 v3, 0
	s_and_saveexec_b32 s0, vcc_lo
	s_cbranch_execz .LBB116_192
; %bb.185:
	s_add_co_i32 s1, s10, -1
	v_mov_b32_e32 v4, 0
	s_wait_alu 0xfffe
	v_dual_mov_b32 v5, 0 :: v_dual_and_b32 v12, s1, v0
	v_mov_b32_e32 v2, 0
	v_mov_b32_e32 v3, 0
	s_mov_b32 s1, exec_lo
	s_delay_alu instid0(VALU_DEP_3)
	v_lshlrev_b32_e32 v17, 4, v12
	v_cmpx_lt_i64_e32 0, v[8:9]
	s_cbranch_execz .LBB116_189
; %bb.186:
	v_mov_b32_e32 v4, 0
	v_dual_mov_b32 v5, 0 :: v_dual_mov_b32 v14, v9
	v_lshl_add_u32 v18, v6, 4, v17
	s_delay_alu instid0(VALU_DEP_3) | instskip(NEXT) | instid1(VALU_DEP_3)
	v_dual_mov_b32 v13, v8 :: v_dual_mov_b32 v2, v4
	v_mov_b32_e32 v3, v5
	s_lshl_b32 s4, s10, 4
	s_mov_b32 s3, 0
.LBB116_187:                            ; =>This Inner Loop Header: Depth=1
	ds_load_b128 v[19:22], v18
	v_add_co_u32 v13, vcc_lo, v13, -1
	s_wait_alu 0xfffd
	v_add_co_ci_u32_e64 v14, null, -1, v14, vcc_lo
	s_wait_alu 0xfffe
	v_add_nc_u32_e32 v18, s4, v18
	s_delay_alu instid0(VALU_DEP_2)
	v_cmp_eq_u64_e32 vcc_lo, 0, v[13:14]
	s_or_b32 s3, vcc_lo, s3
	s_wait_dscnt 0x0
	v_add_f64_e32 v[2:3], v[2:3], v[19:20]
	v_add_f64_e32 v[4:5], v[4:5], v[21:22]
	s_wait_alu 0xfffe
	s_and_not1_b32 exec_lo, exec_lo, s3
	s_cbranch_execnz .LBB116_187
; %bb.188:
	s_or_b32 exec_lo, exec_lo, s3
.LBB116_189:
	s_wait_alu 0xfffe
	s_or_b32 exec_lo, exec_lo, s1
	v_mad_co_u64_u32 v[6:7], null, v8, s10, v[6:7]
	v_mov_b32_e32 v13, 0
	s_mov_b32 s1, exec_lo
	s_delay_alu instid0(VALU_DEP_2) | instskip(NEXT) | instid1(VALU_DEP_3)
	v_mad_co_u64_u32 v[7:8], null, v9, s10, v[7:8]
	v_sub_co_u32 v8, vcc_lo, v15, v6
	s_wait_alu 0xfffd
	s_delay_alu instid0(VALU_DEP_2) | instskip(NEXT) | instid1(VALU_DEP_1)
	v_sub_co_ci_u32_e64 v9, null, v16, v7, vcc_lo
	v_cmpx_gt_i64_e64 v[8:9], v[12:13]
	s_cbranch_execz .LBB116_191
; %bb.190:
	v_lshl_add_u32 v6, v6, 4, v17
	ds_load_b128 v[6:9], v6
	s_wait_dscnt 0x0
	v_add_f64_e32 v[2:3], v[2:3], v[6:7]
	v_add_f64_e32 v[4:5], v[4:5], v[8:9]
.LBB116_191:
	s_wait_alu 0xfffe
	s_or_b32 exec_lo, exec_lo, s1
.LBB116_192:
	s_wait_alu 0xfffe
	s_or_b32 exec_lo, exec_lo, s0
	v_cmp_gt_i64_e32 vcc_lo, s[22:23], v[0:1]
	s_barrier_signal -1
	s_barrier_wait -1
	global_inv scope:SCOPE_SE
	ds_store_b128 v26, v[2:5]
	s_wait_loadcnt_dscnt 0x0
	s_barrier_signal -1
	s_barrier_wait -1
	global_inv scope:SCOPE_SE
	s_and_b32 exec_lo, exec_lo, vcc_lo
	s_cbranch_execz .LBB116_199
; %bb.193:
	v_mul_lo_u32 v1, s10, v0
	v_mov_b32_e32 v8, 0
	v_dual_mov_b32 v9, 0 :: v_dual_mov_b32 v4, 0
	v_mov_b32_e32 v5, 0
	s_delay_alu instid0(VALU_DEP_4)
	v_lshlrev_b32_e32 v1, 4, v1
.LBB116_194:                            ; =>This Inner Loop Header: Depth=1
	ds_load_b128 v[12:15], v1
	v_add_nc_u32_e32 v1, 16, v1
	s_add_co_i32 s10, s10, -1
	s_wait_alu 0xfffe
	s_cmp_eq_u32 s10, 0
	s_wait_dscnt 0x0
	v_add_f64_e32 v[4:5], v[4:5], v[12:13]
	v_add_f64_e32 v[8:9], v[8:9], v[14:15]
	s_cbranch_scc0 .LBB116_194
; %bb.195:
	v_lshlrev_b64_e32 v[1:2], 4, v[10:11]
	v_lshlrev_b32_e32 v0, 4, v0
	s_lshl_b32 s0, s2, 4
	s_wait_alu 0xfffe
	s_delay_alu instid0(VALU_DEP_1) | instskip(NEXT) | instid1(VALU_DEP_3)
	v_add3_u32 v0, 0x4000, s0, v0
	v_add_co_u32 v10, vcc_lo, s20, v1
	s_wait_alu 0xfffd
	v_add_co_ci_u32_e64 v11, null, s21, v2, vcc_lo
	ds_load_2addr_b64 v[0:3], v0 offset1:1
	s_mov_b32 s0, 0
	global_load_b64 v[6:7], v[10:11], off
	s_wait_dscnt 0x0
	v_add_f64_e32 v[0:1], v[4:5], v[0:1]
.LBB116_196:                            ; =>This Inner Loop Header: Depth=1
	s_wait_loadcnt 0x0
	s_delay_alu instid0(VALU_DEP_1)
	v_add_f64_e32 v[4:5], v[6:7], v[0:1]
	global_atomic_cmpswap_b64 v[4:5], v[10:11], v[4:7], off th:TH_ATOMIC_RETURN scope:SCOPE_DEV
	s_wait_loadcnt 0x0
	v_cmp_eq_u64_e32 vcc_lo, v[4:5], v[6:7]
	v_dual_mov_b32 v7, v5 :: v_dual_mov_b32 v6, v4
	s_wait_alu 0xfffe
	s_or_b32 s0, vcc_lo, s0
	s_wait_alu 0xfffe
	s_and_not1_b32 exec_lo, exec_lo, s0
	s_cbranch_execnz .LBB116_196
; %bb.197:
	s_or_b32 exec_lo, exec_lo, s0
	global_load_b64 v[4:5], v[10:11], off offset:8
	v_add_f64_e32 v[0:1], v[8:9], v[2:3]
	s_mov_b32 s0, 0
.LBB116_198:                            ; =>This Inner Loop Header: Depth=1
	s_wait_loadcnt 0x0
	s_delay_alu instid0(VALU_DEP_1)
	v_add_f64_e32 v[2:3], v[4:5], v[0:1]
	global_atomic_cmpswap_b64 v[2:3], v[10:11], v[2:5], off offset:8 th:TH_ATOMIC_RETURN scope:SCOPE_DEV
	s_wait_loadcnt 0x0
	v_cmp_eq_u64_e32 vcc_lo, v[2:3], v[4:5]
	v_dual_mov_b32 v5, v3 :: v_dual_mov_b32 v4, v2
	s_wait_alu 0xfffe
	s_or_b32 s0, vcc_lo, s0
	s_wait_alu 0xfffe
	s_and_not1_b32 exec_lo, exec_lo, s0
	s_cbranch_execnz .LBB116_198
.LBB116_199:
	s_endpgm
	.section	.rodata,"a",@progbits
	.p2align	6, 0x0
	.amdhsa_kernel _ZN9rocsparseL27csrmvn_symm_adaptive_kernelIll21rocsparse_complex_numIfES1_IdES3_S3_EEvbT_S4_PKS4_NS_24const_host_device_scalarIT4_EES6_PKT0_PKT1_PKT2_S9_PT3_21rocsparse_index_base_b
		.amdhsa_group_segment_fixed_size 16384
		.amdhsa_private_segment_fixed_size 0
		.amdhsa_kernarg_size 368
		.amdhsa_user_sgpr_count 2
		.amdhsa_user_sgpr_dispatch_ptr 0
		.amdhsa_user_sgpr_queue_ptr 0
		.amdhsa_user_sgpr_kernarg_segment_ptr 1
		.amdhsa_user_sgpr_dispatch_id 0
		.amdhsa_user_sgpr_private_segment_size 0
		.amdhsa_wavefront_size32 1
		.amdhsa_uses_dynamic_stack 0
		.amdhsa_enable_private_segment 0
		.amdhsa_system_sgpr_workgroup_id_x 1
		.amdhsa_system_sgpr_workgroup_id_y 0
		.amdhsa_system_sgpr_workgroup_id_z 0
		.amdhsa_system_sgpr_workgroup_info 0
		.amdhsa_system_vgpr_workitem_id 0
		.amdhsa_next_free_vgpr 39
		.amdhsa_next_free_sgpr 42
		.amdhsa_reserve_vcc 1
		.amdhsa_float_round_mode_32 0
		.amdhsa_float_round_mode_16_64 0
		.amdhsa_float_denorm_mode_32 3
		.amdhsa_float_denorm_mode_16_64 3
		.amdhsa_fp16_overflow 0
		.amdhsa_workgroup_processor_mode 1
		.amdhsa_memory_ordered 1
		.amdhsa_forward_progress 1
		.amdhsa_inst_pref_size 103
		.amdhsa_round_robin_scheduling 0
		.amdhsa_exception_fp_ieee_invalid_op 0
		.amdhsa_exception_fp_denorm_src 0
		.amdhsa_exception_fp_ieee_div_zero 0
		.amdhsa_exception_fp_ieee_overflow 0
		.amdhsa_exception_fp_ieee_underflow 0
		.amdhsa_exception_fp_ieee_inexact 0
		.amdhsa_exception_int_div_zero 0
	.end_amdhsa_kernel
	.section	.text._ZN9rocsparseL27csrmvn_symm_adaptive_kernelIll21rocsparse_complex_numIfES1_IdES3_S3_EEvbT_S4_PKS4_NS_24const_host_device_scalarIT4_EES6_PKT0_PKT1_PKT2_S9_PT3_21rocsparse_index_base_b,"axG",@progbits,_ZN9rocsparseL27csrmvn_symm_adaptive_kernelIll21rocsparse_complex_numIfES1_IdES3_S3_EEvbT_S4_PKS4_NS_24const_host_device_scalarIT4_EES6_PKT0_PKT1_PKT2_S9_PT3_21rocsparse_index_base_b,comdat
.Lfunc_end116:
	.size	_ZN9rocsparseL27csrmvn_symm_adaptive_kernelIll21rocsparse_complex_numIfES1_IdES3_S3_EEvbT_S4_PKS4_NS_24const_host_device_scalarIT4_EES6_PKT0_PKT1_PKT2_S9_PT3_21rocsparse_index_base_b, .Lfunc_end116-_ZN9rocsparseL27csrmvn_symm_adaptive_kernelIll21rocsparse_complex_numIfES1_IdES3_S3_EEvbT_S4_PKS4_NS_24const_host_device_scalarIT4_EES6_PKT0_PKT1_PKT2_S9_PT3_21rocsparse_index_base_b
                                        ; -- End function
	.set _ZN9rocsparseL27csrmvn_symm_adaptive_kernelIll21rocsparse_complex_numIfES1_IdES3_S3_EEvbT_S4_PKS4_NS_24const_host_device_scalarIT4_EES6_PKT0_PKT1_PKT2_S9_PT3_21rocsparse_index_base_b.num_vgpr, 39
	.set _ZN9rocsparseL27csrmvn_symm_adaptive_kernelIll21rocsparse_complex_numIfES1_IdES3_S3_EEvbT_S4_PKS4_NS_24const_host_device_scalarIT4_EES6_PKT0_PKT1_PKT2_S9_PT3_21rocsparse_index_base_b.num_agpr, 0
	.set _ZN9rocsparseL27csrmvn_symm_adaptive_kernelIll21rocsparse_complex_numIfES1_IdES3_S3_EEvbT_S4_PKS4_NS_24const_host_device_scalarIT4_EES6_PKT0_PKT1_PKT2_S9_PT3_21rocsparse_index_base_b.numbered_sgpr, 42
	.set _ZN9rocsparseL27csrmvn_symm_adaptive_kernelIll21rocsparse_complex_numIfES1_IdES3_S3_EEvbT_S4_PKS4_NS_24const_host_device_scalarIT4_EES6_PKT0_PKT1_PKT2_S9_PT3_21rocsparse_index_base_b.num_named_barrier, 0
	.set _ZN9rocsparseL27csrmvn_symm_adaptive_kernelIll21rocsparse_complex_numIfES1_IdES3_S3_EEvbT_S4_PKS4_NS_24const_host_device_scalarIT4_EES6_PKT0_PKT1_PKT2_S9_PT3_21rocsparse_index_base_b.private_seg_size, 0
	.set _ZN9rocsparseL27csrmvn_symm_adaptive_kernelIll21rocsparse_complex_numIfES1_IdES3_S3_EEvbT_S4_PKS4_NS_24const_host_device_scalarIT4_EES6_PKT0_PKT1_PKT2_S9_PT3_21rocsparse_index_base_b.uses_vcc, 1
	.set _ZN9rocsparseL27csrmvn_symm_adaptive_kernelIll21rocsparse_complex_numIfES1_IdES3_S3_EEvbT_S4_PKS4_NS_24const_host_device_scalarIT4_EES6_PKT0_PKT1_PKT2_S9_PT3_21rocsparse_index_base_b.uses_flat_scratch, 0
	.set _ZN9rocsparseL27csrmvn_symm_adaptive_kernelIll21rocsparse_complex_numIfES1_IdES3_S3_EEvbT_S4_PKS4_NS_24const_host_device_scalarIT4_EES6_PKT0_PKT1_PKT2_S9_PT3_21rocsparse_index_base_b.has_dyn_sized_stack, 0
	.set _ZN9rocsparseL27csrmvn_symm_adaptive_kernelIll21rocsparse_complex_numIfES1_IdES3_S3_EEvbT_S4_PKS4_NS_24const_host_device_scalarIT4_EES6_PKT0_PKT1_PKT2_S9_PT3_21rocsparse_index_base_b.has_recursion, 0
	.set _ZN9rocsparseL27csrmvn_symm_adaptive_kernelIll21rocsparse_complex_numIfES1_IdES3_S3_EEvbT_S4_PKS4_NS_24const_host_device_scalarIT4_EES6_PKT0_PKT1_PKT2_S9_PT3_21rocsparse_index_base_b.has_indirect_call, 0
	.section	.AMDGPU.csdata,"",@progbits
; Kernel info:
; codeLenInByte = 13144
; TotalNumSgprs: 44
; NumVgprs: 39
; ScratchSize: 0
; MemoryBound: 0
; FloatMode: 240
; IeeeMode: 1
; LDSByteSize: 16384 bytes/workgroup (compile time only)
; SGPRBlocks: 0
; VGPRBlocks: 4
; NumSGPRsForWavesPerEU: 44
; NumVGPRsForWavesPerEU: 39
; Occupancy: 16
; WaveLimiterHint : 1
; COMPUTE_PGM_RSRC2:SCRATCH_EN: 0
; COMPUTE_PGM_RSRC2:USER_SGPR: 2
; COMPUTE_PGM_RSRC2:TRAP_HANDLER: 0
; COMPUTE_PGM_RSRC2:TGID_X_EN: 1
; COMPUTE_PGM_RSRC2:TGID_Y_EN: 0
; COMPUTE_PGM_RSRC2:TGID_Z_EN: 0
; COMPUTE_PGM_RSRC2:TIDIG_COMP_CNT: 0
	.section	.text._ZL33csrmvn_symm_large_adaptive_kernelIll21rocsparse_complex_numIfES0_IdES2_S2_EvbT_PKS3_N9rocsparse24const_host_device_scalarIT4_EES5_PKT0_PKT1_PKT2_S9_PT3_21rocsparse_index_base_b,"axG",@progbits,_ZL33csrmvn_symm_large_adaptive_kernelIll21rocsparse_complex_numIfES0_IdES2_S2_EvbT_PKS3_N9rocsparse24const_host_device_scalarIT4_EES5_PKT0_PKT1_PKT2_S9_PT3_21rocsparse_index_base_b,comdat
	.globl	_ZL33csrmvn_symm_large_adaptive_kernelIll21rocsparse_complex_numIfES0_IdES2_S2_EvbT_PKS3_N9rocsparse24const_host_device_scalarIT4_EES5_PKT0_PKT1_PKT2_S9_PT3_21rocsparse_index_base_b ; -- Begin function _ZL33csrmvn_symm_large_adaptive_kernelIll21rocsparse_complex_numIfES0_IdES2_S2_EvbT_PKS3_N9rocsparse24const_host_device_scalarIT4_EES5_PKT0_PKT1_PKT2_S9_PT3_21rocsparse_index_base_b
	.p2align	8
	.type	_ZL33csrmvn_symm_large_adaptive_kernelIll21rocsparse_complex_numIfES0_IdES2_S2_EvbT_PKS3_N9rocsparse24const_host_device_scalarIT4_EES5_PKT0_PKT1_PKT2_S9_PT3_21rocsparse_index_base_b,@function
_ZL33csrmvn_symm_large_adaptive_kernelIll21rocsparse_complex_numIfES0_IdES2_S2_EvbT_PKS3_N9rocsparse24const_host_device_scalarIT4_EES5_PKT0_PKT1_PKT2_S9_PT3_21rocsparse_index_base_b: ; @_ZL33csrmvn_symm_large_adaptive_kernelIll21rocsparse_complex_numIfES0_IdES2_S2_EvbT_PKS3_N9rocsparse24const_host_device_scalarIT4_EES5_PKT0_PKT1_PKT2_S9_PT3_21rocsparse_index_base_b
; %bb.0:
	s_clause 0x1
	s_load_b64 s[6:7], s[0:1], 0x60
	s_load_b64 s[4:5], s[0:1], 0x18
	s_add_nc_u64 s[8:9], s[0:1], 24
	s_wait_kmcnt 0x0
	s_bitcmp1_b32 s7, 0
	s_cselect_b32 s3, -1, 0
	s_delay_alu instid0(SALU_CYCLE_1) | instskip(SKIP_2) | instid1(SALU_CYCLE_1)
	s_and_b32 s2, s3, exec_lo
	s_cselect_b32 s2, s8, s4
	s_cselect_b32 s4, s9, s5
	v_dual_mov_b32 v1, s2 :: v_dual_mov_b32 v2, s4
	flat_load_b128 v[1:4], v[1:2]
	s_wait_loadcnt_dscnt 0x0
	v_cmp_eq_f64_e32 vcc_lo, 0, v[1:2]
	v_cmp_eq_f64_e64 s2, 0, v[3:4]
	s_and_b32 s5, vcc_lo, s2
	s_mov_b32 s2, -1
	s_wait_alu 0xfffe
	s_and_saveexec_b32 s4, s5
	s_cbranch_execz .LBB117_2
; %bb.1:
	s_load_b64 s[8:9], s[0:1], 0x48
	s_add_nc_u64 s[10:11], s[0:1], 0x48
	s_and_b32 s2, s3, exec_lo
	s_wait_kmcnt 0x0
	s_cselect_b32 s2, s10, s8
	s_cselect_b32 s3, s11, s9
	s_wait_alu 0xfffe
	v_dual_mov_b32 v5, s2 :: v_dual_mov_b32 v6, s3
	flat_load_b128 v[5:8], v[5:6]
	s_wait_loadcnt_dscnt 0x0
	v_cmp_neq_f64_e32 vcc_lo, 1.0, v[5:6]
	v_cmp_neq_f64_e64 s2, 0, v[7:8]
	s_or_b32 s2, vcc_lo, s2
	s_wait_alu 0xfffe
	s_or_not1_b32 s2, s2, exec_lo
.LBB117_2:
	s_wait_alu 0xfffe
	s_or_b32 exec_lo, exec_lo, s4
	s_and_saveexec_b32 s3, s2
	s_cbranch_execz .LBB117_45
; %bb.3:
	s_clause 0x1
	s_load_b32 s3, s[0:1], 0x0
	s_load_b64 s[4:5], s[0:1], 0x10
	s_mov_b32 s24, 0
	s_mov_b32 s2, ttmp9
	s_mov_b32 s25, s24
	s_mov_b32 s26, s24
	;; [unrolled: 1-line block ×3, first 2 shown]
	s_delay_alu instid0(SALU_CYCLE_1)
	v_dual_mov_b32 v5, s24 :: v_dual_mov_b32 v8, s27
	v_dual_mov_b32 v6, s25 :: v_dual_lshlrev_b32 v15, 4, v0
	v_dual_mov_b32 v7, s26 :: v_dual_mov_b32 v18, 0
	ds_store_b128 v15, v[5:8]
	ds_store_b128 v15, v[5:8] offset:4096
	ds_store_b128 v15, v[5:8] offset:8192
	;; [unrolled: 1-line block ×3, first 2 shown]
	s_wait_dscnt 0x0
	s_barrier_signal -1
	s_barrier_wait -1
	s_wait_kmcnt 0x0
	s_bitcmp1_b32 s3, 0
	global_inv scope:SCOPE_SE
	s_cselect_b32 s28, -1, 0
	s_ashr_i32 s3, ttmp9, 31
	s_mov_b32 s7, s24
	s_wait_alu 0xfffe
	s_lshl_b64 s[2:3], s[2:3], 3
	s_wait_alu 0xfffe
	s_add_nc_u64 s[2:3], s[4:5], s[2:3]
	s_load_b128 s[16:19], s[2:3], 0x0
	s_clause 0x1
	s_load_b64 s[20:21], s[0:1], 0x58
	s_load_b256 s[8:15], s[0:1], 0x28
	v_sub_co_u32 v16, s1, v0, s6
	s_delay_alu instid0(VALU_DEP_1)
	v_sub_co_ci_u32_e64 v17, null, 0, 0, s1
	s_wait_kmcnt 0x0
	v_cmp_ge_i64_e64 s0, s[16:17], s[18:19]
	s_and_b32 vcc_lo, exec_lo, s0
	s_cbranch_vccnz .LBB117_33
; %bb.4:
	v_cmp_gt_u32_e64 s0, 0x100, v0
	v_cmp_gt_u32_e64 s1, 64, v0
	;; [unrolled: 1-line block ×4, first 2 shown]
	v_cmp_eq_u32_e64 s4, 0, v0
	s_add_nc_u64 s[22:23], s[12:13], 4
	s_mov_b64 s[24:25], s[16:17]
	s_branch .LBB117_6
.LBB117_5:                              ;   in Loop: Header=BB117_6 Depth=1
	s_wait_alu 0xfffe
	s_or_b32 exec_lo, exec_lo, s5
	s_add_nc_u64 s[24:25], s[24:25], 1
	s_wait_alu 0xfffe
	v_cmp_ge_i64_e64 s5, s[24:25], s[18:19]
	s_and_b32 vcc_lo, exec_lo, s5
	s_wait_alu 0xfffe
	s_cbranch_vccnz .LBB117_33
.LBB117_6:                              ; =>This Loop Header: Depth=1
                                        ;     Child Loop BB117_8 Depth 2
                                        ;     Child Loop BB117_22 Depth 2
                                        ;     Child Loop BB117_25 Depth 2
                                        ;     Child Loop BB117_28 Depth 2
                                        ;     Child Loop BB117_31 Depth 2
	s_wait_alu 0xfffe
	s_lshl_b64 s[26:27], s[24:25], 3
	v_mov_b32_e32 v7, 0
	s_wait_alu 0xfffe
	s_add_nc_u64 s[26:27], s[8:9], s[26:27]
	v_dual_mov_b32 v8, 0 :: v_dual_mov_b32 v5, 0
	s_load_b128 s[36:39], s[26:27], 0x0
	v_mov_b32_e32 v6, 0
	s_mov_b32 s29, exec_lo
	s_wait_kmcnt 0x0
	v_add_co_u32 v9, vcc_lo, s36, v16
	s_wait_alu 0xfffd
	v_add_co_ci_u32_e64 v10, null, s37, v17, vcc_lo
	s_sub_nc_u64 s[26:27], s[38:39], s[6:7]
	s_wait_alu 0xfffe
	v_cmpx_gt_i64_e64 s[26:27], v[9:10]
	s_cbranch_execz .LBB117_10
; %bb.7:                                ;   in Loop: Header=BB117_6 Depth=1
	v_lshlrev_b64_e32 v[5:6], 3, v[9:10]
	v_mov_b32_e32 v7, 0
	v_mov_b32_e32 v8, 0
	s_mov_b32 s30, 0
	s_delay_alu instid0(VALU_DEP_3)
	v_add_co_u32 v11, vcc_lo, s10, v5
	s_wait_alu 0xfffd
	v_add_co_ci_u32_e64 v12, null, s11, v6, vcc_lo
	v_add_co_u32 v13, vcc_lo, s22, v5
	s_wait_alu 0xfffd
	v_add_co_ci_u32_e64 v14, null, s23, v6, vcc_lo
	v_dual_mov_b32 v5, v7 :: v_dual_mov_b32 v6, v8
.LBB117_8:                              ;   Parent Loop BB117_6 Depth=1
                                        ; =>  This Inner Loop Header: Depth=2
	global_load_b64 v[19:20], v[11:12], off
	global_load_b64 v[23:24], v[13:14], off offset:-4
	v_add_co_u32 v13, s5, 0x800, v13
	s_wait_alu 0xf1ff
	v_add_co_ci_u32_e64 v14, null, 0, v14, s5
	s_wait_loadcnt 0x1
	v_sub_co_u32 v19, vcc_lo, v19, s6
	s_wait_alu 0xfffd
	v_subrev_co_ci_u32_e64 v20, null, 0, v20, vcc_lo
	s_wait_loadcnt 0x0
	v_cndmask_b32_e64 v0, v24, -v24, s28
	v_cvt_f64_f32_e32 v[23:24], v23
	s_delay_alu instid0(VALU_DEP_3) | instskip(NEXT) | instid1(VALU_DEP_3)
	v_lshlrev_b64_e32 v[19:20], 4, v[19:20]
	v_cvt_f64_f32_e32 v[25:26], v0
	s_delay_alu instid0(VALU_DEP_2) | instskip(SKIP_1) | instid1(VALU_DEP_3)
	v_add_co_u32 v19, vcc_lo, s14, v19
	s_wait_alu 0xfffd
	v_add_co_ci_u32_e64 v20, null, s15, v20, vcc_lo
	v_add_co_u32 v9, vcc_lo, 0x100, v9
	s_wait_alu 0xfffd
	v_add_co_ci_u32_e64 v10, null, 0, v10, vcc_lo
	global_load_b128 v[19:22], v[19:20], off
	v_add_co_u32 v11, vcc_lo, 0x800, v11
	s_wait_alu 0xfffd
	v_add_co_ci_u32_e64 v12, null, 0, v12, vcc_lo
	v_cmp_le_i64_e32 vcc_lo, s[26:27], v[9:10]
	s_wait_alu 0xfffe
	s_or_b32 s30, vcc_lo, s30
	s_wait_loadcnt 0x0
	v_fma_f64 v[5:6], v[23:24], v[19:20], v[5:6]
	v_fma_f64 v[7:8], v[25:26], v[19:20], v[7:8]
	s_delay_alu instid0(VALU_DEP_2) | instskip(NEXT) | instid1(VALU_DEP_2)
	v_fma_f64 v[5:6], -v[25:26], v[21:22], v[5:6]
	v_fma_f64 v[7:8], v[23:24], v[21:22], v[7:8]
	s_wait_alu 0xfffe
	s_and_not1_b32 exec_lo, exec_lo, s30
	s_cbranch_execnz .LBB117_8
; %bb.9:                                ;   in Loop: Header=BB117_6 Depth=1
	s_or_b32 exec_lo, exec_lo, s30
.LBB117_10:                             ;   in Loop: Header=BB117_6 Depth=1
	s_delay_alu instid0(SALU_CYCLE_1)
	s_or_b32 exec_lo, exec_lo, s29
	ds_store_b128 v15, v[5:8]
	s_wait_loadcnt_dscnt 0x0
	s_barrier_signal -1
	s_barrier_wait -1
	global_inv scope:SCOPE_SE
	s_and_saveexec_b32 s5, s0
	s_cbranch_execz .LBB117_12
; %bb.11:                               ;   in Loop: Header=BB117_6 Depth=1
	ds_load_b128 v[5:8], v15 offset:4096
	ds_load_b128 v[9:12], v15 offset:8192
	ds_load_b128 v[19:22], v15 offset:12288
	ds_load_b128 v[23:26], v15
	s_wait_dscnt 0x2
	v_add_f64_e32 v[5:6], v[9:10], v[5:6]
	v_add_f64_e32 v[7:8], v[11:12], v[7:8]
	s_wait_dscnt 0x1
	s_delay_alu instid0(VALU_DEP_2) | instskip(NEXT) | instid1(VALU_DEP_2)
	v_add_f64_e32 v[5:6], v[5:6], v[19:20]
	v_add_f64_e32 v[7:8], v[7:8], v[21:22]
	s_wait_dscnt 0x0
	s_delay_alu instid0(VALU_DEP_2) | instskip(NEXT) | instid1(VALU_DEP_2)
	v_add_f64_e32 v[5:6], v[5:6], v[23:24]
	v_add_f64_e32 v[7:8], v[7:8], v[25:26]
	ds_store_b128 v15, v[5:8]
.LBB117_12:                             ;   in Loop: Header=BB117_6 Depth=1
	s_wait_alu 0xfffe
	s_or_b32 exec_lo, exec_lo, s5
	s_wait_loadcnt_dscnt 0x0
	s_barrier_signal -1
	s_barrier_wait -1
	global_inv scope:SCOPE_SE
	s_and_saveexec_b32 s5, s1
	s_cbranch_execz .LBB117_14
; %bb.13:                               ;   in Loop: Header=BB117_6 Depth=1
	ds_load_b128 v[5:8], v15 offset:1024
	ds_load_b128 v[9:12], v15 offset:2048
	ds_load_b128 v[19:22], v15 offset:3072
	ds_load_b128 v[23:26], v15
	s_wait_dscnt 0x2
	v_add_f64_e32 v[5:6], v[9:10], v[5:6]
	v_add_f64_e32 v[7:8], v[11:12], v[7:8]
	s_wait_dscnt 0x1
	s_delay_alu instid0(VALU_DEP_2) | instskip(NEXT) | instid1(VALU_DEP_2)
	v_add_f64_e32 v[5:6], v[5:6], v[19:20]
	v_add_f64_e32 v[7:8], v[7:8], v[21:22]
	s_wait_dscnt 0x0
	s_delay_alu instid0(VALU_DEP_2) | instskip(NEXT) | instid1(VALU_DEP_2)
	v_add_f64_e32 v[5:6], v[5:6], v[23:24]
	v_add_f64_e32 v[7:8], v[7:8], v[25:26]
	ds_store_b128 v15, v[5:8]
.LBB117_14:                             ;   in Loop: Header=BB117_6 Depth=1
	s_wait_alu 0xfffe
	s_or_b32 exec_lo, exec_lo, s5
	;; [unrolled: 26-line block ×5, first 2 shown]
	s_wait_loadcnt_dscnt 0x0
	s_barrier_signal -1
	s_barrier_wait -1
	global_inv scope:SCOPE_SE
	s_and_saveexec_b32 s5, s4
	s_cbranch_execz .LBB117_5
; %bb.21:                               ;   in Loop: Header=BB117_6 Depth=1
	ds_load_b128 v[5:8], v18
	v_mov_b32_e32 v13, 0
	v_bfrev_b32_e32 v14, 1
	s_mov_b32 s26, exec_lo
	s_wait_dscnt 0x0
	v_mul_f64_e64 v[9:10], v[7:8], -v[3:4]
	s_delay_alu instid0(VALU_DEP_1)
	v_fma_f64 v[9:10], v[1:2], v[5:6], v[9:10]
.LBB117_22:                             ;   Parent Loop BB117_6 Depth=1
                                        ; =>  This Inner Loop Header: Depth=2
	s_wait_alu 0xfffe
	s_ctz_i32_b32 s27, s26
	s_wait_alu 0xfffe
	s_delay_alu instid0(VALU_DEP_1) | instskip(NEXT) | instid1(VALU_DEP_2)
	v_readlane_b32 s31, v10, s27
	v_readlane_b32 s30, v9, s27
	s_lshl_b32 s27, 1, s27
	s_wait_alu 0xfffe
	s_and_not1_b32 s26, s26, s27
	v_add_f64_e32 v[13:14], s[30:31], v[13:14]
	s_wait_alu 0xfffe
	s_cmp_lg_u32 s26, 0
	s_cbranch_scc1 .LBB117_22
; %bb.23:                               ;   in Loop: Header=BB117_6 Depth=1
	v_mbcnt_lo_u32_b32 v0, exec_lo, 0
	s_lshl_b64 s[26:27], s[24:25], 4
	s_mov_b32 s29, exec_lo
	s_wait_alu 0xfffe
	s_add_nc_u64 s[26:27], s[20:21], s[26:27]
	v_cmpx_eq_u32_e32 0, v0
	s_xor_b32 s29, exec_lo, s29
	s_cbranch_execz .LBB117_27
; %bb.24:                               ;   in Loop: Header=BB117_6 Depth=1
	global_load_b64 v[11:12], v18, s[26:27]
	s_mov_b32 s30, 0
.LBB117_25:                             ;   Parent Loop BB117_6 Depth=1
                                        ; =>  This Inner Loop Header: Depth=2
	s_wait_loadcnt 0x0
	v_add_f64_e32 v[9:10], v[11:12], v[13:14]
	global_atomic_cmpswap_b64 v[9:10], v18, v[9:12], s[26:27] th:TH_ATOMIC_RETURN scope:SCOPE_DEV
	s_wait_loadcnt 0x0
	v_cmp_eq_u64_e32 vcc_lo, v[9:10], v[11:12]
	v_dual_mov_b32 v12, v10 :: v_dual_mov_b32 v11, v9
	s_wait_alu 0xfffe
	s_or_b32 s30, vcc_lo, s30
	s_wait_alu 0xfffe
	s_and_not1_b32 exec_lo, exec_lo, s30
	s_cbranch_execnz .LBB117_25
; %bb.26:                               ;   in Loop: Header=BB117_6 Depth=1
	s_or_b32 exec_lo, exec_lo, s30
.LBB117_27:                             ;   in Loop: Header=BB117_6 Depth=1
	s_wait_alu 0xfffe
	s_or_b32 exec_lo, exec_lo, s29
	v_mul_f64_e32 v[7:8], v[1:2], v[7:8]
	v_mov_b32_e32 v9, 0
	v_bfrev_b32_e32 v10, 1
	s_mov_b32 s29, exec_lo
	s_delay_alu instid0(VALU_DEP_3)
	v_fma_f64 v[5:6], v[3:4], v[5:6], v[7:8]
.LBB117_28:                             ;   Parent Loop BB117_6 Depth=1
                                        ; =>  This Inner Loop Header: Depth=2
	s_wait_alu 0xfffe
	s_ctz_i32_b32 s33, s29
	s_wait_alu 0xfffe
	s_delay_alu instid0(VALU_DEP_1) | instskip(NEXT) | instid1(VALU_DEP_2)
	v_readlane_b32 s31, v6, s33
	v_readlane_b32 s30, v5, s33
	s_wait_alu 0xf1ff
	s_delay_alu instid0(VALU_DEP_1)
	v_add_f64_e32 v[9:10], s[30:31], v[9:10]
	s_lshl_b32 s30, 1, s33
	s_wait_alu 0xfffe
	s_and_not1_b32 s29, s29, s30
	s_wait_alu 0xfffe
	s_cmp_lg_u32 s29, 0
	s_cbranch_scc1 .LBB117_28
; %bb.29:                               ;   in Loop: Header=BB117_6 Depth=1
	v_mbcnt_lo_u32_b32 v0, exec_lo, 0
	s_mov_b32 s29, exec_lo
	s_delay_alu instid0(VALU_DEP_1)
	v_cmpx_eq_u32_e32 0, v0
	s_wait_alu 0xfffe
	s_xor_b32 s29, exec_lo, s29
	s_cbranch_execz .LBB117_5
; %bb.30:                               ;   in Loop: Header=BB117_6 Depth=1
	global_load_b64 v[7:8], v18, s[26:27] offset:8
	s_mov_b32 s29, 0
.LBB117_31:                             ;   Parent Loop BB117_6 Depth=1
                                        ; =>  This Inner Loop Header: Depth=2
	s_wait_loadcnt 0x0
	v_add_f64_e32 v[5:6], v[7:8], v[9:10]
	global_atomic_cmpswap_b64 v[5:6], v18, v[5:8], s[26:27] offset:8 th:TH_ATOMIC_RETURN scope:SCOPE_DEV
	s_wait_loadcnt 0x0
	v_cmp_eq_u64_e32 vcc_lo, v[5:6], v[7:8]
	v_dual_mov_b32 v8, v6 :: v_dual_mov_b32 v7, v5
	s_wait_alu 0xfffe
	s_or_b32 s29, vcc_lo, s29
	s_wait_alu 0xfffe
	s_and_not1_b32 exec_lo, exec_lo, s29
	s_cbranch_execnz .LBB117_31
; %bb.32:                               ;   in Loop: Header=BB117_6 Depth=1
	s_or_b32 exec_lo, exec_lo, s29
	s_branch .LBB117_5
.LBB117_33:
	s_lshl_b64 s[0:1], s[16:17], 3
	s_lshl_b64 s[2:3], s[18:19], 3
	s_wait_alu 0xfffe
	s_add_nc_u64 s[0:1], s[8:9], s[0:1]
	s_add_nc_u64 s[2:3], s[8:9], s[2:3]
	s_clause 0x1
	s_load_b64 s[0:1], s[0:1], 0x0
	s_load_b64 s[2:3], s[2:3], 0x0
	s_wait_kmcnt 0x0
	v_add_co_u32 v13, vcc_lo, s0, v16
	s_wait_alu 0xfffd
	v_add_co_ci_u32_e64 v14, null, s1, v17, vcc_lo
	s_sub_nc_u64 s[2:3], s[2:3], s[6:7]
	s_wait_alu 0xfffe
	v_cmp_gt_i64_e32 vcc_lo, s[2:3], v[13:14]
	s_and_b32 exec_lo, exec_lo, vcc_lo
	s_cbranch_execz .LBB117_45
; %bb.34:
	s_add_nc_u64 s[4:5], s[18:19], -1
	s_add_nc_u64 s[0:1], s[18:19], -2
	s_wait_alu 0xfffe
	v_cmp_lt_i64_e64 s7, s[16:17], s[4:5]
	s_cmp_lg_u64 s[16:17], s[0:1]
	s_cselect_b32 s0, -1, 0
	s_wait_alu 0xfffe
	s_and_b32 s1, s7, s0
	s_mov_b32 s7, 0
	s_branch .LBB117_36
.LBB117_35:                             ;   in Loop: Header=BB117_36 Depth=1
	s_wait_alu 0xfffe
	s_or_b32 exec_lo, exec_lo, s0
	v_add_co_u32 v13, vcc_lo, 0x100, v13
	s_wait_alu 0xfffd
	v_add_co_ci_u32_e64 v14, null, 0, v14, vcc_lo
	s_delay_alu instid0(VALU_DEP_1)
	v_cmp_le_i64_e32 vcc_lo, s[2:3], v[13:14]
	s_or_b32 s7, vcc_lo, s7
	s_wait_alu 0xfffe
	s_and_not1_b32 exec_lo, exec_lo, s7
	s_cbranch_execz .LBB117_45
.LBB117_36:                             ; =>This Loop Header: Depth=1
                                        ;     Child Loop BB117_38 Depth 2
                                        ;     Child Loop BB117_42 Depth 2
	;; [unrolled: 1-line block ×3, first 2 shown]
	v_dual_mov_b32 v5, s16 :: v_dual_mov_b32 v6, s17
	v_dual_mov_b32 v8, s5 :: v_dual_mov_b32 v7, s4
	s_wait_alu 0xfffe
	s_and_not1_b32 vcc_lo, exec_lo, s1
	s_wait_alu 0xfffe
	s_cbranch_vccnz .LBB117_40
; %bb.37:                               ;   in Loop: Header=BB117_36 Depth=1
	v_dual_mov_b32 v5, s16 :: v_dual_mov_b32 v6, s17
	v_dual_mov_b32 v8, s5 :: v_dual_mov_b32 v7, s4
	s_mov_b32 s18, 0
.LBB117_38:                             ;   Parent Loop BB117_36 Depth=1
                                        ; =>  This Inner Loop Header: Depth=2
	s_delay_alu instid0(VALU_DEP_1) | instskip(SKIP_1) | instid1(VALU_DEP_2)
	v_add_co_u32 v0, vcc_lo, v7, v5
	s_wait_alu 0xfffd
	v_add_co_ci_u32_e64 v10, null, v8, v6, vcc_lo
	s_delay_alu instid0(VALU_DEP_1) | instskip(NEXT) | instid1(VALU_DEP_1)
	v_lshrrev_b32_e32 v9, 31, v10
	v_add_co_u32 v9, vcc_lo, v0, v9
	s_wait_alu 0xfffd
	v_add_co_ci_u32_e64 v10, null, 0, v10, vcc_lo
	s_delay_alu instid0(VALU_DEP_1) | instskip(NEXT) | instid1(VALU_DEP_1)
	v_ashrrev_i64 v[9:10], 1, v[9:10]
	v_lshlrev_b64_e32 v[11:12], 3, v[9:10]
	s_delay_alu instid0(VALU_DEP_1) | instskip(SKIP_1) | instid1(VALU_DEP_2)
	v_add_co_u32 v11, vcc_lo, s8, v11
	s_wait_alu 0xfffd
	v_add_co_ci_u32_e64 v12, null, s9, v12, vcc_lo
	global_load_b64 v[11:12], v[11:12], off
	s_wait_loadcnt 0x0
	v_sub_co_u32 v11, vcc_lo, v11, s6
	s_wait_alu 0xfffd
	v_subrev_co_ci_u32_e64 v12, null, 0, v12, vcc_lo
	s_delay_alu instid0(VALU_DEP_1) | instskip(SKIP_3) | instid1(VALU_DEP_2)
	v_cmp_lt_i64_e32 vcc_lo, v[13:14], v[11:12]
	s_wait_alu 0xfffd
	v_dual_cndmask_b32 v8, v8, v10 :: v_dual_cndmask_b32 v7, v7, v9
	v_dual_cndmask_b32 v6, v10, v6 :: v_dual_cndmask_b32 v5, v9, v5
	v_add_co_u32 v9, vcc_lo, v7, -1
	s_wait_alu 0xfffd
	s_delay_alu instid0(VALU_DEP_3) | instskip(NEXT) | instid1(VALU_DEP_3)
	v_add_co_ci_u32_e64 v10, null, -1, v8, vcc_lo
	v_cmp_ge_i64_e32 vcc_lo, v[5:6], v[7:8]
	s_delay_alu instid0(VALU_DEP_2)
	v_cmp_eq_u64_e64 s0, v[5:6], v[9:10]
	s_or_b32 s0, vcc_lo, s0
	s_wait_alu 0xfffe
	s_and_b32 s0, exec_lo, s0
	s_wait_alu 0xfffe
	s_or_b32 s18, s0, s18
	s_wait_alu 0xfffe
	s_and_not1_b32 exec_lo, exec_lo, s18
	s_cbranch_execnz .LBB117_38
; %bb.39:                               ;   in Loop: Header=BB117_36 Depth=1
	s_or_b32 exec_lo, exec_lo, s18
.LBB117_40:                             ;   in Loop: Header=BB117_36 Depth=1
	v_lshlrev_b64_e32 v[9:10], 3, v[7:8]
	v_lshlrev_b64_e32 v[11:12], 3, v[13:14]
	s_mov_b32 s0, exec_lo
	s_delay_alu instid0(VALU_DEP_2) | instskip(SKIP_1) | instid1(VALU_DEP_3)
	v_add_co_u32 v9, vcc_lo, s8, v9
	s_wait_alu 0xfffd
	v_add_co_ci_u32_e64 v10, null, s9, v10, vcc_lo
	s_delay_alu instid0(VALU_DEP_3)
	v_add_co_u32 v15, vcc_lo, s10, v11
	s_wait_alu 0xfffd
	v_add_co_ci_u32_e64 v16, null, s11, v12, vcc_lo
	global_load_b64 v[9:10], v[9:10], off
	global_load_b64 v[15:16], v[15:16], off
	s_wait_loadcnt 0x1
	v_sub_co_u32 v9, vcc_lo, v9, s6
	s_wait_alu 0xfffd
	v_subrev_co_ci_u32_e64 v10, null, 0, v10, vcc_lo
	s_delay_alu instid0(VALU_DEP_1)
	v_cmp_lt_i64_e32 vcc_lo, v[13:14], v[9:10]
	s_wait_alu 0xfffd
	v_dual_cndmask_b32 v6, v8, v6 :: v_dual_cndmask_b32 v5, v7, v5
	s_wait_loadcnt 0x0
	v_sub_co_u32 v9, vcc_lo, v15, s6
	s_wait_alu 0xfffd
	v_subrev_co_ci_u32_e64 v10, null, 0, v16, vcc_lo
	s_delay_alu instid0(VALU_DEP_1)
	v_cmpx_ne_u64_e64 v[9:10], v[5:6]
	s_cbranch_execz .LBB117_35
; %bb.41:                               ;   in Loop: Header=BB117_36 Depth=1
	v_add_co_u32 v7, vcc_lo, s12, v11
	s_wait_alu 0xfffd
	v_add_co_ci_u32_e64 v8, null, s13, v12, vcc_lo
	v_lshlrev_b64_e32 v[5:6], 4, v[5:6]
	v_lshlrev_b64_e32 v[9:10], 4, v[9:10]
	s_mov_b32 s18, 0
	global_load_b64 v[17:18], v[7:8], off
	v_add_co_u32 v5, vcc_lo, s14, v5
	s_wait_alu 0xfffd
	v_add_co_ci_u32_e64 v6, null, s15, v6, vcc_lo
	v_add_co_u32 v15, vcc_lo, s20, v9
	s_wait_alu 0xfffd
	v_add_co_ci_u32_e64 v16, null, s21, v10, vcc_lo
	global_load_b128 v[5:8], v[5:6], off
	global_load_b64 v[11:12], v[15:16], off
	s_wait_loadcnt 0x2
	v_cndmask_b32_e64 v0, v18, -v18, s28
	v_cvt_f64_f32_e32 v[19:20], v17
	s_delay_alu instid0(VALU_DEP_2) | instskip(NEXT) | instid1(VALU_DEP_1)
	v_cvt_f64_f32_e32 v[9:10], v0
	v_mul_f64_e32 v[17:18], v[1:2], v[9:10]
	v_mul_f64_e64 v[9:10], -v[3:4], v[9:10]
	s_delay_alu instid0(VALU_DEP_2) | instskip(NEXT) | instid1(VALU_DEP_2)
	v_fma_f64 v[17:18], v[3:4], v[19:20], v[17:18]
	v_fma_f64 v[19:20], v[1:2], v[19:20], v[9:10]
	s_wait_loadcnt 0x1
	s_delay_alu instid0(VALU_DEP_2) | instskip(NEXT) | instid1(VALU_DEP_1)
	v_mul_f64_e64 v[9:10], v[7:8], -v[17:18]
	v_fma_f64 v[21:22], v[19:20], v[5:6], v[9:10]
.LBB117_42:                             ;   Parent Loop BB117_36 Depth=1
                                        ; =>  This Inner Loop Header: Depth=2
	s_wait_loadcnt 0x0
	s_delay_alu instid0(VALU_DEP_1)
	v_add_f64_e32 v[9:10], v[11:12], v[21:22]
	global_atomic_cmpswap_b64 v[9:10], v[15:16], v[9:12], off th:TH_ATOMIC_RETURN scope:SCOPE_DEV
	s_wait_loadcnt 0x0
	v_cmp_eq_u64_e32 vcc_lo, v[9:10], v[11:12]
	v_dual_mov_b32 v12, v10 :: v_dual_mov_b32 v11, v9
	s_wait_alu 0xfffe
	s_or_b32 s18, vcc_lo, s18
	s_wait_alu 0xfffe
	s_and_not1_b32 exec_lo, exec_lo, s18
	s_cbranch_execnz .LBB117_42
; %bb.43:                               ;   in Loop: Header=BB117_36 Depth=1
	s_or_b32 exec_lo, exec_lo, s18
	global_load_b64 v[9:10], v[15:16], off offset:8
	v_mul_f64_e32 v[7:8], v[7:8], v[19:20]
	s_mov_b32 s18, 0
	s_delay_alu instid0(VALU_DEP_1)
	v_fma_f64 v[5:6], v[17:18], v[5:6], v[7:8]
.LBB117_44:                             ;   Parent Loop BB117_36 Depth=1
                                        ; =>  This Inner Loop Header: Depth=2
	s_wait_loadcnt 0x0
	s_delay_alu instid0(VALU_DEP_1)
	v_add_f64_e32 v[7:8], v[9:10], v[5:6]
	global_atomic_cmpswap_b64 v[7:8], v[15:16], v[7:10], off offset:8 th:TH_ATOMIC_RETURN scope:SCOPE_DEV
	s_wait_loadcnt 0x0
	v_cmp_eq_u64_e32 vcc_lo, v[7:8], v[9:10]
	v_dual_mov_b32 v10, v8 :: v_dual_mov_b32 v9, v7
	s_wait_alu 0xfffe
	s_or_b32 s18, vcc_lo, s18
	s_wait_alu 0xfffe
	s_and_not1_b32 exec_lo, exec_lo, s18
	s_cbranch_execnz .LBB117_44
	s_branch .LBB117_35
.LBB117_45:
	s_endpgm
	.section	.rodata,"a",@progbits
	.p2align	6, 0x0
	.amdhsa_kernel _ZL33csrmvn_symm_large_adaptive_kernelIll21rocsparse_complex_numIfES0_IdES2_S2_EvbT_PKS3_N9rocsparse24const_host_device_scalarIT4_EES5_PKT0_PKT1_PKT2_S9_PT3_21rocsparse_index_base_b
		.amdhsa_group_segment_fixed_size 16384
		.amdhsa_private_segment_fixed_size 0
		.amdhsa_kernarg_size 104
		.amdhsa_user_sgpr_count 2
		.amdhsa_user_sgpr_dispatch_ptr 0
		.amdhsa_user_sgpr_queue_ptr 0
		.amdhsa_user_sgpr_kernarg_segment_ptr 1
		.amdhsa_user_sgpr_dispatch_id 0
		.amdhsa_user_sgpr_private_segment_size 0
		.amdhsa_wavefront_size32 1
		.amdhsa_uses_dynamic_stack 0
		.amdhsa_enable_private_segment 0
		.amdhsa_system_sgpr_workgroup_id_x 1
		.amdhsa_system_sgpr_workgroup_id_y 0
		.amdhsa_system_sgpr_workgroup_id_z 0
		.amdhsa_system_sgpr_workgroup_info 0
		.amdhsa_system_vgpr_workitem_id 0
		.amdhsa_next_free_vgpr 27
		.amdhsa_next_free_sgpr 40
		.amdhsa_reserve_vcc 1
		.amdhsa_float_round_mode_32 0
		.amdhsa_float_round_mode_16_64 0
		.amdhsa_float_denorm_mode_32 3
		.amdhsa_float_denorm_mode_16_64 3
		.amdhsa_fp16_overflow 0
		.amdhsa_workgroup_processor_mode 1
		.amdhsa_memory_ordered 1
		.amdhsa_forward_progress 1
		.amdhsa_inst_pref_size 24
		.amdhsa_round_robin_scheduling 0
		.amdhsa_exception_fp_ieee_invalid_op 0
		.amdhsa_exception_fp_denorm_src 0
		.amdhsa_exception_fp_ieee_div_zero 0
		.amdhsa_exception_fp_ieee_overflow 0
		.amdhsa_exception_fp_ieee_underflow 0
		.amdhsa_exception_fp_ieee_inexact 0
		.amdhsa_exception_int_div_zero 0
	.end_amdhsa_kernel
	.section	.text._ZL33csrmvn_symm_large_adaptive_kernelIll21rocsparse_complex_numIfES0_IdES2_S2_EvbT_PKS3_N9rocsparse24const_host_device_scalarIT4_EES5_PKT0_PKT1_PKT2_S9_PT3_21rocsparse_index_base_b,"axG",@progbits,_ZL33csrmvn_symm_large_adaptive_kernelIll21rocsparse_complex_numIfES0_IdES2_S2_EvbT_PKS3_N9rocsparse24const_host_device_scalarIT4_EES5_PKT0_PKT1_PKT2_S9_PT3_21rocsparse_index_base_b,comdat
.Lfunc_end117:
	.size	_ZL33csrmvn_symm_large_adaptive_kernelIll21rocsparse_complex_numIfES0_IdES2_S2_EvbT_PKS3_N9rocsparse24const_host_device_scalarIT4_EES5_PKT0_PKT1_PKT2_S9_PT3_21rocsparse_index_base_b, .Lfunc_end117-_ZL33csrmvn_symm_large_adaptive_kernelIll21rocsparse_complex_numIfES0_IdES2_S2_EvbT_PKS3_N9rocsparse24const_host_device_scalarIT4_EES5_PKT0_PKT1_PKT2_S9_PT3_21rocsparse_index_base_b
                                        ; -- End function
	.set _ZL33csrmvn_symm_large_adaptive_kernelIll21rocsparse_complex_numIfES0_IdES2_S2_EvbT_PKS3_N9rocsparse24const_host_device_scalarIT4_EES5_PKT0_PKT1_PKT2_S9_PT3_21rocsparse_index_base_b.num_vgpr, 27
	.set _ZL33csrmvn_symm_large_adaptive_kernelIll21rocsparse_complex_numIfES0_IdES2_S2_EvbT_PKS3_N9rocsparse24const_host_device_scalarIT4_EES5_PKT0_PKT1_PKT2_S9_PT3_21rocsparse_index_base_b.num_agpr, 0
	.set _ZL33csrmvn_symm_large_adaptive_kernelIll21rocsparse_complex_numIfES0_IdES2_S2_EvbT_PKS3_N9rocsparse24const_host_device_scalarIT4_EES5_PKT0_PKT1_PKT2_S9_PT3_21rocsparse_index_base_b.numbered_sgpr, 40
	.set _ZL33csrmvn_symm_large_adaptive_kernelIll21rocsparse_complex_numIfES0_IdES2_S2_EvbT_PKS3_N9rocsparse24const_host_device_scalarIT4_EES5_PKT0_PKT1_PKT2_S9_PT3_21rocsparse_index_base_b.num_named_barrier, 0
	.set _ZL33csrmvn_symm_large_adaptive_kernelIll21rocsparse_complex_numIfES0_IdES2_S2_EvbT_PKS3_N9rocsparse24const_host_device_scalarIT4_EES5_PKT0_PKT1_PKT2_S9_PT3_21rocsparse_index_base_b.private_seg_size, 0
	.set _ZL33csrmvn_symm_large_adaptive_kernelIll21rocsparse_complex_numIfES0_IdES2_S2_EvbT_PKS3_N9rocsparse24const_host_device_scalarIT4_EES5_PKT0_PKT1_PKT2_S9_PT3_21rocsparse_index_base_b.uses_vcc, 1
	.set _ZL33csrmvn_symm_large_adaptive_kernelIll21rocsparse_complex_numIfES0_IdES2_S2_EvbT_PKS3_N9rocsparse24const_host_device_scalarIT4_EES5_PKT0_PKT1_PKT2_S9_PT3_21rocsparse_index_base_b.uses_flat_scratch, 0
	.set _ZL33csrmvn_symm_large_adaptive_kernelIll21rocsparse_complex_numIfES0_IdES2_S2_EvbT_PKS3_N9rocsparse24const_host_device_scalarIT4_EES5_PKT0_PKT1_PKT2_S9_PT3_21rocsparse_index_base_b.has_dyn_sized_stack, 0
	.set _ZL33csrmvn_symm_large_adaptive_kernelIll21rocsparse_complex_numIfES0_IdES2_S2_EvbT_PKS3_N9rocsparse24const_host_device_scalarIT4_EES5_PKT0_PKT1_PKT2_S9_PT3_21rocsparse_index_base_b.has_recursion, 0
	.set _ZL33csrmvn_symm_large_adaptive_kernelIll21rocsparse_complex_numIfES0_IdES2_S2_EvbT_PKS3_N9rocsparse24const_host_device_scalarIT4_EES5_PKT0_PKT1_PKT2_S9_PT3_21rocsparse_index_base_b.has_indirect_call, 0
	.section	.AMDGPU.csdata,"",@progbits
; Kernel info:
; codeLenInByte = 3024
; TotalNumSgprs: 42
; NumVgprs: 27
; ScratchSize: 0
; MemoryBound: 0
; FloatMode: 240
; IeeeMode: 1
; LDSByteSize: 16384 bytes/workgroup (compile time only)
; SGPRBlocks: 0
; VGPRBlocks: 3
; NumSGPRsForWavesPerEU: 42
; NumVGPRsForWavesPerEU: 27
; Occupancy: 16
; WaveLimiterHint : 1
; COMPUTE_PGM_RSRC2:SCRATCH_EN: 0
; COMPUTE_PGM_RSRC2:USER_SGPR: 2
; COMPUTE_PGM_RSRC2:TRAP_HANDLER: 0
; COMPUTE_PGM_RSRC2:TGID_X_EN: 1
; COMPUTE_PGM_RSRC2:TGID_Y_EN: 0
; COMPUTE_PGM_RSRC2:TGID_Z_EN: 0
; COMPUTE_PGM_RSRC2:TIDIG_COMP_CNT: 0
	.section	.AMDGPU.gpr_maximums,"",@progbits
	.set amdgpu.max_num_vgpr, 0
	.set amdgpu.max_num_agpr, 0
	.set amdgpu.max_num_sgpr, 0
	.section	.AMDGPU.csdata,"",@progbits
	.type	__hip_cuid_d3621d1104a0b9b8,@object ; @__hip_cuid_d3621d1104a0b9b8
	.section	.bss,"aw",@nobits
	.globl	__hip_cuid_d3621d1104a0b9b8
__hip_cuid_d3621d1104a0b9b8:
	.byte	0                               ; 0x0
	.size	__hip_cuid_d3621d1104a0b9b8, 1

	.ident	"AMD clang version 22.0.0git (https://github.com/RadeonOpenCompute/llvm-project roc-7.2.4 26084 f58b06dce1f9c15707c5f808fd002e18c2accf7e)"
	.section	".note.GNU-stack","",@progbits
	.addrsig
	.addrsig_sym _ZN9rocsparse12cols_in_rowsE
	.addrsig_sym __hip_cuid_d3621d1104a0b9b8
	.amdgpu_metadata
---
amdhsa.kernels:
  - .args:
      - .offset:         0
        .size:           1
        .value_kind:     by_value
      - .offset:         4
        .size:           4
        .value_kind:     by_value
      - .actual_access:  read_only
        .address_space:  global
        .offset:         8
        .size:           8
        .value_kind:     global_buffer
      - .address_space:  global
        .offset:         16
        .size:           8
        .value_kind:     global_buffer
      - .actual_access:  read_only
        .address_space:  global
        .offset:         24
        .size:           8
        .value_kind:     global_buffer
      - .offset:         32
        .size:           8
        .value_kind:     by_value
      - .actual_access:  read_only
        .address_space:  global
        .offset:         40
        .size:           8
        .value_kind:     global_buffer
      - .actual_access:  read_only
        .address_space:  global
        .offset:         48
        .size:           8
        .value_kind:     global_buffer
      - .actual_access:  read_only
        .address_space:  global
        .offset:         56
        .size:           8
        .value_kind:     global_buffer
      - .actual_access:  read_only
        .address_space:  global
        .offset:         64
        .size:           8
        .value_kind:     global_buffer
      - .offset:         72
        .size:           8
        .value_kind:     by_value
      - .address_space:  global
        .offset:         80
        .size:           8
        .value_kind:     global_buffer
      - .offset:         88
        .size:           4
        .value_kind:     by_value
      - .offset:         92
        .size:           1
        .value_kind:     by_value
    .group_segment_fixed_size: 4096
    .kernarg_segment_align: 8
    .kernarg_segment_size: 96
    .language:       OpenCL C
    .language_version:
      - 2
      - 0
    .max_flat_workgroup_size: 256
    .name:           _ZN9rocsparseL22csrmvn_adaptive_kernelIiiffffEEvbT_PKS1_PjPKT0_NS_24const_host_device_scalarIT4_EES3_S7_PKT1_PKT2_SA_PT3_21rocsparse_index_base_b
    .private_segment_fixed_size: 0
    .sgpr_count:     46
    .sgpr_spill_count: 0
    .symbol:         _ZN9rocsparseL22csrmvn_adaptive_kernelIiiffffEEvbT_PKS1_PjPKT0_NS_24const_host_device_scalarIT4_EES3_S7_PKT1_PKT2_SA_PT3_21rocsparse_index_base_b.kd
    .uniform_work_group_size: 1
    .uses_dynamic_stack: false
    .vgpr_count:     16
    .vgpr_spill_count: 0
    .wavefront_size: 32
    .workgroup_processor_mode: 1
  - .args:
      - .offset:         0
        .size:           4
        .value_kind:     by_value
      - .offset:         4
        .size:           4
        .value_kind:     by_value
      - .offset:         8
        .size:           4
        .value_kind:     by_value
      - .offset:         16
        .size:           8
        .value_kind:     by_value
      - .address_space:  global
        .offset:         24
        .size:           8
        .value_kind:     global_buffer
      - .offset:         32
        .size:           1
        .value_kind:     by_value
    .group_segment_fixed_size: 0
    .kernarg_segment_align: 8
    .kernarg_segment_size: 36
    .language:       OpenCL C
    .language_version:
      - 2
      - 0
    .max_flat_workgroup_size: 256
    .name:           _ZN9rocsparseL22partial_scale_y_kernelIiffEEvT_S1_S1_NS_24const_host_device_scalarIT1_EEPT0_b
    .private_segment_fixed_size: 0
    .sgpr_count:     9
    .sgpr_spill_count: 0
    .symbol:         _ZN9rocsparseL22partial_scale_y_kernelIiffEEvT_S1_S1_NS_24const_host_device_scalarIT1_EEPT0_b.kd
    .uniform_work_group_size: 1
    .uses_dynamic_stack: false
    .vgpr_count:     3
    .vgpr_spill_count: 0
    .wavefront_size: 32
    .workgroup_processor_mode: 1
  - .args:
      - .offset:         0
        .size:           1
        .value_kind:     by_value
      - .offset:         4
        .size:           4
        .value_kind:     by_value
      - .offset:         8
        .size:           4
        .value_kind:     by_value
      - .actual_access:  read_only
        .address_space:  global
        .offset:         16
        .size:           8
        .value_kind:     global_buffer
      - .offset:         24
        .size:           8
        .value_kind:     by_value
      - .actual_access:  read_only
        .address_space:  global
        .offset:         32
        .size:           8
        .value_kind:     global_buffer
      - .actual_access:  read_only
        .address_space:  global
        .offset:         40
        .size:           8
        .value_kind:     global_buffer
      - .actual_access:  read_only
        .address_space:  global
        .offset:         48
        .size:           8
        .value_kind:     global_buffer
      - .actual_access:  read_only
        .address_space:  global
        .offset:         56
        .size:           8
        .value_kind:     global_buffer
      - .offset:         64
        .size:           8
        .value_kind:     by_value
      - .address_space:  global
        .offset:         72
        .size:           8
        .value_kind:     global_buffer
      - .offset:         80
        .size:           4
        .value_kind:     by_value
      - .offset:         84
        .size:           1
        .value_kind:     by_value
      - .offset:         88
        .size:           4
        .value_kind:     hidden_block_count_x
      - .offset:         92
        .size:           4
        .value_kind:     hidden_block_count_y
      - .offset:         96
        .size:           4
        .value_kind:     hidden_block_count_z
      - .offset:         100
        .size:           2
        .value_kind:     hidden_group_size_x
      - .offset:         102
        .size:           2
        .value_kind:     hidden_group_size_y
      - .offset:         104
        .size:           2
        .value_kind:     hidden_group_size_z
      - .offset:         106
        .size:           2
        .value_kind:     hidden_remainder_x
      - .offset:         108
        .size:           2
        .value_kind:     hidden_remainder_y
      - .offset:         110
        .size:           2
        .value_kind:     hidden_remainder_z
      - .offset:         128
        .size:           8
        .value_kind:     hidden_global_offset_x
      - .offset:         136
        .size:           8
        .value_kind:     hidden_global_offset_y
      - .offset:         144
        .size:           8
        .value_kind:     hidden_global_offset_z
      - .offset:         152
        .size:           2
        .value_kind:     hidden_grid_dims
      - .offset:         208
        .size:           4
        .value_kind:     hidden_dynamic_lds_size
    .group_segment_fixed_size: 4096
    .kernarg_segment_align: 8
    .kernarg_segment_size: 344
    .language:       OpenCL C
    .language_version:
      - 2
      - 0
    .max_flat_workgroup_size: 256
    .name:           _ZN9rocsparseL27csrmvn_symm_adaptive_kernelIiiffffEEvbT_S1_PKS1_NS_24const_host_device_scalarIT4_EES3_PKT0_PKT1_PKT2_S6_PT3_21rocsparse_index_base_b
    .private_segment_fixed_size: 0
    .sgpr_count:     32
    .sgpr_spill_count: 0
    .symbol:         _ZN9rocsparseL27csrmvn_symm_adaptive_kernelIiiffffEEvbT_S1_PKS1_NS_24const_host_device_scalarIT4_EES3_PKT0_PKT1_PKT2_S6_PT3_21rocsparse_index_base_b.kd
    .uniform_work_group_size: 1
    .uses_dynamic_stack: false
    .vgpr_count:     15
    .vgpr_spill_count: 0
    .wavefront_size: 32
    .workgroup_processor_mode: 1
  - .args:
      - .offset:         0
        .size:           1
        .value_kind:     by_value
      - .offset:         4
        .size:           4
        .value_kind:     by_value
      - .actual_access:  read_only
        .address_space:  global
        .offset:         8
        .size:           8
        .value_kind:     global_buffer
      - .offset:         16
        .size:           8
        .value_kind:     by_value
      - .actual_access:  read_only
        .address_space:  global
        .offset:         24
        .size:           8
        .value_kind:     global_buffer
      - .actual_access:  read_only
        .address_space:  global
        .offset:         32
        .size:           8
        .value_kind:     global_buffer
      - .actual_access:  read_only
        .address_space:  global
        .offset:         40
        .size:           8
        .value_kind:     global_buffer
      - .actual_access:  read_only
        .address_space:  global
        .offset:         48
        .size:           8
        .value_kind:     global_buffer
      - .offset:         56
        .size:           8
        .value_kind:     by_value
      - .address_space:  global
        .offset:         64
        .size:           8
        .value_kind:     global_buffer
      - .offset:         72
        .size:           4
        .value_kind:     by_value
      - .offset:         76
        .size:           1
        .value_kind:     by_value
    .group_segment_fixed_size: 4096
    .kernarg_segment_align: 8
    .kernarg_segment_size: 80
    .language:       OpenCL C
    .language_version:
      - 2
      - 0
    .max_flat_workgroup_size: 256
    .name:           _ZL33csrmvn_symm_large_adaptive_kernelIiiffffEvbT_PKS0_N9rocsparse24const_host_device_scalarIT4_EES2_PKT0_PKT1_PKT2_S6_PT3_21rocsparse_index_base_b
    .private_segment_fixed_size: 0
    .sgpr_count:     28
    .sgpr_spill_count: 0
    .symbol:         _ZL33csrmvn_symm_large_adaptive_kernelIiiffffEvbT_PKS0_N9rocsparse24const_host_device_scalarIT4_EES2_PKT0_PKT1_PKT2_S6_PT3_21rocsparse_index_base_b.kd
    .uniform_work_group_size: 1
    .uses_dynamic_stack: false
    .vgpr_count:     12
    .vgpr_spill_count: 0
    .wavefront_size: 32
    .workgroup_processor_mode: 1
  - .args:
      - .offset:         0
        .size:           1
        .value_kind:     by_value
      - .offset:         8
        .size:           8
        .value_kind:     by_value
      - .actual_access:  read_only
        .address_space:  global
        .offset:         16
        .size:           8
        .value_kind:     global_buffer
      - .address_space:  global
        .offset:         24
        .size:           8
        .value_kind:     global_buffer
      - .actual_access:  read_only
        .address_space:  global
        .offset:         32
        .size:           8
        .value_kind:     global_buffer
      - .offset:         40
        .size:           8
        .value_kind:     by_value
      - .actual_access:  read_only
        .address_space:  global
        .offset:         48
        .size:           8
        .value_kind:     global_buffer
      - .actual_access:  read_only
        .address_space:  global
        .offset:         56
        .size:           8
        .value_kind:     global_buffer
      - .actual_access:  read_only
        .address_space:  global
        .offset:         64
        .size:           8
        .value_kind:     global_buffer
      - .actual_access:  read_only
        .address_space:  global
        .offset:         72
        .size:           8
        .value_kind:     global_buffer
      - .offset:         80
        .size:           8
        .value_kind:     by_value
      - .address_space:  global
        .offset:         88
        .size:           8
        .value_kind:     global_buffer
      - .offset:         96
        .size:           4
        .value_kind:     by_value
      - .offset:         100
        .size:           1
        .value_kind:     by_value
    .group_segment_fixed_size: 4096
    .kernarg_segment_align: 8
    .kernarg_segment_size: 104
    .language:       OpenCL C
    .language_version:
      - 2
      - 0
    .max_flat_workgroup_size: 256
    .name:           _ZN9rocsparseL22csrmvn_adaptive_kernelIliffffEEvbT_PKS1_PjPKT0_NS_24const_host_device_scalarIT4_EES3_S7_PKT1_PKT2_SA_PT3_21rocsparse_index_base_b
    .private_segment_fixed_size: 0
    .sgpr_count:     54
    .sgpr_spill_count: 0
    .symbol:         _ZN9rocsparseL22csrmvn_adaptive_kernelIliffffEEvbT_PKS1_PjPKT0_NS_24const_host_device_scalarIT4_EES3_S7_PKT1_PKT2_SA_PT3_21rocsparse_index_base_b.kd
    .uniform_work_group_size: 1
    .uses_dynamic_stack: false
    .vgpr_count:     16
    .vgpr_spill_count: 0
    .wavefront_size: 32
    .workgroup_processor_mode: 1
  - .args:
      - .offset:         0
        .size:           1
        .value_kind:     by_value
      - .offset:         8
        .size:           8
        .value_kind:     by_value
      - .offset:         16
        .size:           8
        .value_kind:     by_value
      - .actual_access:  read_only
        .address_space:  global
        .offset:         24
        .size:           8
        .value_kind:     global_buffer
      - .offset:         32
        .size:           8
        .value_kind:     by_value
      - .actual_access:  read_only
        .address_space:  global
        .offset:         40
        .size:           8
        .value_kind:     global_buffer
      - .actual_access:  read_only
        .address_space:  global
        .offset:         48
        .size:           8
        .value_kind:     global_buffer
      - .actual_access:  read_only
        .address_space:  global
        .offset:         56
        .size:           8
        .value_kind:     global_buffer
      - .actual_access:  read_only
        .address_space:  global
        .offset:         64
        .size:           8
        .value_kind:     global_buffer
      - .offset:         72
        .size:           8
        .value_kind:     by_value
      - .address_space:  global
        .offset:         80
        .size:           8
        .value_kind:     global_buffer
      - .offset:         88
        .size:           4
        .value_kind:     by_value
      - .offset:         92
        .size:           1
        .value_kind:     by_value
      - .offset:         96
        .size:           4
        .value_kind:     hidden_block_count_x
      - .offset:         100
        .size:           4
        .value_kind:     hidden_block_count_y
      - .offset:         104
        .size:           4
        .value_kind:     hidden_block_count_z
      - .offset:         108
        .size:           2
        .value_kind:     hidden_group_size_x
      - .offset:         110
        .size:           2
        .value_kind:     hidden_group_size_y
      - .offset:         112
        .size:           2
        .value_kind:     hidden_group_size_z
      - .offset:         114
        .size:           2
        .value_kind:     hidden_remainder_x
      - .offset:         116
        .size:           2
        .value_kind:     hidden_remainder_y
      - .offset:         118
        .size:           2
        .value_kind:     hidden_remainder_z
      - .offset:         136
        .size:           8
        .value_kind:     hidden_global_offset_x
      - .offset:         144
        .size:           8
        .value_kind:     hidden_global_offset_y
      - .offset:         152
        .size:           8
        .value_kind:     hidden_global_offset_z
      - .offset:         160
        .size:           2
        .value_kind:     hidden_grid_dims
      - .offset:         216
        .size:           4
        .value_kind:     hidden_dynamic_lds_size
    .group_segment_fixed_size: 4096
    .kernarg_segment_align: 8
    .kernarg_segment_size: 352
    .language:       OpenCL C
    .language_version:
      - 2
      - 0
    .max_flat_workgroup_size: 256
    .name:           _ZN9rocsparseL27csrmvn_symm_adaptive_kernelIliffffEEvbT_S1_PKS1_NS_24const_host_device_scalarIT4_EES3_PKT0_PKT1_PKT2_S6_PT3_21rocsparse_index_base_b
    .private_segment_fixed_size: 0
    .sgpr_count:     44
    .sgpr_spill_count: 0
    .symbol:         _ZN9rocsparseL27csrmvn_symm_adaptive_kernelIliffffEEvbT_S1_PKS1_NS_24const_host_device_scalarIT4_EES3_PKT0_PKT1_PKT2_S6_PT3_21rocsparse_index_base_b.kd
    .uniform_work_group_size: 1
    .uses_dynamic_stack: false
    .vgpr_count:     22
    .vgpr_spill_count: 0
    .wavefront_size: 32
    .workgroup_processor_mode: 1
  - .args:
      - .offset:         0
        .size:           1
        .value_kind:     by_value
      - .offset:         8
        .size:           8
        .value_kind:     by_value
      - .actual_access:  read_only
        .address_space:  global
        .offset:         16
        .size:           8
        .value_kind:     global_buffer
      - .offset:         24
        .size:           8
        .value_kind:     by_value
      - .actual_access:  read_only
        .address_space:  global
        .offset:         32
        .size:           8
        .value_kind:     global_buffer
      - .actual_access:  read_only
        .address_space:  global
        .offset:         40
        .size:           8
        .value_kind:     global_buffer
      - .actual_access:  read_only
        .address_space:  global
        .offset:         48
        .size:           8
        .value_kind:     global_buffer
      - .actual_access:  read_only
        .address_space:  global
        .offset:         56
        .size:           8
        .value_kind:     global_buffer
      - .offset:         64
        .size:           8
        .value_kind:     by_value
      - .address_space:  global
        .offset:         72
        .size:           8
        .value_kind:     global_buffer
      - .offset:         80
        .size:           4
        .value_kind:     by_value
      - .offset:         84
        .size:           1
        .value_kind:     by_value
    .group_segment_fixed_size: 4096
    .kernarg_segment_align: 8
    .kernarg_segment_size: 88
    .language:       OpenCL C
    .language_version:
      - 2
      - 0
    .max_flat_workgroup_size: 256
    .name:           _ZL33csrmvn_symm_large_adaptive_kernelIliffffEvbT_PKS0_N9rocsparse24const_host_device_scalarIT4_EES2_PKT0_PKT1_PKT2_S6_PT3_21rocsparse_index_base_b
    .private_segment_fixed_size: 0
    .sgpr_count:     34
    .sgpr_spill_count: 0
    .symbol:         _ZL33csrmvn_symm_large_adaptive_kernelIliffffEvbT_PKS0_N9rocsparse24const_host_device_scalarIT4_EES2_PKT0_PKT1_PKT2_S6_PT3_21rocsparse_index_base_b.kd
    .uniform_work_group_size: 1
    .uses_dynamic_stack: false
    .vgpr_count:     14
    .vgpr_spill_count: 0
    .wavefront_size: 32
    .workgroup_processor_mode: 1
  - .args:
      - .offset:         0
        .size:           1
        .value_kind:     by_value
      - .offset:         8
        .size:           8
        .value_kind:     by_value
      - .actual_access:  read_only
        .address_space:  global
        .offset:         16
        .size:           8
        .value_kind:     global_buffer
      - .address_space:  global
        .offset:         24
        .size:           8
        .value_kind:     global_buffer
      - .actual_access:  read_only
        .address_space:  global
        .offset:         32
        .size:           8
        .value_kind:     global_buffer
      - .offset:         40
        .size:           8
        .value_kind:     by_value
      - .actual_access:  read_only
        .address_space:  global
        .offset:         48
        .size:           8
        .value_kind:     global_buffer
      - .actual_access:  read_only
        .address_space:  global
        .offset:         56
        .size:           8
        .value_kind:     global_buffer
      - .actual_access:  read_only
        .address_space:  global
        .offset:         64
        .size:           8
        .value_kind:     global_buffer
      - .actual_access:  read_only
        .address_space:  global
        .offset:         72
        .size:           8
        .value_kind:     global_buffer
      - .offset:         80
        .size:           8
        .value_kind:     by_value
      - .address_space:  global
        .offset:         88
        .size:           8
        .value_kind:     global_buffer
      - .offset:         96
        .size:           4
        .value_kind:     by_value
      - .offset:         100
        .size:           1
        .value_kind:     by_value
    .group_segment_fixed_size: 4096
    .kernarg_segment_align: 8
    .kernarg_segment_size: 104
    .language:       OpenCL C
    .language_version:
      - 2
      - 0
    .max_flat_workgroup_size: 256
    .name:           _ZN9rocsparseL22csrmvn_adaptive_kernelIllffffEEvbT_PKS1_PjPKT0_NS_24const_host_device_scalarIT4_EES3_S7_PKT1_PKT2_SA_PT3_21rocsparse_index_base_b
    .private_segment_fixed_size: 0
    .sgpr_count:     50
    .sgpr_spill_count: 0
    .symbol:         _ZN9rocsparseL22csrmvn_adaptive_kernelIllffffEEvbT_PKS1_PjPKT0_NS_24const_host_device_scalarIT4_EES3_S7_PKT1_PKT2_SA_PT3_21rocsparse_index_base_b.kd
    .uniform_work_group_size: 1
    .uses_dynamic_stack: false
    .vgpr_count:     16
    .vgpr_spill_count: 0
    .wavefront_size: 32
    .workgroup_processor_mode: 1
  - .args:
      - .offset:         0
        .size:           8
        .value_kind:     by_value
      - .offset:         8
        .size:           8
        .value_kind:     by_value
      - .offset:         16
        .size:           8
        .value_kind:     by_value
      - .offset:         24
        .size:           8
        .value_kind:     by_value
      - .address_space:  global
        .offset:         32
        .size:           8
        .value_kind:     global_buffer
      - .offset:         40
        .size:           1
        .value_kind:     by_value
    .group_segment_fixed_size: 0
    .kernarg_segment_align: 8
    .kernarg_segment_size: 44
    .language:       OpenCL C
    .language_version:
      - 2
      - 0
    .max_flat_workgroup_size: 256
    .name:           _ZN9rocsparseL22partial_scale_y_kernelIlffEEvT_S1_S1_NS_24const_host_device_scalarIT1_EEPT0_b
    .private_segment_fixed_size: 0
    .sgpr_count:     14
    .sgpr_spill_count: 0
    .symbol:         _ZN9rocsparseL22partial_scale_y_kernelIlffEEvT_S1_S1_NS_24const_host_device_scalarIT1_EEPT0_b.kd
    .uniform_work_group_size: 1
    .uses_dynamic_stack: false
    .vgpr_count:     4
    .vgpr_spill_count: 0
    .wavefront_size: 32
    .workgroup_processor_mode: 1
  - .args:
      - .offset:         0
        .size:           1
        .value_kind:     by_value
      - .offset:         8
        .size:           8
        .value_kind:     by_value
      - .offset:         16
        .size:           8
        .value_kind:     by_value
      - .actual_access:  read_only
        .address_space:  global
        .offset:         24
        .size:           8
        .value_kind:     global_buffer
      - .offset:         32
        .size:           8
        .value_kind:     by_value
      - .actual_access:  read_only
        .address_space:  global
        .offset:         40
        .size:           8
        .value_kind:     global_buffer
      - .actual_access:  read_only
        .address_space:  global
        .offset:         48
        .size:           8
        .value_kind:     global_buffer
      - .actual_access:  read_only
        .address_space:  global
        .offset:         56
        .size:           8
        .value_kind:     global_buffer
      - .actual_access:  read_only
        .address_space:  global
        .offset:         64
        .size:           8
        .value_kind:     global_buffer
      - .offset:         72
        .size:           8
        .value_kind:     by_value
      - .address_space:  global
        .offset:         80
        .size:           8
        .value_kind:     global_buffer
      - .offset:         88
        .size:           4
        .value_kind:     by_value
      - .offset:         92
        .size:           1
        .value_kind:     by_value
      - .offset:         96
        .size:           4
        .value_kind:     hidden_block_count_x
      - .offset:         100
        .size:           4
        .value_kind:     hidden_block_count_y
      - .offset:         104
        .size:           4
        .value_kind:     hidden_block_count_z
      - .offset:         108
        .size:           2
        .value_kind:     hidden_group_size_x
      - .offset:         110
        .size:           2
        .value_kind:     hidden_group_size_y
      - .offset:         112
        .size:           2
        .value_kind:     hidden_group_size_z
      - .offset:         114
        .size:           2
        .value_kind:     hidden_remainder_x
      - .offset:         116
        .size:           2
        .value_kind:     hidden_remainder_y
      - .offset:         118
        .size:           2
        .value_kind:     hidden_remainder_z
      - .offset:         136
        .size:           8
        .value_kind:     hidden_global_offset_x
      - .offset:         144
        .size:           8
        .value_kind:     hidden_global_offset_y
      - .offset:         152
        .size:           8
        .value_kind:     hidden_global_offset_z
      - .offset:         160
        .size:           2
        .value_kind:     hidden_grid_dims
      - .offset:         216
        .size:           4
        .value_kind:     hidden_dynamic_lds_size
    .group_segment_fixed_size: 4096
    .kernarg_segment_align: 8
    .kernarg_segment_size: 352
    .language:       OpenCL C
    .language_version:
      - 2
      - 0
    .max_flat_workgroup_size: 256
    .name:           _ZN9rocsparseL27csrmvn_symm_adaptive_kernelIllffffEEvbT_S1_PKS1_NS_24const_host_device_scalarIT4_EES3_PKT0_PKT1_PKT2_S6_PT3_21rocsparse_index_base_b
    .private_segment_fixed_size: 0
    .sgpr_count:     44
    .sgpr_spill_count: 0
    .symbol:         _ZN9rocsparseL27csrmvn_symm_adaptive_kernelIllffffEEvbT_S1_PKS1_NS_24const_host_device_scalarIT4_EES3_PKT0_PKT1_PKT2_S6_PT3_21rocsparse_index_base_b.kd
    .uniform_work_group_size: 1
    .uses_dynamic_stack: false
    .vgpr_count:     22
    .vgpr_spill_count: 0
    .wavefront_size: 32
    .workgroup_processor_mode: 1
  - .args:
      - .offset:         0
        .size:           1
        .value_kind:     by_value
      - .offset:         8
        .size:           8
        .value_kind:     by_value
      - .actual_access:  read_only
        .address_space:  global
        .offset:         16
        .size:           8
        .value_kind:     global_buffer
      - .offset:         24
        .size:           8
        .value_kind:     by_value
      - .actual_access:  read_only
        .address_space:  global
        .offset:         32
        .size:           8
        .value_kind:     global_buffer
      - .actual_access:  read_only
        .address_space:  global
        .offset:         40
        .size:           8
        .value_kind:     global_buffer
      - .actual_access:  read_only
        .address_space:  global
        .offset:         48
        .size:           8
        .value_kind:     global_buffer
      - .actual_access:  read_only
        .address_space:  global
        .offset:         56
        .size:           8
        .value_kind:     global_buffer
      - .offset:         64
        .size:           8
        .value_kind:     by_value
      - .address_space:  global
        .offset:         72
        .size:           8
        .value_kind:     global_buffer
      - .offset:         80
        .size:           4
        .value_kind:     by_value
      - .offset:         84
        .size:           1
        .value_kind:     by_value
    .group_segment_fixed_size: 4096
    .kernarg_segment_align: 8
    .kernarg_segment_size: 88
    .language:       OpenCL C
    .language_version:
      - 2
      - 0
    .max_flat_workgroup_size: 256
    .name:           _ZL33csrmvn_symm_large_adaptive_kernelIllffffEvbT_PKS0_N9rocsparse24const_host_device_scalarIT4_EES2_PKT0_PKT1_PKT2_S6_PT3_21rocsparse_index_base_b
    .private_segment_fixed_size: 0
    .sgpr_count:     34
    .sgpr_spill_count: 0
    .symbol:         _ZL33csrmvn_symm_large_adaptive_kernelIllffffEvbT_PKS0_N9rocsparse24const_host_device_scalarIT4_EES2_PKT0_PKT1_PKT2_S6_PT3_21rocsparse_index_base_b.kd
    .uniform_work_group_size: 1
    .uses_dynamic_stack: false
    .vgpr_count:     14
    .vgpr_spill_count: 0
    .wavefront_size: 32
    .workgroup_processor_mode: 1
  - .args:
      - .offset:         0
        .size:           1
        .value_kind:     by_value
      - .offset:         4
        .size:           4
        .value_kind:     by_value
      - .actual_access:  read_only
        .address_space:  global
        .offset:         8
        .size:           8
        .value_kind:     global_buffer
      - .address_space:  global
        .offset:         16
        .size:           8
        .value_kind:     global_buffer
      - .actual_access:  read_only
        .address_space:  global
        .offset:         24
        .size:           8
        .value_kind:     global_buffer
      - .offset:         32
        .size:           8
        .value_kind:     by_value
      - .actual_access:  read_only
        .address_space:  global
        .offset:         40
        .size:           8
        .value_kind:     global_buffer
      - .actual_access:  read_only
        .address_space:  global
        .offset:         48
        .size:           8
        .value_kind:     global_buffer
      - .actual_access:  read_only
        .address_space:  global
        .offset:         56
        .size:           8
        .value_kind:     global_buffer
      - .actual_access:  read_only
        .address_space:  global
        .offset:         64
        .size:           8
        .value_kind:     global_buffer
      - .offset:         72
        .size:           8
        .value_kind:     by_value
      - .address_space:  global
        .offset:         80
        .size:           8
        .value_kind:     global_buffer
      - .offset:         88
        .size:           4
        .value_kind:     by_value
      - .offset:         92
        .size:           1
        .value_kind:     by_value
    .group_segment_fixed_size: 8192
    .kernarg_segment_align: 8
    .kernarg_segment_size: 96
    .language:       OpenCL C
    .language_version:
      - 2
      - 0
    .max_flat_workgroup_size: 256
    .name:           _ZN9rocsparseL22csrmvn_adaptive_kernelIiiddddEEvbT_PKS1_PjPKT0_NS_24const_host_device_scalarIT4_EES3_S7_PKT1_PKT2_SA_PT3_21rocsparse_index_base_b
    .private_segment_fixed_size: 0
    .sgpr_count:     42
    .sgpr_spill_count: 0
    .symbol:         _ZN9rocsparseL22csrmvn_adaptive_kernelIiiddddEEvbT_PKS1_PjPKT0_NS_24const_host_device_scalarIT4_EES3_S7_PKT1_PKT2_SA_PT3_21rocsparse_index_base_b.kd
    .uniform_work_group_size: 1
    .uses_dynamic_stack: false
    .vgpr_count:     22
    .vgpr_spill_count: 0
    .wavefront_size: 32
    .workgroup_processor_mode: 1
  - .args:
      - .offset:         0
        .size:           4
        .value_kind:     by_value
      - .offset:         4
        .size:           4
        .value_kind:     by_value
      - .offset:         8
        .size:           4
        .value_kind:     by_value
      - .offset:         16
        .size:           8
        .value_kind:     by_value
      - .address_space:  global
        .offset:         24
        .size:           8
        .value_kind:     global_buffer
      - .offset:         32
        .size:           1
        .value_kind:     by_value
    .group_segment_fixed_size: 0
    .kernarg_segment_align: 8
    .kernarg_segment_size: 36
    .language:       OpenCL C
    .language_version:
      - 2
      - 0
    .max_flat_workgroup_size: 256
    .name:           _ZN9rocsparseL22partial_scale_y_kernelIiddEEvT_S1_S1_NS_24const_host_device_scalarIT1_EEPT0_b
    .private_segment_fixed_size: 0
    .sgpr_count:     9
    .sgpr_spill_count: 0
    .symbol:         _ZN9rocsparseL22partial_scale_y_kernelIiddEEvT_S1_S1_NS_24const_host_device_scalarIT1_EEPT0_b.kd
    .uniform_work_group_size: 1
    .uses_dynamic_stack: false
    .vgpr_count:     7
    .vgpr_spill_count: 0
    .wavefront_size: 32
    .workgroup_processor_mode: 1
  - .args:
      - .offset:         0
        .size:           1
        .value_kind:     by_value
      - .offset:         4
        .size:           4
        .value_kind:     by_value
      - .offset:         8
        .size:           4
        .value_kind:     by_value
      - .actual_access:  read_only
        .address_space:  global
        .offset:         16
        .size:           8
        .value_kind:     global_buffer
      - .offset:         24
        .size:           8
        .value_kind:     by_value
      - .actual_access:  read_only
        .address_space:  global
        .offset:         32
        .size:           8
        .value_kind:     global_buffer
      - .actual_access:  read_only
        .address_space:  global
        .offset:         40
        .size:           8
        .value_kind:     global_buffer
      - .actual_access:  read_only
        .address_space:  global
        .offset:         48
        .size:           8
        .value_kind:     global_buffer
      - .actual_access:  read_only
        .address_space:  global
        .offset:         56
        .size:           8
        .value_kind:     global_buffer
      - .offset:         64
        .size:           8
        .value_kind:     by_value
      - .address_space:  global
        .offset:         72
        .size:           8
        .value_kind:     global_buffer
      - .offset:         80
        .size:           4
        .value_kind:     by_value
      - .offset:         84
        .size:           1
        .value_kind:     by_value
      - .offset:         88
        .size:           4
        .value_kind:     hidden_block_count_x
      - .offset:         92
        .size:           4
        .value_kind:     hidden_block_count_y
      - .offset:         96
        .size:           4
        .value_kind:     hidden_block_count_z
      - .offset:         100
        .size:           2
        .value_kind:     hidden_group_size_x
      - .offset:         102
        .size:           2
        .value_kind:     hidden_group_size_y
      - .offset:         104
        .size:           2
        .value_kind:     hidden_group_size_z
      - .offset:         106
        .size:           2
        .value_kind:     hidden_remainder_x
      - .offset:         108
        .size:           2
        .value_kind:     hidden_remainder_y
      - .offset:         110
        .size:           2
        .value_kind:     hidden_remainder_z
      - .offset:         128
        .size:           8
        .value_kind:     hidden_global_offset_x
      - .offset:         136
        .size:           8
        .value_kind:     hidden_global_offset_y
      - .offset:         144
        .size:           8
        .value_kind:     hidden_global_offset_z
      - .offset:         152
        .size:           2
        .value_kind:     hidden_grid_dims
      - .offset:         208
        .size:           4
        .value_kind:     hidden_dynamic_lds_size
    .group_segment_fixed_size: 8192
    .kernarg_segment_align: 8
    .kernarg_segment_size: 344
    .language:       OpenCL C
    .language_version:
      - 2
      - 0
    .max_flat_workgroup_size: 256
    .name:           _ZN9rocsparseL27csrmvn_symm_adaptive_kernelIiiddddEEvbT_S1_PKS1_NS_24const_host_device_scalarIT4_EES3_PKT0_PKT1_PKT2_S6_PT3_21rocsparse_index_base_b
    .private_segment_fixed_size: 0
    .sgpr_count:     32
    .sgpr_spill_count: 0
    .symbol:         _ZN9rocsparseL27csrmvn_symm_adaptive_kernelIiiddddEEvbT_S1_PKS1_NS_24const_host_device_scalarIT4_EES3_PKT0_PKT1_PKT2_S6_PT3_21rocsparse_index_base_b.kd
    .uniform_work_group_size: 1
    .uses_dynamic_stack: false
    .vgpr_count:     21
    .vgpr_spill_count: 0
    .wavefront_size: 32
    .workgroup_processor_mode: 1
  - .args:
      - .offset:         0
        .size:           1
        .value_kind:     by_value
      - .offset:         4
        .size:           4
        .value_kind:     by_value
      - .actual_access:  read_only
        .address_space:  global
        .offset:         8
        .size:           8
        .value_kind:     global_buffer
      - .offset:         16
        .size:           8
        .value_kind:     by_value
      - .actual_access:  read_only
        .address_space:  global
        .offset:         24
        .size:           8
        .value_kind:     global_buffer
      - .actual_access:  read_only
        .address_space:  global
        .offset:         32
        .size:           8
        .value_kind:     global_buffer
      - .actual_access:  read_only
        .address_space:  global
        .offset:         40
        .size:           8
        .value_kind:     global_buffer
      - .actual_access:  read_only
        .address_space:  global
        .offset:         48
        .size:           8
        .value_kind:     global_buffer
      - .offset:         56
        .size:           8
        .value_kind:     by_value
      - .address_space:  global
        .offset:         64
        .size:           8
        .value_kind:     global_buffer
      - .offset:         72
        .size:           4
        .value_kind:     by_value
      - .offset:         76
        .size:           1
        .value_kind:     by_value
    .group_segment_fixed_size: 8192
    .kernarg_segment_align: 8
    .kernarg_segment_size: 80
    .language:       OpenCL C
    .language_version:
      - 2
      - 0
    .max_flat_workgroup_size: 256
    .name:           _ZL33csrmvn_symm_large_adaptive_kernelIiiddddEvbT_PKS0_N9rocsparse24const_host_device_scalarIT4_EES2_PKT0_PKT1_PKT2_S6_PT3_21rocsparse_index_base_b
    .private_segment_fixed_size: 0
    .sgpr_count:     25
    .sgpr_spill_count: 0
    .symbol:         _ZL33csrmvn_symm_large_adaptive_kernelIiiddddEvbT_PKS0_N9rocsparse24const_host_device_scalarIT4_EES2_PKT0_PKT1_PKT2_S6_PT3_21rocsparse_index_base_b.kd
    .uniform_work_group_size: 1
    .uses_dynamic_stack: false
    .vgpr_count:     17
    .vgpr_spill_count: 0
    .wavefront_size: 32
    .workgroup_processor_mode: 1
  - .args:
      - .offset:         0
        .size:           1
        .value_kind:     by_value
      - .offset:         8
        .size:           8
        .value_kind:     by_value
      - .actual_access:  read_only
        .address_space:  global
        .offset:         16
        .size:           8
        .value_kind:     global_buffer
      - .address_space:  global
        .offset:         24
        .size:           8
        .value_kind:     global_buffer
      - .actual_access:  read_only
        .address_space:  global
        .offset:         32
        .size:           8
        .value_kind:     global_buffer
      - .offset:         40
        .size:           8
        .value_kind:     by_value
      - .actual_access:  read_only
        .address_space:  global
        .offset:         48
        .size:           8
        .value_kind:     global_buffer
      - .actual_access:  read_only
        .address_space:  global
        .offset:         56
        .size:           8
        .value_kind:     global_buffer
      - .actual_access:  read_only
        .address_space:  global
        .offset:         64
        .size:           8
        .value_kind:     global_buffer
      - .actual_access:  read_only
        .address_space:  global
        .offset:         72
        .size:           8
        .value_kind:     global_buffer
      - .offset:         80
        .size:           8
        .value_kind:     by_value
      - .address_space:  global
        .offset:         88
        .size:           8
        .value_kind:     global_buffer
      - .offset:         96
        .size:           4
        .value_kind:     by_value
      - .offset:         100
        .size:           1
        .value_kind:     by_value
    .group_segment_fixed_size: 8192
    .kernarg_segment_align: 8
    .kernarg_segment_size: 104
    .language:       OpenCL C
    .language_version:
      - 2
      - 0
    .max_flat_workgroup_size: 256
    .name:           _ZN9rocsparseL22csrmvn_adaptive_kernelIliddddEEvbT_PKS1_PjPKT0_NS_24const_host_device_scalarIT4_EES3_S7_PKT1_PKT2_SA_PT3_21rocsparse_index_base_b
    .private_segment_fixed_size: 0
    .sgpr_count:     54
    .sgpr_spill_count: 0
    .symbol:         _ZN9rocsparseL22csrmvn_adaptive_kernelIliddddEEvbT_PKS1_PjPKT0_NS_24const_host_device_scalarIT4_EES3_S7_PKT1_PKT2_SA_PT3_21rocsparse_index_base_b.kd
    .uniform_work_group_size: 1
    .uses_dynamic_stack: false
    .vgpr_count:     22
    .vgpr_spill_count: 0
    .wavefront_size: 32
    .workgroup_processor_mode: 1
  - .args:
      - .offset:         0
        .size:           1
        .value_kind:     by_value
      - .offset:         8
        .size:           8
        .value_kind:     by_value
      - .offset:         16
        .size:           8
        .value_kind:     by_value
      - .actual_access:  read_only
        .address_space:  global
        .offset:         24
        .size:           8
        .value_kind:     global_buffer
      - .offset:         32
        .size:           8
        .value_kind:     by_value
      - .actual_access:  read_only
        .address_space:  global
        .offset:         40
        .size:           8
        .value_kind:     global_buffer
      - .actual_access:  read_only
        .address_space:  global
        .offset:         48
        .size:           8
        .value_kind:     global_buffer
      - .actual_access:  read_only
        .address_space:  global
        .offset:         56
        .size:           8
        .value_kind:     global_buffer
      - .actual_access:  read_only
        .address_space:  global
        .offset:         64
        .size:           8
        .value_kind:     global_buffer
      - .offset:         72
        .size:           8
        .value_kind:     by_value
      - .address_space:  global
        .offset:         80
        .size:           8
        .value_kind:     global_buffer
      - .offset:         88
        .size:           4
        .value_kind:     by_value
      - .offset:         92
        .size:           1
        .value_kind:     by_value
      - .offset:         96
        .size:           4
        .value_kind:     hidden_block_count_x
      - .offset:         100
        .size:           4
        .value_kind:     hidden_block_count_y
      - .offset:         104
        .size:           4
        .value_kind:     hidden_block_count_z
      - .offset:         108
        .size:           2
        .value_kind:     hidden_group_size_x
      - .offset:         110
        .size:           2
        .value_kind:     hidden_group_size_y
      - .offset:         112
        .size:           2
        .value_kind:     hidden_group_size_z
      - .offset:         114
        .size:           2
        .value_kind:     hidden_remainder_x
      - .offset:         116
        .size:           2
        .value_kind:     hidden_remainder_y
      - .offset:         118
        .size:           2
        .value_kind:     hidden_remainder_z
      - .offset:         136
        .size:           8
        .value_kind:     hidden_global_offset_x
      - .offset:         144
        .size:           8
        .value_kind:     hidden_global_offset_y
      - .offset:         152
        .size:           8
        .value_kind:     hidden_global_offset_z
      - .offset:         160
        .size:           2
        .value_kind:     hidden_grid_dims
      - .offset:         216
        .size:           4
        .value_kind:     hidden_dynamic_lds_size
    .group_segment_fixed_size: 8192
    .kernarg_segment_align: 8
    .kernarg_segment_size: 352
    .language:       OpenCL C
    .language_version:
      - 2
      - 0
    .max_flat_workgroup_size: 256
    .name:           _ZN9rocsparseL27csrmvn_symm_adaptive_kernelIliddddEEvbT_S1_PKS1_NS_24const_host_device_scalarIT4_EES3_PKT0_PKT1_PKT2_S6_PT3_21rocsparse_index_base_b
    .private_segment_fixed_size: 0
    .sgpr_count:     44
    .sgpr_spill_count: 0
    .symbol:         _ZN9rocsparseL27csrmvn_symm_adaptive_kernelIliddddEEvbT_S1_PKS1_NS_24const_host_device_scalarIT4_EES3_PKT0_PKT1_PKT2_S6_PT3_21rocsparse_index_base_b.kd
    .uniform_work_group_size: 1
    .uses_dynamic_stack: false
    .vgpr_count:     22
    .vgpr_spill_count: 0
    .wavefront_size: 32
    .workgroup_processor_mode: 1
  - .args:
      - .offset:         0
        .size:           1
        .value_kind:     by_value
      - .offset:         8
        .size:           8
        .value_kind:     by_value
      - .actual_access:  read_only
        .address_space:  global
        .offset:         16
        .size:           8
        .value_kind:     global_buffer
      - .offset:         24
        .size:           8
        .value_kind:     by_value
      - .actual_access:  read_only
        .address_space:  global
        .offset:         32
        .size:           8
        .value_kind:     global_buffer
      - .actual_access:  read_only
        .address_space:  global
        .offset:         40
        .size:           8
        .value_kind:     global_buffer
      - .actual_access:  read_only
        .address_space:  global
        .offset:         48
        .size:           8
        .value_kind:     global_buffer
      - .actual_access:  read_only
        .address_space:  global
        .offset:         56
        .size:           8
        .value_kind:     global_buffer
      - .offset:         64
        .size:           8
        .value_kind:     by_value
      - .address_space:  global
        .offset:         72
        .size:           8
        .value_kind:     global_buffer
      - .offset:         80
        .size:           4
        .value_kind:     by_value
      - .offset:         84
        .size:           1
        .value_kind:     by_value
    .group_segment_fixed_size: 8192
    .kernarg_segment_align: 8
    .kernarg_segment_size: 88
    .language:       OpenCL C
    .language_version:
      - 2
      - 0
    .max_flat_workgroup_size: 256
    .name:           _ZL33csrmvn_symm_large_adaptive_kernelIliddddEvbT_PKS0_N9rocsparse24const_host_device_scalarIT4_EES2_PKT0_PKT1_PKT2_S6_PT3_21rocsparse_index_base_b
    .private_segment_fixed_size: 0
    .sgpr_count:     34
    .sgpr_spill_count: 0
    .symbol:         _ZL33csrmvn_symm_large_adaptive_kernelIliddddEvbT_PKS0_N9rocsparse24const_host_device_scalarIT4_EES2_PKT0_PKT1_PKT2_S6_PT3_21rocsparse_index_base_b.kd
    .uniform_work_group_size: 1
    .uses_dynamic_stack: false
    .vgpr_count:     18
    .vgpr_spill_count: 0
    .wavefront_size: 32
    .workgroup_processor_mode: 1
  - .args:
      - .offset:         0
        .size:           1
        .value_kind:     by_value
      - .offset:         8
        .size:           8
        .value_kind:     by_value
      - .actual_access:  read_only
        .address_space:  global
        .offset:         16
        .size:           8
        .value_kind:     global_buffer
      - .address_space:  global
        .offset:         24
        .size:           8
        .value_kind:     global_buffer
      - .actual_access:  read_only
        .address_space:  global
        .offset:         32
        .size:           8
        .value_kind:     global_buffer
      - .offset:         40
        .size:           8
        .value_kind:     by_value
      - .actual_access:  read_only
        .address_space:  global
        .offset:         48
        .size:           8
        .value_kind:     global_buffer
      - .actual_access:  read_only
        .address_space:  global
        .offset:         56
        .size:           8
        .value_kind:     global_buffer
      - .actual_access:  read_only
        .address_space:  global
        .offset:         64
        .size:           8
        .value_kind:     global_buffer
      - .actual_access:  read_only
        .address_space:  global
        .offset:         72
        .size:           8
        .value_kind:     global_buffer
      - .offset:         80
        .size:           8
        .value_kind:     by_value
      - .address_space:  global
        .offset:         88
        .size:           8
        .value_kind:     global_buffer
      - .offset:         96
        .size:           4
        .value_kind:     by_value
      - .offset:         100
        .size:           1
        .value_kind:     by_value
    .group_segment_fixed_size: 8192
    .kernarg_segment_align: 8
    .kernarg_segment_size: 104
    .language:       OpenCL C
    .language_version:
      - 2
      - 0
    .max_flat_workgroup_size: 256
    .name:           _ZN9rocsparseL22csrmvn_adaptive_kernelIllddddEEvbT_PKS1_PjPKT0_NS_24const_host_device_scalarIT4_EES3_S7_PKT1_PKT2_SA_PT3_21rocsparse_index_base_b
    .private_segment_fixed_size: 0
    .sgpr_count:     50
    .sgpr_spill_count: 0
    .symbol:         _ZN9rocsparseL22csrmvn_adaptive_kernelIllddddEEvbT_PKS1_PjPKT0_NS_24const_host_device_scalarIT4_EES3_S7_PKT1_PKT2_SA_PT3_21rocsparse_index_base_b.kd
    .uniform_work_group_size: 1
    .uses_dynamic_stack: false
    .vgpr_count:     22
    .vgpr_spill_count: 0
    .wavefront_size: 32
    .workgroup_processor_mode: 1
  - .args:
      - .offset:         0
        .size:           8
        .value_kind:     by_value
      - .offset:         8
        .size:           8
        .value_kind:     by_value
      - .offset:         16
        .size:           8
        .value_kind:     by_value
      - .offset:         24
        .size:           8
        .value_kind:     by_value
      - .address_space:  global
        .offset:         32
        .size:           8
        .value_kind:     global_buffer
      - .offset:         40
        .size:           1
        .value_kind:     by_value
    .group_segment_fixed_size: 0
    .kernarg_segment_align: 8
    .kernarg_segment_size: 44
    .language:       OpenCL C
    .language_version:
      - 2
      - 0
    .max_flat_workgroup_size: 256
    .name:           _ZN9rocsparseL22partial_scale_y_kernelIlddEEvT_S1_S1_NS_24const_host_device_scalarIT1_EEPT0_b
    .private_segment_fixed_size: 0
    .sgpr_count:     14
    .sgpr_spill_count: 0
    .symbol:         _ZN9rocsparseL22partial_scale_y_kernelIlddEEvT_S1_S1_NS_24const_host_device_scalarIT1_EEPT0_b.kd
    .uniform_work_group_size: 1
    .uses_dynamic_stack: false
    .vgpr_count:     7
    .vgpr_spill_count: 0
    .wavefront_size: 32
    .workgroup_processor_mode: 1
  - .args:
      - .offset:         0
        .size:           1
        .value_kind:     by_value
      - .offset:         8
        .size:           8
        .value_kind:     by_value
      - .offset:         16
        .size:           8
        .value_kind:     by_value
      - .actual_access:  read_only
        .address_space:  global
        .offset:         24
        .size:           8
        .value_kind:     global_buffer
      - .offset:         32
        .size:           8
        .value_kind:     by_value
      - .actual_access:  read_only
        .address_space:  global
        .offset:         40
        .size:           8
        .value_kind:     global_buffer
      - .actual_access:  read_only
        .address_space:  global
        .offset:         48
        .size:           8
        .value_kind:     global_buffer
      - .actual_access:  read_only
        .address_space:  global
        .offset:         56
        .size:           8
        .value_kind:     global_buffer
      - .actual_access:  read_only
        .address_space:  global
        .offset:         64
        .size:           8
        .value_kind:     global_buffer
      - .offset:         72
        .size:           8
        .value_kind:     by_value
      - .address_space:  global
        .offset:         80
        .size:           8
        .value_kind:     global_buffer
      - .offset:         88
        .size:           4
        .value_kind:     by_value
      - .offset:         92
        .size:           1
        .value_kind:     by_value
      - .offset:         96
        .size:           4
        .value_kind:     hidden_block_count_x
      - .offset:         100
        .size:           4
        .value_kind:     hidden_block_count_y
      - .offset:         104
        .size:           4
        .value_kind:     hidden_block_count_z
      - .offset:         108
        .size:           2
        .value_kind:     hidden_group_size_x
      - .offset:         110
        .size:           2
        .value_kind:     hidden_group_size_y
      - .offset:         112
        .size:           2
        .value_kind:     hidden_group_size_z
      - .offset:         114
        .size:           2
        .value_kind:     hidden_remainder_x
      - .offset:         116
        .size:           2
        .value_kind:     hidden_remainder_y
      - .offset:         118
        .size:           2
        .value_kind:     hidden_remainder_z
      - .offset:         136
        .size:           8
        .value_kind:     hidden_global_offset_x
      - .offset:         144
        .size:           8
        .value_kind:     hidden_global_offset_y
      - .offset:         152
        .size:           8
        .value_kind:     hidden_global_offset_z
      - .offset:         160
        .size:           2
        .value_kind:     hidden_grid_dims
      - .offset:         216
        .size:           4
        .value_kind:     hidden_dynamic_lds_size
    .group_segment_fixed_size: 8192
    .kernarg_segment_align: 8
    .kernarg_segment_size: 352
    .language:       OpenCL C
    .language_version:
      - 2
      - 0
    .max_flat_workgroup_size: 256
    .name:           _ZN9rocsparseL27csrmvn_symm_adaptive_kernelIllddddEEvbT_S1_PKS1_NS_24const_host_device_scalarIT4_EES3_PKT0_PKT1_PKT2_S6_PT3_21rocsparse_index_base_b
    .private_segment_fixed_size: 0
    .sgpr_count:     44
    .sgpr_spill_count: 0
    .symbol:         _ZN9rocsparseL27csrmvn_symm_adaptive_kernelIllddddEEvbT_S1_PKS1_NS_24const_host_device_scalarIT4_EES3_PKT0_PKT1_PKT2_S6_PT3_21rocsparse_index_base_b.kd
    .uniform_work_group_size: 1
    .uses_dynamic_stack: false
    .vgpr_count:     22
    .vgpr_spill_count: 0
    .wavefront_size: 32
    .workgroup_processor_mode: 1
  - .args:
      - .offset:         0
        .size:           1
        .value_kind:     by_value
      - .offset:         8
        .size:           8
        .value_kind:     by_value
      - .actual_access:  read_only
        .address_space:  global
        .offset:         16
        .size:           8
        .value_kind:     global_buffer
      - .offset:         24
        .size:           8
        .value_kind:     by_value
      - .actual_access:  read_only
        .address_space:  global
        .offset:         32
        .size:           8
        .value_kind:     global_buffer
      - .actual_access:  read_only
        .address_space:  global
        .offset:         40
        .size:           8
        .value_kind:     global_buffer
      - .actual_access:  read_only
        .address_space:  global
        .offset:         48
        .size:           8
        .value_kind:     global_buffer
      - .actual_access:  read_only
        .address_space:  global
        .offset:         56
        .size:           8
        .value_kind:     global_buffer
      - .offset:         64
        .size:           8
        .value_kind:     by_value
      - .address_space:  global
        .offset:         72
        .size:           8
        .value_kind:     global_buffer
      - .offset:         80
        .size:           4
        .value_kind:     by_value
      - .offset:         84
        .size:           1
        .value_kind:     by_value
    .group_segment_fixed_size: 8192
    .kernarg_segment_align: 8
    .kernarg_segment_size: 88
    .language:       OpenCL C
    .language_version:
      - 2
      - 0
    .max_flat_workgroup_size: 256
    .name:           _ZL33csrmvn_symm_large_adaptive_kernelIllddddEvbT_PKS0_N9rocsparse24const_host_device_scalarIT4_EES2_PKT0_PKT1_PKT2_S6_PT3_21rocsparse_index_base_b
    .private_segment_fixed_size: 0
    .sgpr_count:     34
    .sgpr_spill_count: 0
    .symbol:         _ZL33csrmvn_symm_large_adaptive_kernelIllddddEvbT_PKS0_N9rocsparse24const_host_device_scalarIT4_EES2_PKT0_PKT1_PKT2_S6_PT3_21rocsparse_index_base_b.kd
    .uniform_work_group_size: 1
    .uses_dynamic_stack: false
    .vgpr_count:     18
    .vgpr_spill_count: 0
    .wavefront_size: 32
    .workgroup_processor_mode: 1
  - .args:
      - .offset:         0
        .size:           1
        .value_kind:     by_value
      - .offset:         4
        .size:           4
        .value_kind:     by_value
      - .actual_access:  read_only
        .address_space:  global
        .offset:         8
        .size:           8
        .value_kind:     global_buffer
      - .address_space:  global
        .offset:         16
        .size:           8
        .value_kind:     global_buffer
      - .actual_access:  read_only
        .address_space:  global
        .offset:         24
        .size:           8
        .value_kind:     global_buffer
      - .offset:         32
        .size:           8
        .value_kind:     by_value
      - .actual_access:  read_only
        .address_space:  global
        .offset:         40
        .size:           8
        .value_kind:     global_buffer
      - .actual_access:  read_only
        .address_space:  global
        .offset:         48
        .size:           8
        .value_kind:     global_buffer
      - .actual_access:  read_only
        .address_space:  global
        .offset:         56
        .size:           8
        .value_kind:     global_buffer
      - .actual_access:  read_only
        .address_space:  global
        .offset:         64
        .size:           8
        .value_kind:     global_buffer
      - .offset:         72
        .size:           8
        .value_kind:     by_value
      - .address_space:  global
        .offset:         80
        .size:           8
        .value_kind:     global_buffer
      - .offset:         88
        .size:           4
        .value_kind:     by_value
      - .offset:         92
        .size:           1
        .value_kind:     by_value
    .group_segment_fixed_size: 8192
    .kernarg_segment_align: 8
    .kernarg_segment_size: 96
    .language:       OpenCL C
    .language_version:
      - 2
      - 0
    .max_flat_workgroup_size: 256
    .name:           _ZN9rocsparseL22csrmvn_adaptive_kernelIii21rocsparse_complex_numIfES2_S2_S2_EEvbT_PKS3_PjPKT0_NS_24const_host_device_scalarIT4_EES5_S9_PKT1_PKT2_SC_PT3_21rocsparse_index_base_b
    .private_segment_fixed_size: 0
    .sgpr_count:     46
    .sgpr_spill_count: 0
    .symbol:         _ZN9rocsparseL22csrmvn_adaptive_kernelIii21rocsparse_complex_numIfES2_S2_S2_EEvbT_PKS3_PjPKT0_NS_24const_host_device_scalarIT4_EES5_S9_PKT1_PKT2_SC_PT3_21rocsparse_index_base_b.kd
    .uniform_work_group_size: 1
    .uses_dynamic_stack: false
    .vgpr_count:     29
    .vgpr_spill_count: 0
    .wavefront_size: 32
    .workgroup_processor_mode: 1
  - .args:
      - .offset:         0
        .size:           4
        .value_kind:     by_value
      - .offset:         4
        .size:           4
        .value_kind:     by_value
      - .offset:         8
        .size:           4
        .value_kind:     by_value
      - .offset:         16
        .size:           8
        .value_kind:     by_value
      - .address_space:  global
        .offset:         24
        .size:           8
        .value_kind:     global_buffer
      - .offset:         32
        .size:           1
        .value_kind:     by_value
    .group_segment_fixed_size: 0
    .kernarg_segment_align: 8
    .kernarg_segment_size: 36
    .language:       OpenCL C
    .language_version:
      - 2
      - 0
    .max_flat_workgroup_size: 256
    .name:           _ZN9rocsparseL22partial_scale_y_kernelIi21rocsparse_complex_numIfES2_EEvT_S3_S3_NS_24const_host_device_scalarIT1_EEPT0_b
    .private_segment_fixed_size: 0
    .sgpr_count:     9
    .sgpr_spill_count: 0
    .symbol:         _ZN9rocsparseL22partial_scale_y_kernelIi21rocsparse_complex_numIfES2_EEvT_S3_S3_NS_24const_host_device_scalarIT1_EEPT0_b.kd
    .uniform_work_group_size: 1
    .uses_dynamic_stack: false
    .vgpr_count:     9
    .vgpr_spill_count: 0
    .wavefront_size: 32
    .workgroup_processor_mode: 1
  - .args:
      - .offset:         0
        .size:           1
        .value_kind:     by_value
      - .offset:         4
        .size:           4
        .value_kind:     by_value
      - .offset:         8
        .size:           4
        .value_kind:     by_value
      - .actual_access:  read_only
        .address_space:  global
        .offset:         16
        .size:           8
        .value_kind:     global_buffer
      - .offset:         24
        .size:           8
        .value_kind:     by_value
      - .actual_access:  read_only
        .address_space:  global
        .offset:         32
        .size:           8
        .value_kind:     global_buffer
      - .actual_access:  read_only
        .address_space:  global
        .offset:         40
        .size:           8
        .value_kind:     global_buffer
      - .actual_access:  read_only
        .address_space:  global
        .offset:         48
        .size:           8
        .value_kind:     global_buffer
      - .actual_access:  read_only
        .address_space:  global
        .offset:         56
        .size:           8
        .value_kind:     global_buffer
      - .offset:         64
        .size:           8
        .value_kind:     by_value
      - .address_space:  global
        .offset:         72
        .size:           8
        .value_kind:     global_buffer
      - .offset:         80
        .size:           4
        .value_kind:     by_value
      - .offset:         84
        .size:           1
        .value_kind:     by_value
      - .offset:         88
        .size:           4
        .value_kind:     hidden_block_count_x
      - .offset:         92
        .size:           4
        .value_kind:     hidden_block_count_y
      - .offset:         96
        .size:           4
        .value_kind:     hidden_block_count_z
      - .offset:         100
        .size:           2
        .value_kind:     hidden_group_size_x
      - .offset:         102
        .size:           2
        .value_kind:     hidden_group_size_y
      - .offset:         104
        .size:           2
        .value_kind:     hidden_group_size_z
      - .offset:         106
        .size:           2
        .value_kind:     hidden_remainder_x
      - .offset:         108
        .size:           2
        .value_kind:     hidden_remainder_y
      - .offset:         110
        .size:           2
        .value_kind:     hidden_remainder_z
      - .offset:         128
        .size:           8
        .value_kind:     hidden_global_offset_x
      - .offset:         136
        .size:           8
        .value_kind:     hidden_global_offset_y
      - .offset:         144
        .size:           8
        .value_kind:     hidden_global_offset_z
      - .offset:         152
        .size:           2
        .value_kind:     hidden_grid_dims
      - .offset:         208
        .size:           4
        .value_kind:     hidden_dynamic_lds_size
    .group_segment_fixed_size: 8192
    .kernarg_segment_align: 8
    .kernarg_segment_size: 344
    .language:       OpenCL C
    .language_version:
      - 2
      - 0
    .max_flat_workgroup_size: 256
    .name:           _ZN9rocsparseL27csrmvn_symm_adaptive_kernelIii21rocsparse_complex_numIfES2_S2_S2_EEvbT_S3_PKS3_NS_24const_host_device_scalarIT4_EES5_PKT0_PKT1_PKT2_S8_PT3_21rocsparse_index_base_b
    .private_segment_fixed_size: 0
    .sgpr_count:     34
    .sgpr_spill_count: 0
    .symbol:         _ZN9rocsparseL27csrmvn_symm_adaptive_kernelIii21rocsparse_complex_numIfES2_S2_S2_EEvbT_S3_PKS3_NS_24const_host_device_scalarIT4_EES5_PKT0_PKT1_PKT2_S8_PT3_21rocsparse_index_base_b.kd
    .uniform_work_group_size: 1
    .uses_dynamic_stack: false
    .vgpr_count:     21
    .vgpr_spill_count: 0
    .wavefront_size: 32
    .workgroup_processor_mode: 1
  - .args:
      - .offset:         0
        .size:           1
        .value_kind:     by_value
      - .offset:         4
        .size:           4
        .value_kind:     by_value
      - .actual_access:  read_only
        .address_space:  global
        .offset:         8
        .size:           8
        .value_kind:     global_buffer
      - .offset:         16
        .size:           8
        .value_kind:     by_value
      - .actual_access:  read_only
        .address_space:  global
        .offset:         24
        .size:           8
        .value_kind:     global_buffer
      - .actual_access:  read_only
        .address_space:  global
        .offset:         32
        .size:           8
        .value_kind:     global_buffer
      - .actual_access:  read_only
        .address_space:  global
        .offset:         40
        .size:           8
        .value_kind:     global_buffer
      - .actual_access:  read_only
        .address_space:  global
        .offset:         48
        .size:           8
        .value_kind:     global_buffer
      - .offset:         56
        .size:           8
        .value_kind:     by_value
      - .address_space:  global
        .offset:         64
        .size:           8
        .value_kind:     global_buffer
      - .offset:         72
        .size:           4
        .value_kind:     by_value
      - .offset:         76
        .size:           1
        .value_kind:     by_value
    .group_segment_fixed_size: 8192
    .kernarg_segment_align: 8
    .kernarg_segment_size: 80
    .language:       OpenCL C
    .language_version:
      - 2
      - 0
    .max_flat_workgroup_size: 256
    .name:           _ZL33csrmvn_symm_large_adaptive_kernelIii21rocsparse_complex_numIfES1_S1_S1_EvbT_PKS2_N9rocsparse24const_host_device_scalarIT4_EES4_PKT0_PKT1_PKT2_S8_PT3_21rocsparse_index_base_b
    .private_segment_fixed_size: 0
    .sgpr_count:     29
    .sgpr_spill_count: 0
    .symbol:         _ZL33csrmvn_symm_large_adaptive_kernelIii21rocsparse_complex_numIfES1_S1_S1_EvbT_PKS2_N9rocsparse24const_host_device_scalarIT4_EES4_PKT0_PKT1_PKT2_S8_PT3_21rocsparse_index_base_b.kd
    .uniform_work_group_size: 1
    .uses_dynamic_stack: false
    .vgpr_count:     16
    .vgpr_spill_count: 0
    .wavefront_size: 32
    .workgroup_processor_mode: 1
  - .args:
      - .offset:         0
        .size:           1
        .value_kind:     by_value
      - .offset:         8
        .size:           8
        .value_kind:     by_value
      - .actual_access:  read_only
        .address_space:  global
        .offset:         16
        .size:           8
        .value_kind:     global_buffer
      - .address_space:  global
        .offset:         24
        .size:           8
        .value_kind:     global_buffer
      - .actual_access:  read_only
        .address_space:  global
        .offset:         32
        .size:           8
        .value_kind:     global_buffer
      - .offset:         40
        .size:           8
        .value_kind:     by_value
      - .actual_access:  read_only
        .address_space:  global
        .offset:         48
        .size:           8
        .value_kind:     global_buffer
      - .actual_access:  read_only
        .address_space:  global
        .offset:         56
        .size:           8
        .value_kind:     global_buffer
      - .actual_access:  read_only
        .address_space:  global
        .offset:         64
        .size:           8
        .value_kind:     global_buffer
      - .actual_access:  read_only
        .address_space:  global
        .offset:         72
        .size:           8
        .value_kind:     global_buffer
      - .offset:         80
        .size:           8
        .value_kind:     by_value
      - .address_space:  global
        .offset:         88
        .size:           8
        .value_kind:     global_buffer
      - .offset:         96
        .size:           4
        .value_kind:     by_value
      - .offset:         100
        .size:           1
        .value_kind:     by_value
    .group_segment_fixed_size: 8192
    .kernarg_segment_align: 8
    .kernarg_segment_size: 104
    .language:       OpenCL C
    .language_version:
      - 2
      - 0
    .max_flat_workgroup_size: 256
    .name:           _ZN9rocsparseL22csrmvn_adaptive_kernelIli21rocsparse_complex_numIfES2_S2_S2_EEvbT_PKS3_PjPKT0_NS_24const_host_device_scalarIT4_EES5_S9_PKT1_PKT2_SC_PT3_21rocsparse_index_base_b
    .private_segment_fixed_size: 0
    .sgpr_count:     54
    .sgpr_spill_count: 0
    .symbol:         _ZN9rocsparseL22csrmvn_adaptive_kernelIli21rocsparse_complex_numIfES2_S2_S2_EEvbT_PKS3_PjPKT0_NS_24const_host_device_scalarIT4_EES5_S9_PKT1_PKT2_SC_PT3_21rocsparse_index_base_b.kd
    .uniform_work_group_size: 1
    .uses_dynamic_stack: false
    .vgpr_count:     29
    .vgpr_spill_count: 0
    .wavefront_size: 32
    .workgroup_processor_mode: 1
  - .args:
      - .offset:         0
        .size:           1
        .value_kind:     by_value
      - .offset:         8
        .size:           8
        .value_kind:     by_value
      - .offset:         16
        .size:           8
        .value_kind:     by_value
      - .actual_access:  read_only
        .address_space:  global
        .offset:         24
        .size:           8
        .value_kind:     global_buffer
      - .offset:         32
        .size:           8
        .value_kind:     by_value
      - .actual_access:  read_only
        .address_space:  global
        .offset:         40
        .size:           8
        .value_kind:     global_buffer
      - .actual_access:  read_only
        .address_space:  global
        .offset:         48
        .size:           8
        .value_kind:     global_buffer
      - .actual_access:  read_only
        .address_space:  global
        .offset:         56
        .size:           8
        .value_kind:     global_buffer
      - .actual_access:  read_only
        .address_space:  global
        .offset:         64
        .size:           8
        .value_kind:     global_buffer
      - .offset:         72
        .size:           8
        .value_kind:     by_value
      - .address_space:  global
        .offset:         80
        .size:           8
        .value_kind:     global_buffer
      - .offset:         88
        .size:           4
        .value_kind:     by_value
      - .offset:         92
        .size:           1
        .value_kind:     by_value
      - .offset:         96
        .size:           4
        .value_kind:     hidden_block_count_x
      - .offset:         100
        .size:           4
        .value_kind:     hidden_block_count_y
      - .offset:         104
        .size:           4
        .value_kind:     hidden_block_count_z
      - .offset:         108
        .size:           2
        .value_kind:     hidden_group_size_x
      - .offset:         110
        .size:           2
        .value_kind:     hidden_group_size_y
      - .offset:         112
        .size:           2
        .value_kind:     hidden_group_size_z
      - .offset:         114
        .size:           2
        .value_kind:     hidden_remainder_x
      - .offset:         116
        .size:           2
        .value_kind:     hidden_remainder_y
      - .offset:         118
        .size:           2
        .value_kind:     hidden_remainder_z
      - .offset:         136
        .size:           8
        .value_kind:     hidden_global_offset_x
      - .offset:         144
        .size:           8
        .value_kind:     hidden_global_offset_y
      - .offset:         152
        .size:           8
        .value_kind:     hidden_global_offset_z
      - .offset:         160
        .size:           2
        .value_kind:     hidden_grid_dims
      - .offset:         216
        .size:           4
        .value_kind:     hidden_dynamic_lds_size
    .group_segment_fixed_size: 8192
    .kernarg_segment_align: 8
    .kernarg_segment_size: 352
    .language:       OpenCL C
    .language_version:
      - 2
      - 0
    .max_flat_workgroup_size: 256
    .name:           _ZN9rocsparseL27csrmvn_symm_adaptive_kernelIli21rocsparse_complex_numIfES2_S2_S2_EEvbT_S3_PKS3_NS_24const_host_device_scalarIT4_EES5_PKT0_PKT1_PKT2_S8_PT3_21rocsparse_index_base_b
    .private_segment_fixed_size: 0
    .sgpr_count:     44
    .sgpr_spill_count: 0
    .symbol:         _ZN9rocsparseL27csrmvn_symm_adaptive_kernelIli21rocsparse_complex_numIfES2_S2_S2_EEvbT_S3_PKS3_NS_24const_host_device_scalarIT4_EES5_PKT0_PKT1_PKT2_S8_PT3_21rocsparse_index_base_b.kd
    .uniform_work_group_size: 1
    .uses_dynamic_stack: false
    .vgpr_count:     25
    .vgpr_spill_count: 0
    .wavefront_size: 32
    .workgroup_processor_mode: 1
  - .args:
      - .offset:         0
        .size:           1
        .value_kind:     by_value
      - .offset:         8
        .size:           8
        .value_kind:     by_value
      - .actual_access:  read_only
        .address_space:  global
        .offset:         16
        .size:           8
        .value_kind:     global_buffer
      - .offset:         24
        .size:           8
        .value_kind:     by_value
      - .actual_access:  read_only
        .address_space:  global
        .offset:         32
        .size:           8
        .value_kind:     global_buffer
      - .actual_access:  read_only
        .address_space:  global
        .offset:         40
        .size:           8
        .value_kind:     global_buffer
      - .actual_access:  read_only
        .address_space:  global
        .offset:         48
        .size:           8
        .value_kind:     global_buffer
      - .actual_access:  read_only
        .address_space:  global
        .offset:         56
        .size:           8
        .value_kind:     global_buffer
      - .offset:         64
        .size:           8
        .value_kind:     by_value
      - .address_space:  global
        .offset:         72
        .size:           8
        .value_kind:     global_buffer
      - .offset:         80
        .size:           4
        .value_kind:     by_value
      - .offset:         84
        .size:           1
        .value_kind:     by_value
    .group_segment_fixed_size: 8192
    .kernarg_segment_align: 8
    .kernarg_segment_size: 88
    .language:       OpenCL C
    .language_version:
      - 2
      - 0
    .max_flat_workgroup_size: 256
    .name:           _ZL33csrmvn_symm_large_adaptive_kernelIli21rocsparse_complex_numIfES1_S1_S1_EvbT_PKS2_N9rocsparse24const_host_device_scalarIT4_EES4_PKT0_PKT1_PKT2_S8_PT3_21rocsparse_index_base_b
    .private_segment_fixed_size: 0
    .sgpr_count:     42
    .sgpr_spill_count: 0
    .symbol:         _ZL33csrmvn_symm_large_adaptive_kernelIli21rocsparse_complex_numIfES1_S1_S1_EvbT_PKS2_N9rocsparse24const_host_device_scalarIT4_EES4_PKT0_PKT1_PKT2_S8_PT3_21rocsparse_index_base_b.kd
    .uniform_work_group_size: 1
    .uses_dynamic_stack: false
    .vgpr_count:     19
    .vgpr_spill_count: 0
    .wavefront_size: 32
    .workgroup_processor_mode: 1
  - .args:
      - .offset:         0
        .size:           1
        .value_kind:     by_value
      - .offset:         8
        .size:           8
        .value_kind:     by_value
      - .actual_access:  read_only
        .address_space:  global
        .offset:         16
        .size:           8
        .value_kind:     global_buffer
      - .address_space:  global
        .offset:         24
        .size:           8
        .value_kind:     global_buffer
      - .actual_access:  read_only
        .address_space:  global
        .offset:         32
        .size:           8
        .value_kind:     global_buffer
      - .offset:         40
        .size:           8
        .value_kind:     by_value
      - .actual_access:  read_only
        .address_space:  global
        .offset:         48
        .size:           8
        .value_kind:     global_buffer
      - .actual_access:  read_only
        .address_space:  global
        .offset:         56
        .size:           8
        .value_kind:     global_buffer
      - .actual_access:  read_only
        .address_space:  global
        .offset:         64
        .size:           8
        .value_kind:     global_buffer
      - .actual_access:  read_only
        .address_space:  global
        .offset:         72
        .size:           8
        .value_kind:     global_buffer
      - .offset:         80
        .size:           8
        .value_kind:     by_value
      - .address_space:  global
        .offset:         88
        .size:           8
        .value_kind:     global_buffer
      - .offset:         96
        .size:           4
        .value_kind:     by_value
      - .offset:         100
        .size:           1
        .value_kind:     by_value
    .group_segment_fixed_size: 8192
    .kernarg_segment_align: 8
    .kernarg_segment_size: 104
    .language:       OpenCL C
    .language_version:
      - 2
      - 0
    .max_flat_workgroup_size: 256
    .name:           _ZN9rocsparseL22csrmvn_adaptive_kernelIll21rocsparse_complex_numIfES2_S2_S2_EEvbT_PKS3_PjPKT0_NS_24const_host_device_scalarIT4_EES5_S9_PKT1_PKT2_SC_PT3_21rocsparse_index_base_b
    .private_segment_fixed_size: 0
    .sgpr_count:     58
    .sgpr_spill_count: 0
    .symbol:         _ZN9rocsparseL22csrmvn_adaptive_kernelIll21rocsparse_complex_numIfES2_S2_S2_EEvbT_PKS3_PjPKT0_NS_24const_host_device_scalarIT4_EES5_S9_PKT1_PKT2_SC_PT3_21rocsparse_index_base_b.kd
    .uniform_work_group_size: 1
    .uses_dynamic_stack: false
    .vgpr_count:     29
    .vgpr_spill_count: 0
    .wavefront_size: 32
    .workgroup_processor_mode: 1
  - .args:
      - .offset:         0
        .size:           8
        .value_kind:     by_value
      - .offset:         8
        .size:           8
        .value_kind:     by_value
      - .offset:         16
        .size:           8
        .value_kind:     by_value
      - .offset:         24
        .size:           8
        .value_kind:     by_value
      - .address_space:  global
        .offset:         32
        .size:           8
        .value_kind:     global_buffer
      - .offset:         40
        .size:           1
        .value_kind:     by_value
    .group_segment_fixed_size: 0
    .kernarg_segment_align: 8
    .kernarg_segment_size: 44
    .language:       OpenCL C
    .language_version:
      - 2
      - 0
    .max_flat_workgroup_size: 256
    .name:           _ZN9rocsparseL22partial_scale_y_kernelIl21rocsparse_complex_numIfES2_EEvT_S3_S3_NS_24const_host_device_scalarIT1_EEPT0_b
    .private_segment_fixed_size: 0
    .sgpr_count:     15
    .sgpr_spill_count: 0
    .symbol:         _ZN9rocsparseL22partial_scale_y_kernelIl21rocsparse_complex_numIfES2_EEvT_S3_S3_NS_24const_host_device_scalarIT1_EEPT0_b.kd
    .uniform_work_group_size: 1
    .uses_dynamic_stack: false
    .vgpr_count:     9
    .vgpr_spill_count: 0
    .wavefront_size: 32
    .workgroup_processor_mode: 1
  - .args:
      - .offset:         0
        .size:           1
        .value_kind:     by_value
      - .offset:         8
        .size:           8
        .value_kind:     by_value
      - .offset:         16
        .size:           8
        .value_kind:     by_value
      - .actual_access:  read_only
        .address_space:  global
        .offset:         24
        .size:           8
        .value_kind:     global_buffer
      - .offset:         32
        .size:           8
        .value_kind:     by_value
      - .actual_access:  read_only
        .address_space:  global
        .offset:         40
        .size:           8
        .value_kind:     global_buffer
      - .actual_access:  read_only
        .address_space:  global
        .offset:         48
        .size:           8
        .value_kind:     global_buffer
      - .actual_access:  read_only
        .address_space:  global
        .offset:         56
        .size:           8
        .value_kind:     global_buffer
      - .actual_access:  read_only
        .address_space:  global
        .offset:         64
        .size:           8
        .value_kind:     global_buffer
      - .offset:         72
        .size:           8
        .value_kind:     by_value
      - .address_space:  global
        .offset:         80
        .size:           8
        .value_kind:     global_buffer
      - .offset:         88
        .size:           4
        .value_kind:     by_value
      - .offset:         92
        .size:           1
        .value_kind:     by_value
      - .offset:         96
        .size:           4
        .value_kind:     hidden_block_count_x
      - .offset:         100
        .size:           4
        .value_kind:     hidden_block_count_y
      - .offset:         104
        .size:           4
        .value_kind:     hidden_block_count_z
      - .offset:         108
        .size:           2
        .value_kind:     hidden_group_size_x
      - .offset:         110
        .size:           2
        .value_kind:     hidden_group_size_y
      - .offset:         112
        .size:           2
        .value_kind:     hidden_group_size_z
      - .offset:         114
        .size:           2
        .value_kind:     hidden_remainder_x
      - .offset:         116
        .size:           2
        .value_kind:     hidden_remainder_y
      - .offset:         118
        .size:           2
        .value_kind:     hidden_remainder_z
      - .offset:         136
        .size:           8
        .value_kind:     hidden_global_offset_x
      - .offset:         144
        .size:           8
        .value_kind:     hidden_global_offset_y
      - .offset:         152
        .size:           8
        .value_kind:     hidden_global_offset_z
      - .offset:         160
        .size:           2
        .value_kind:     hidden_grid_dims
      - .offset:         216
        .size:           4
        .value_kind:     hidden_dynamic_lds_size
    .group_segment_fixed_size: 8192
    .kernarg_segment_align: 8
    .kernarg_segment_size: 352
    .language:       OpenCL C
    .language_version:
      - 2
      - 0
    .max_flat_workgroup_size: 256
    .name:           _ZN9rocsparseL27csrmvn_symm_adaptive_kernelIll21rocsparse_complex_numIfES2_S2_S2_EEvbT_S3_PKS3_NS_24const_host_device_scalarIT4_EES5_PKT0_PKT1_PKT2_S8_PT3_21rocsparse_index_base_b
    .private_segment_fixed_size: 0
    .sgpr_count:     44
    .sgpr_spill_count: 0
    .symbol:         _ZN9rocsparseL27csrmvn_symm_adaptive_kernelIll21rocsparse_complex_numIfES2_S2_S2_EEvbT_S3_PKS3_NS_24const_host_device_scalarIT4_EES5_PKT0_PKT1_PKT2_S8_PT3_21rocsparse_index_base_b.kd
    .uniform_work_group_size: 1
    .uses_dynamic_stack: false
    .vgpr_count:     26
    .vgpr_spill_count: 0
    .wavefront_size: 32
    .workgroup_processor_mode: 1
  - .args:
      - .offset:         0
        .size:           1
        .value_kind:     by_value
      - .offset:         8
        .size:           8
        .value_kind:     by_value
      - .actual_access:  read_only
        .address_space:  global
        .offset:         16
        .size:           8
        .value_kind:     global_buffer
      - .offset:         24
        .size:           8
        .value_kind:     by_value
      - .actual_access:  read_only
        .address_space:  global
        .offset:         32
        .size:           8
        .value_kind:     global_buffer
      - .actual_access:  read_only
        .address_space:  global
        .offset:         40
        .size:           8
        .value_kind:     global_buffer
      - .actual_access:  read_only
        .address_space:  global
        .offset:         48
        .size:           8
        .value_kind:     global_buffer
      - .actual_access:  read_only
        .address_space:  global
        .offset:         56
        .size:           8
        .value_kind:     global_buffer
      - .offset:         64
        .size:           8
        .value_kind:     by_value
      - .address_space:  global
        .offset:         72
        .size:           8
        .value_kind:     global_buffer
      - .offset:         80
        .size:           4
        .value_kind:     by_value
      - .offset:         84
        .size:           1
        .value_kind:     by_value
    .group_segment_fixed_size: 8192
    .kernarg_segment_align: 8
    .kernarg_segment_size: 88
    .language:       OpenCL C
    .language_version:
      - 2
      - 0
    .max_flat_workgroup_size: 256
    .name:           _ZL33csrmvn_symm_large_adaptive_kernelIll21rocsparse_complex_numIfES1_S1_S1_EvbT_PKS2_N9rocsparse24const_host_device_scalarIT4_EES4_PKT0_PKT1_PKT2_S8_PT3_21rocsparse_index_base_b
    .private_segment_fixed_size: 0
    .sgpr_count:     42
    .sgpr_spill_count: 0
    .symbol:         _ZL33csrmvn_symm_large_adaptive_kernelIll21rocsparse_complex_numIfES1_S1_S1_EvbT_PKS2_N9rocsparse24const_host_device_scalarIT4_EES4_PKT0_PKT1_PKT2_S8_PT3_21rocsparse_index_base_b.kd
    .uniform_work_group_size: 1
    .uses_dynamic_stack: false
    .vgpr_count:     19
    .vgpr_spill_count: 0
    .wavefront_size: 32
    .workgroup_processor_mode: 1
  - .args:
      - .offset:         0
        .size:           1
        .value_kind:     by_value
      - .offset:         4
        .size:           4
        .value_kind:     by_value
      - .actual_access:  read_only
        .address_space:  global
        .offset:         8
        .size:           8
        .value_kind:     global_buffer
      - .address_space:  global
        .offset:         16
        .size:           8
        .value_kind:     global_buffer
      - .actual_access:  read_only
        .address_space:  global
        .offset:         24
        .size:           8
        .value_kind:     global_buffer
      - .offset:         32
        .size:           16
        .value_kind:     by_value
      - .actual_access:  read_only
        .address_space:  global
        .offset:         48
        .size:           8
        .value_kind:     global_buffer
      - .actual_access:  read_only
        .address_space:  global
        .offset:         56
        .size:           8
        .value_kind:     global_buffer
      - .actual_access:  read_only
        .address_space:  global
        .offset:         64
        .size:           8
        .value_kind:     global_buffer
      - .actual_access:  read_only
        .address_space:  global
        .offset:         72
        .size:           8
        .value_kind:     global_buffer
      - .offset:         80
        .size:           16
        .value_kind:     by_value
      - .address_space:  global
        .offset:         96
        .size:           8
        .value_kind:     global_buffer
      - .offset:         104
        .size:           4
        .value_kind:     by_value
      - .offset:         108
        .size:           1
        .value_kind:     by_value
    .group_segment_fixed_size: 16384
    .kernarg_segment_align: 8
    .kernarg_segment_size: 112
    .language:       OpenCL C
    .language_version:
      - 2
      - 0
    .max_flat_workgroup_size: 256
    .name:           _ZN9rocsparseL22csrmvn_adaptive_kernelIii21rocsparse_complex_numIdES2_S2_S2_EEvbT_PKS3_PjPKT0_NS_24const_host_device_scalarIT4_EES5_S9_PKT1_PKT2_SC_PT3_21rocsparse_index_base_b
    .private_segment_fixed_size: 0
    .sgpr_count:     46
    .sgpr_spill_count: 0
    .symbol:         _ZN9rocsparseL22csrmvn_adaptive_kernelIii21rocsparse_complex_numIdES2_S2_S2_EEvbT_PKS3_PjPKT0_NS_24const_host_device_scalarIT4_EES5_S9_PKT1_PKT2_SC_PT3_21rocsparse_index_base_b.kd
    .uniform_work_group_size: 1
    .uses_dynamic_stack: false
    .vgpr_count:     50
    .vgpr_spill_count: 0
    .wavefront_size: 32
    .workgroup_processor_mode: 1
  - .args:
      - .offset:         0
        .size:           4
        .value_kind:     by_value
      - .offset:         4
        .size:           4
        .value_kind:     by_value
      - .offset:         8
        .size:           4
        .value_kind:     by_value
      - .offset:         16
        .size:           16
        .value_kind:     by_value
      - .address_space:  global
        .offset:         32
        .size:           8
        .value_kind:     global_buffer
      - .offset:         40
        .size:           1
        .value_kind:     by_value
    .group_segment_fixed_size: 0
    .kernarg_segment_align: 8
    .kernarg_segment_size: 44
    .language:       OpenCL C
    .language_version:
      - 2
      - 0
    .max_flat_workgroup_size: 256
    .name:           _ZN9rocsparseL22partial_scale_y_kernelIi21rocsparse_complex_numIdES2_EEvT_S3_S3_NS_24const_host_device_scalarIT1_EEPT0_b
    .private_segment_fixed_size: 0
    .sgpr_count:     12
    .sgpr_spill_count: 0
    .symbol:         _ZN9rocsparseL22partial_scale_y_kernelIi21rocsparse_complex_numIdES2_EEvT_S3_S3_NS_24const_host_device_scalarIT1_EEPT0_b.kd
    .uniform_work_group_size: 1
    .uses_dynamic_stack: false
    .vgpr_count:     13
    .vgpr_spill_count: 0
    .wavefront_size: 32
    .workgroup_processor_mode: 1
  - .args:
      - .offset:         0
        .size:           1
        .value_kind:     by_value
      - .offset:         4
        .size:           4
        .value_kind:     by_value
      - .offset:         8
        .size:           4
        .value_kind:     by_value
      - .actual_access:  read_only
        .address_space:  global
        .offset:         16
        .size:           8
        .value_kind:     global_buffer
      - .offset:         24
        .size:           16
        .value_kind:     by_value
      - .actual_access:  read_only
        .address_space:  global
        .offset:         40
        .size:           8
        .value_kind:     global_buffer
      - .actual_access:  read_only
        .address_space:  global
        .offset:         48
        .size:           8
        .value_kind:     global_buffer
      - .actual_access:  read_only
        .address_space:  global
        .offset:         56
        .size:           8
        .value_kind:     global_buffer
      - .actual_access:  read_only
        .address_space:  global
        .offset:         64
        .size:           8
        .value_kind:     global_buffer
      - .offset:         72
        .size:           16
        .value_kind:     by_value
      - .address_space:  global
        .offset:         88
        .size:           8
        .value_kind:     global_buffer
      - .offset:         96
        .size:           4
        .value_kind:     by_value
      - .offset:         100
        .size:           1
        .value_kind:     by_value
      - .offset:         104
        .size:           4
        .value_kind:     hidden_block_count_x
      - .offset:         108
        .size:           4
        .value_kind:     hidden_block_count_y
      - .offset:         112
        .size:           4
        .value_kind:     hidden_block_count_z
      - .offset:         116
        .size:           2
        .value_kind:     hidden_group_size_x
      - .offset:         118
        .size:           2
        .value_kind:     hidden_group_size_y
      - .offset:         120
        .size:           2
        .value_kind:     hidden_group_size_z
      - .offset:         122
        .size:           2
        .value_kind:     hidden_remainder_x
      - .offset:         124
        .size:           2
        .value_kind:     hidden_remainder_y
      - .offset:         126
        .size:           2
        .value_kind:     hidden_remainder_z
      - .offset:         144
        .size:           8
        .value_kind:     hidden_global_offset_x
      - .offset:         152
        .size:           8
        .value_kind:     hidden_global_offset_y
      - .offset:         160
        .size:           8
        .value_kind:     hidden_global_offset_z
      - .offset:         168
        .size:           2
        .value_kind:     hidden_grid_dims
      - .offset:         224
        .size:           4
        .value_kind:     hidden_dynamic_lds_size
    .group_segment_fixed_size: 16384
    .kernarg_segment_align: 8
    .kernarg_segment_size: 360
    .language:       OpenCL C
    .language_version:
      - 2
      - 0
    .max_flat_workgroup_size: 256
    .name:           _ZN9rocsparseL27csrmvn_symm_adaptive_kernelIii21rocsparse_complex_numIdES2_S2_S2_EEvbT_S3_PKS3_NS_24const_host_device_scalarIT4_EES5_PKT0_PKT1_PKT2_S8_PT3_21rocsparse_index_base_b
    .private_segment_fixed_size: 0
    .sgpr_count:     38
    .sgpr_spill_count: 0
    .symbol:         _ZN9rocsparseL27csrmvn_symm_adaptive_kernelIii21rocsparse_complex_numIdES2_S2_S2_EEvbT_S3_PKS3_NS_24const_host_device_scalarIT4_EES5_PKT0_PKT1_PKT2_S8_PT3_21rocsparse_index_base_b.kd
    .uniform_work_group_size: 1
    .uses_dynamic_stack: false
    .vgpr_count:     37
    .vgpr_spill_count: 0
    .wavefront_size: 32
    .workgroup_processor_mode: 1
  - .args:
      - .offset:         0
        .size:           1
        .value_kind:     by_value
      - .offset:         4
        .size:           4
        .value_kind:     by_value
      - .actual_access:  read_only
        .address_space:  global
        .offset:         8
        .size:           8
        .value_kind:     global_buffer
      - .offset:         16
        .size:           16
        .value_kind:     by_value
      - .actual_access:  read_only
        .address_space:  global
        .offset:         32
        .size:           8
        .value_kind:     global_buffer
      - .actual_access:  read_only
        .address_space:  global
        .offset:         40
        .size:           8
        .value_kind:     global_buffer
      - .actual_access:  read_only
        .address_space:  global
        .offset:         48
        .size:           8
        .value_kind:     global_buffer
      - .actual_access:  read_only
        .address_space:  global
        .offset:         56
        .size:           8
        .value_kind:     global_buffer
      - .offset:         64
        .size:           16
        .value_kind:     by_value
      - .address_space:  global
        .offset:         80
        .size:           8
        .value_kind:     global_buffer
      - .offset:         88
        .size:           4
        .value_kind:     by_value
      - .offset:         92
        .size:           1
        .value_kind:     by_value
    .group_segment_fixed_size: 16384
    .kernarg_segment_align: 8
    .kernarg_segment_size: 96
    .language:       OpenCL C
    .language_version:
      - 2
      - 0
    .max_flat_workgroup_size: 256
    .name:           _ZL33csrmvn_symm_large_adaptive_kernelIii21rocsparse_complex_numIdES1_S1_S1_EvbT_PKS2_N9rocsparse24const_host_device_scalarIT4_EES4_PKT0_PKT1_PKT2_S8_PT3_21rocsparse_index_base_b
    .private_segment_fixed_size: 0
    .sgpr_count:     30
    .sgpr_spill_count: 0
    .symbol:         _ZL33csrmvn_symm_large_adaptive_kernelIii21rocsparse_complex_numIdES1_S1_S1_EvbT_PKS2_N9rocsparse24const_host_device_scalarIT4_EES4_PKT0_PKT1_PKT2_S8_PT3_21rocsparse_index_base_b.kd
    .uniform_work_group_size: 1
    .uses_dynamic_stack: false
    .vgpr_count:     25
    .vgpr_spill_count: 0
    .wavefront_size: 32
    .workgroup_processor_mode: 1
  - .args:
      - .offset:         0
        .size:           1
        .value_kind:     by_value
      - .offset:         8
        .size:           8
        .value_kind:     by_value
      - .actual_access:  read_only
        .address_space:  global
        .offset:         16
        .size:           8
        .value_kind:     global_buffer
      - .address_space:  global
        .offset:         24
        .size:           8
        .value_kind:     global_buffer
      - .actual_access:  read_only
        .address_space:  global
        .offset:         32
        .size:           8
        .value_kind:     global_buffer
      - .offset:         40
        .size:           16
        .value_kind:     by_value
      - .actual_access:  read_only
        .address_space:  global
        .offset:         56
        .size:           8
        .value_kind:     global_buffer
      - .actual_access:  read_only
        .address_space:  global
        .offset:         64
        .size:           8
        .value_kind:     global_buffer
      - .actual_access:  read_only
        .address_space:  global
        .offset:         72
        .size:           8
        .value_kind:     global_buffer
      - .actual_access:  read_only
        .address_space:  global
        .offset:         80
        .size:           8
        .value_kind:     global_buffer
      - .offset:         88
        .size:           16
        .value_kind:     by_value
      - .address_space:  global
        .offset:         104
        .size:           8
        .value_kind:     global_buffer
      - .offset:         112
        .size:           4
        .value_kind:     by_value
      - .offset:         116
        .size:           1
        .value_kind:     by_value
    .group_segment_fixed_size: 16384
    .kernarg_segment_align: 8
    .kernarg_segment_size: 120
    .language:       OpenCL C
    .language_version:
      - 2
      - 0
    .max_flat_workgroup_size: 256
    .name:           _ZN9rocsparseL22csrmvn_adaptive_kernelIli21rocsparse_complex_numIdES2_S2_S2_EEvbT_PKS3_PjPKT0_NS_24const_host_device_scalarIT4_EES5_S9_PKT1_PKT2_SC_PT3_21rocsparse_index_base_b
    .private_segment_fixed_size: 0
    .sgpr_count:     50
    .sgpr_spill_count: 0
    .symbol:         _ZN9rocsparseL22csrmvn_adaptive_kernelIli21rocsparse_complex_numIdES2_S2_S2_EEvbT_PKS3_PjPKT0_NS_24const_host_device_scalarIT4_EES5_S9_PKT1_PKT2_SC_PT3_21rocsparse_index_base_b.kd
    .uniform_work_group_size: 1
    .uses_dynamic_stack: false
    .vgpr_count:     50
    .vgpr_spill_count: 0
    .wavefront_size: 32
    .workgroup_processor_mode: 1
  - .args:
      - .offset:         0
        .size:           1
        .value_kind:     by_value
      - .offset:         8
        .size:           8
        .value_kind:     by_value
      - .offset:         16
        .size:           8
        .value_kind:     by_value
      - .actual_access:  read_only
        .address_space:  global
        .offset:         24
        .size:           8
        .value_kind:     global_buffer
      - .offset:         32
        .size:           16
        .value_kind:     by_value
      - .actual_access:  read_only
        .address_space:  global
        .offset:         48
        .size:           8
        .value_kind:     global_buffer
      - .actual_access:  read_only
        .address_space:  global
        .offset:         56
        .size:           8
        .value_kind:     global_buffer
      - .actual_access:  read_only
        .address_space:  global
        .offset:         64
        .size:           8
        .value_kind:     global_buffer
      - .actual_access:  read_only
        .address_space:  global
        .offset:         72
        .size:           8
        .value_kind:     global_buffer
      - .offset:         80
        .size:           16
        .value_kind:     by_value
      - .address_space:  global
        .offset:         96
        .size:           8
        .value_kind:     global_buffer
      - .offset:         104
        .size:           4
        .value_kind:     by_value
      - .offset:         108
        .size:           1
        .value_kind:     by_value
      - .offset:         112
        .size:           4
        .value_kind:     hidden_block_count_x
      - .offset:         116
        .size:           4
        .value_kind:     hidden_block_count_y
      - .offset:         120
        .size:           4
        .value_kind:     hidden_block_count_z
      - .offset:         124
        .size:           2
        .value_kind:     hidden_group_size_x
      - .offset:         126
        .size:           2
        .value_kind:     hidden_group_size_y
      - .offset:         128
        .size:           2
        .value_kind:     hidden_group_size_z
      - .offset:         130
        .size:           2
        .value_kind:     hidden_remainder_x
      - .offset:         132
        .size:           2
        .value_kind:     hidden_remainder_y
      - .offset:         134
        .size:           2
        .value_kind:     hidden_remainder_z
      - .offset:         152
        .size:           8
        .value_kind:     hidden_global_offset_x
      - .offset:         160
        .size:           8
        .value_kind:     hidden_global_offset_y
      - .offset:         168
        .size:           8
        .value_kind:     hidden_global_offset_z
      - .offset:         176
        .size:           2
        .value_kind:     hidden_grid_dims
      - .offset:         232
        .size:           4
        .value_kind:     hidden_dynamic_lds_size
    .group_segment_fixed_size: 16384
    .kernarg_segment_align: 8
    .kernarg_segment_size: 368
    .language:       OpenCL C
    .language_version:
      - 2
      - 0
    .max_flat_workgroup_size: 256
    .name:           _ZN9rocsparseL27csrmvn_symm_adaptive_kernelIli21rocsparse_complex_numIdES2_S2_S2_EEvbT_S3_PKS3_NS_24const_host_device_scalarIT4_EES5_PKT0_PKT1_PKT2_S8_PT3_21rocsparse_index_base_b
    .private_segment_fixed_size: 0
    .sgpr_count:     44
    .sgpr_spill_count: 0
    .symbol:         _ZN9rocsparseL27csrmvn_symm_adaptive_kernelIli21rocsparse_complex_numIdES2_S2_S2_EEvbT_S3_PKS3_NS_24const_host_device_scalarIT4_EES5_PKT0_PKT1_PKT2_S8_PT3_21rocsparse_index_base_b.kd
    .uniform_work_group_size: 1
    .uses_dynamic_stack: false
    .vgpr_count:     37
    .vgpr_spill_count: 0
    .wavefront_size: 32
    .workgroup_processor_mode: 1
  - .args:
      - .offset:         0
        .size:           1
        .value_kind:     by_value
      - .offset:         8
        .size:           8
        .value_kind:     by_value
      - .actual_access:  read_only
        .address_space:  global
        .offset:         16
        .size:           8
        .value_kind:     global_buffer
      - .offset:         24
        .size:           16
        .value_kind:     by_value
      - .actual_access:  read_only
        .address_space:  global
        .offset:         40
        .size:           8
        .value_kind:     global_buffer
      - .actual_access:  read_only
        .address_space:  global
        .offset:         48
        .size:           8
        .value_kind:     global_buffer
      - .actual_access:  read_only
        .address_space:  global
        .offset:         56
        .size:           8
        .value_kind:     global_buffer
      - .actual_access:  read_only
        .address_space:  global
        .offset:         64
        .size:           8
        .value_kind:     global_buffer
      - .offset:         72
        .size:           16
        .value_kind:     by_value
      - .address_space:  global
        .offset:         88
        .size:           8
        .value_kind:     global_buffer
      - .offset:         96
        .size:           4
        .value_kind:     by_value
      - .offset:         100
        .size:           1
        .value_kind:     by_value
    .group_segment_fixed_size: 16384
    .kernarg_segment_align: 8
    .kernarg_segment_size: 104
    .language:       OpenCL C
    .language_version:
      - 2
      - 0
    .max_flat_workgroup_size: 256
    .name:           _ZL33csrmvn_symm_large_adaptive_kernelIli21rocsparse_complex_numIdES1_S1_S1_EvbT_PKS2_N9rocsparse24const_host_device_scalarIT4_EES4_PKT0_PKT1_PKT2_S8_PT3_21rocsparse_index_base_b
    .private_segment_fixed_size: 0
    .sgpr_count:     34
    .sgpr_spill_count: 0
    .symbol:         _ZL33csrmvn_symm_large_adaptive_kernelIli21rocsparse_complex_numIdES1_S1_S1_EvbT_PKS2_N9rocsparse24const_host_device_scalarIT4_EES4_PKT0_PKT1_PKT2_S8_PT3_21rocsparse_index_base_b.kd
    .uniform_work_group_size: 1
    .uses_dynamic_stack: false
    .vgpr_count:     27
    .vgpr_spill_count: 0
    .wavefront_size: 32
    .workgroup_processor_mode: 1
  - .args:
      - .offset:         0
        .size:           1
        .value_kind:     by_value
      - .offset:         8
        .size:           8
        .value_kind:     by_value
      - .actual_access:  read_only
        .address_space:  global
        .offset:         16
        .size:           8
        .value_kind:     global_buffer
      - .address_space:  global
        .offset:         24
        .size:           8
        .value_kind:     global_buffer
      - .actual_access:  read_only
        .address_space:  global
        .offset:         32
        .size:           8
        .value_kind:     global_buffer
      - .offset:         40
        .size:           16
        .value_kind:     by_value
      - .actual_access:  read_only
        .address_space:  global
        .offset:         56
        .size:           8
        .value_kind:     global_buffer
      - .actual_access:  read_only
        .address_space:  global
        .offset:         64
        .size:           8
        .value_kind:     global_buffer
      - .actual_access:  read_only
        .address_space:  global
        .offset:         72
        .size:           8
        .value_kind:     global_buffer
      - .actual_access:  read_only
        .address_space:  global
        .offset:         80
        .size:           8
        .value_kind:     global_buffer
      - .offset:         88
        .size:           16
        .value_kind:     by_value
      - .address_space:  global
        .offset:         104
        .size:           8
        .value_kind:     global_buffer
      - .offset:         112
        .size:           4
        .value_kind:     by_value
      - .offset:         116
        .size:           1
        .value_kind:     by_value
    .group_segment_fixed_size: 16384
    .kernarg_segment_align: 8
    .kernarg_segment_size: 120
    .language:       OpenCL C
    .language_version:
      - 2
      - 0
    .max_flat_workgroup_size: 256
    .name:           _ZN9rocsparseL22csrmvn_adaptive_kernelIll21rocsparse_complex_numIdES2_S2_S2_EEvbT_PKS3_PjPKT0_NS_24const_host_device_scalarIT4_EES5_S9_PKT1_PKT2_SC_PT3_21rocsparse_index_base_b
    .private_segment_fixed_size: 0
    .sgpr_count:     50
    .sgpr_spill_count: 0
    .symbol:         _ZN9rocsparseL22csrmvn_adaptive_kernelIll21rocsparse_complex_numIdES2_S2_S2_EEvbT_PKS3_PjPKT0_NS_24const_host_device_scalarIT4_EES5_S9_PKT1_PKT2_SC_PT3_21rocsparse_index_base_b.kd
    .uniform_work_group_size: 1
    .uses_dynamic_stack: false
    .vgpr_count:     50
    .vgpr_spill_count: 0
    .wavefront_size: 32
    .workgroup_processor_mode: 1
  - .args:
      - .offset:         0
        .size:           8
        .value_kind:     by_value
      - .offset:         8
        .size:           8
        .value_kind:     by_value
      - .offset:         16
        .size:           8
        .value_kind:     by_value
      - .offset:         24
        .size:           16
        .value_kind:     by_value
      - .address_space:  global
        .offset:         40
        .size:           8
        .value_kind:     global_buffer
      - .offset:         48
        .size:           1
        .value_kind:     by_value
    .group_segment_fixed_size: 0
    .kernarg_segment_align: 8
    .kernarg_segment_size: 52
    .language:       OpenCL C
    .language_version:
      - 2
      - 0
    .max_flat_workgroup_size: 256
    .name:           _ZN9rocsparseL22partial_scale_y_kernelIl21rocsparse_complex_numIdES2_EEvT_S3_S3_NS_24const_host_device_scalarIT1_EEPT0_b
    .private_segment_fixed_size: 0
    .sgpr_count:     15
    .sgpr_spill_count: 0
    .symbol:         _ZN9rocsparseL22partial_scale_y_kernelIl21rocsparse_complex_numIdES2_EEvT_S3_S3_NS_24const_host_device_scalarIT1_EEPT0_b.kd
    .uniform_work_group_size: 1
    .uses_dynamic_stack: false
    .vgpr_count:     13
    .vgpr_spill_count: 0
    .wavefront_size: 32
    .workgroup_processor_mode: 1
  - .args:
      - .offset:         0
        .size:           1
        .value_kind:     by_value
      - .offset:         8
        .size:           8
        .value_kind:     by_value
      - .offset:         16
        .size:           8
        .value_kind:     by_value
      - .actual_access:  read_only
        .address_space:  global
        .offset:         24
        .size:           8
        .value_kind:     global_buffer
      - .offset:         32
        .size:           16
        .value_kind:     by_value
      - .actual_access:  read_only
        .address_space:  global
        .offset:         48
        .size:           8
        .value_kind:     global_buffer
      - .actual_access:  read_only
        .address_space:  global
        .offset:         56
        .size:           8
        .value_kind:     global_buffer
      - .actual_access:  read_only
        .address_space:  global
        .offset:         64
        .size:           8
        .value_kind:     global_buffer
      - .actual_access:  read_only
        .address_space:  global
        .offset:         72
        .size:           8
        .value_kind:     global_buffer
      - .offset:         80
        .size:           16
        .value_kind:     by_value
      - .address_space:  global
        .offset:         96
        .size:           8
        .value_kind:     global_buffer
      - .offset:         104
        .size:           4
        .value_kind:     by_value
      - .offset:         108
        .size:           1
        .value_kind:     by_value
      - .offset:         112
        .size:           4
        .value_kind:     hidden_block_count_x
      - .offset:         116
        .size:           4
        .value_kind:     hidden_block_count_y
      - .offset:         120
        .size:           4
        .value_kind:     hidden_block_count_z
      - .offset:         124
        .size:           2
        .value_kind:     hidden_group_size_x
      - .offset:         126
        .size:           2
        .value_kind:     hidden_group_size_y
      - .offset:         128
        .size:           2
        .value_kind:     hidden_group_size_z
      - .offset:         130
        .size:           2
        .value_kind:     hidden_remainder_x
      - .offset:         132
        .size:           2
        .value_kind:     hidden_remainder_y
      - .offset:         134
        .size:           2
        .value_kind:     hidden_remainder_z
      - .offset:         152
        .size:           8
        .value_kind:     hidden_global_offset_x
      - .offset:         160
        .size:           8
        .value_kind:     hidden_global_offset_y
      - .offset:         168
        .size:           8
        .value_kind:     hidden_global_offset_z
      - .offset:         176
        .size:           2
        .value_kind:     hidden_grid_dims
      - .offset:         232
        .size:           4
        .value_kind:     hidden_dynamic_lds_size
    .group_segment_fixed_size: 16384
    .kernarg_segment_align: 8
    .kernarg_segment_size: 368
    .language:       OpenCL C
    .language_version:
      - 2
      - 0
    .max_flat_workgroup_size: 256
    .name:           _ZN9rocsparseL27csrmvn_symm_adaptive_kernelIll21rocsparse_complex_numIdES2_S2_S2_EEvbT_S3_PKS3_NS_24const_host_device_scalarIT4_EES5_PKT0_PKT1_PKT2_S8_PT3_21rocsparse_index_base_b
    .private_segment_fixed_size: 0
    .sgpr_count:     44
    .sgpr_spill_count: 0
    .symbol:         _ZN9rocsparseL27csrmvn_symm_adaptive_kernelIll21rocsparse_complex_numIdES2_S2_S2_EEvbT_S3_PKS3_NS_24const_host_device_scalarIT4_EES5_PKT0_PKT1_PKT2_S8_PT3_21rocsparse_index_base_b.kd
    .uniform_work_group_size: 1
    .uses_dynamic_stack: false
    .vgpr_count:     37
    .vgpr_spill_count: 0
    .wavefront_size: 32
    .workgroup_processor_mode: 1
  - .args:
      - .offset:         0
        .size:           1
        .value_kind:     by_value
      - .offset:         8
        .size:           8
        .value_kind:     by_value
      - .actual_access:  read_only
        .address_space:  global
        .offset:         16
        .size:           8
        .value_kind:     global_buffer
      - .offset:         24
        .size:           16
        .value_kind:     by_value
      - .actual_access:  read_only
        .address_space:  global
        .offset:         40
        .size:           8
        .value_kind:     global_buffer
      - .actual_access:  read_only
        .address_space:  global
        .offset:         48
        .size:           8
        .value_kind:     global_buffer
      - .actual_access:  read_only
        .address_space:  global
        .offset:         56
        .size:           8
        .value_kind:     global_buffer
      - .actual_access:  read_only
        .address_space:  global
        .offset:         64
        .size:           8
        .value_kind:     global_buffer
      - .offset:         72
        .size:           16
        .value_kind:     by_value
      - .address_space:  global
        .offset:         88
        .size:           8
        .value_kind:     global_buffer
      - .offset:         96
        .size:           4
        .value_kind:     by_value
      - .offset:         100
        .size:           1
        .value_kind:     by_value
    .group_segment_fixed_size: 16384
    .kernarg_segment_align: 8
    .kernarg_segment_size: 104
    .language:       OpenCL C
    .language_version:
      - 2
      - 0
    .max_flat_workgroup_size: 256
    .name:           _ZL33csrmvn_symm_large_adaptive_kernelIll21rocsparse_complex_numIdES1_S1_S1_EvbT_PKS2_N9rocsparse24const_host_device_scalarIT4_EES4_PKT0_PKT1_PKT2_S8_PT3_21rocsparse_index_base_b
    .private_segment_fixed_size: 0
    .sgpr_count:     36
    .sgpr_spill_count: 0
    .symbol:         _ZL33csrmvn_symm_large_adaptive_kernelIll21rocsparse_complex_numIdES1_S1_S1_EvbT_PKS2_N9rocsparse24const_host_device_scalarIT4_EES4_PKT0_PKT1_PKT2_S8_PT3_21rocsparse_index_base_b.kd
    .uniform_work_group_size: 1
    .uses_dynamic_stack: false
    .vgpr_count:     27
    .vgpr_spill_count: 0
    .wavefront_size: 32
    .workgroup_processor_mode: 1
  - .args:
      - .offset:         0
        .size:           1
        .value_kind:     by_value
      - .offset:         4
        .size:           4
        .value_kind:     by_value
      - .actual_access:  read_only
        .address_space:  global
        .offset:         8
        .size:           8
        .value_kind:     global_buffer
      - .address_space:  global
        .offset:         16
        .size:           8
        .value_kind:     global_buffer
      - .actual_access:  read_only
        .address_space:  global
        .offset:         24
        .size:           8
        .value_kind:     global_buffer
      - .offset:         32
        .size:           8
        .value_kind:     by_value
      - .actual_access:  read_only
        .address_space:  global
        .offset:         40
        .size:           8
        .value_kind:     global_buffer
      - .actual_access:  read_only
        .address_space:  global
        .offset:         48
        .size:           8
        .value_kind:     global_buffer
      - .actual_access:  read_only
        .address_space:  global
        .offset:         56
        .size:           8
        .value_kind:     global_buffer
      - .actual_access:  read_only
        .address_space:  global
        .offset:         64
        .size:           8
        .value_kind:     global_buffer
      - .offset:         72
        .size:           8
        .value_kind:     by_value
      - .address_space:  global
        .offset:         80
        .size:           8
        .value_kind:     global_buffer
      - .offset:         88
        .size:           4
        .value_kind:     by_value
      - .offset:         92
        .size:           1
        .value_kind:     by_value
    .group_segment_fixed_size: 4096
    .kernarg_segment_align: 8
    .kernarg_segment_size: 96
    .language:       OpenCL C
    .language_version:
      - 2
      - 0
    .max_flat_workgroup_size: 256
    .name:           _ZN9rocsparseL22csrmvn_adaptive_kernelIiiaaiiEEvbT_PKS1_PjPKT0_NS_24const_host_device_scalarIT4_EES3_S7_PKT1_PKT2_SA_PT3_21rocsparse_index_base_b
    .private_segment_fixed_size: 0
    .sgpr_count:     45
    .sgpr_spill_count: 0
    .symbol:         _ZN9rocsparseL22csrmvn_adaptive_kernelIiiaaiiEEvbT_PKS1_PjPKT0_NS_24const_host_device_scalarIT4_EES3_S7_PKT1_PKT2_SA_PT3_21rocsparse_index_base_b.kd
    .uniform_work_group_size: 1
    .uses_dynamic_stack: false
    .vgpr_count:     16
    .vgpr_spill_count: 0
    .wavefront_size: 32
    .workgroup_processor_mode: 1
  - .args:
      - .offset:         0
        .size:           4
        .value_kind:     by_value
      - .offset:         4
        .size:           4
        .value_kind:     by_value
      - .offset:         8
        .size:           4
        .value_kind:     by_value
      - .offset:         16
        .size:           8
        .value_kind:     by_value
      - .address_space:  global
        .offset:         24
        .size:           8
        .value_kind:     global_buffer
      - .offset:         32
        .size:           1
        .value_kind:     by_value
    .group_segment_fixed_size: 0
    .kernarg_segment_align: 8
    .kernarg_segment_size: 36
    .language:       OpenCL C
    .language_version:
      - 2
      - 0
    .max_flat_workgroup_size: 256
    .name:           _ZN9rocsparseL22partial_scale_y_kernelIiiiEEvT_S1_S1_NS_24const_host_device_scalarIT1_EEPT0_b
    .private_segment_fixed_size: 0
    .sgpr_count:     9
    .sgpr_spill_count: 0
    .symbol:         _ZN9rocsparseL22partial_scale_y_kernelIiiiEEvT_S1_S1_NS_24const_host_device_scalarIT1_EEPT0_b.kd
    .uniform_work_group_size: 1
    .uses_dynamic_stack: false
    .vgpr_count:     3
    .vgpr_spill_count: 0
    .wavefront_size: 32
    .workgroup_processor_mode: 1
  - .args:
      - .offset:         0
        .size:           1
        .value_kind:     by_value
      - .offset:         4
        .size:           4
        .value_kind:     by_value
      - .offset:         8
        .size:           4
        .value_kind:     by_value
      - .actual_access:  read_only
        .address_space:  global
        .offset:         16
        .size:           8
        .value_kind:     global_buffer
      - .offset:         24
        .size:           8
        .value_kind:     by_value
      - .actual_access:  read_only
        .address_space:  global
        .offset:         32
        .size:           8
        .value_kind:     global_buffer
      - .actual_access:  read_only
        .address_space:  global
        .offset:         40
        .size:           8
        .value_kind:     global_buffer
      - .actual_access:  read_only
        .address_space:  global
        .offset:         48
        .size:           8
        .value_kind:     global_buffer
      - .actual_access:  read_only
        .address_space:  global
        .offset:         56
        .size:           8
        .value_kind:     global_buffer
      - .offset:         64
        .size:           8
        .value_kind:     by_value
      - .address_space:  global
        .offset:         72
        .size:           8
        .value_kind:     global_buffer
      - .offset:         80
        .size:           4
        .value_kind:     by_value
      - .offset:         84
        .size:           1
        .value_kind:     by_value
      - .offset:         88
        .size:           4
        .value_kind:     hidden_block_count_x
      - .offset:         92
        .size:           4
        .value_kind:     hidden_block_count_y
      - .offset:         96
        .size:           4
        .value_kind:     hidden_block_count_z
      - .offset:         100
        .size:           2
        .value_kind:     hidden_group_size_x
      - .offset:         102
        .size:           2
        .value_kind:     hidden_group_size_y
      - .offset:         104
        .size:           2
        .value_kind:     hidden_group_size_z
      - .offset:         106
        .size:           2
        .value_kind:     hidden_remainder_x
      - .offset:         108
        .size:           2
        .value_kind:     hidden_remainder_y
      - .offset:         110
        .size:           2
        .value_kind:     hidden_remainder_z
      - .offset:         128
        .size:           8
        .value_kind:     hidden_global_offset_x
      - .offset:         136
        .size:           8
        .value_kind:     hidden_global_offset_y
      - .offset:         144
        .size:           8
        .value_kind:     hidden_global_offset_z
      - .offset:         152
        .size:           2
        .value_kind:     hidden_grid_dims
      - .offset:         208
        .size:           4
        .value_kind:     hidden_dynamic_lds_size
    .group_segment_fixed_size: 4096
    .kernarg_segment_align: 8
    .kernarg_segment_size: 344
    .language:       OpenCL C
    .language_version:
      - 2
      - 0
    .max_flat_workgroup_size: 256
    .name:           _ZN9rocsparseL27csrmvn_symm_adaptive_kernelIiiaaiiEEvbT_S1_PKS1_NS_24const_host_device_scalarIT4_EES3_PKT0_PKT1_PKT2_S6_PT3_21rocsparse_index_base_b
    .private_segment_fixed_size: 0
    .sgpr_count:     32
    .sgpr_spill_count: 0
    .symbol:         _ZN9rocsparseL27csrmvn_symm_adaptive_kernelIiiaaiiEEvbT_S1_PKS1_NS_24const_host_device_scalarIT4_EES3_PKT0_PKT1_PKT2_S6_PT3_21rocsparse_index_base_b.kd
    .uniform_work_group_size: 1
    .uses_dynamic_stack: false
    .vgpr_count:     15
    .vgpr_spill_count: 0
    .wavefront_size: 32
    .workgroup_processor_mode: 1
  - .args:
      - .offset:         0
        .size:           1
        .value_kind:     by_value
      - .offset:         4
        .size:           4
        .value_kind:     by_value
      - .actual_access:  read_only
        .address_space:  global
        .offset:         8
        .size:           8
        .value_kind:     global_buffer
      - .offset:         16
        .size:           8
        .value_kind:     by_value
      - .actual_access:  read_only
        .address_space:  global
        .offset:         24
        .size:           8
        .value_kind:     global_buffer
      - .actual_access:  read_only
        .address_space:  global
        .offset:         32
        .size:           8
        .value_kind:     global_buffer
      - .actual_access:  read_only
        .address_space:  global
        .offset:         40
        .size:           8
        .value_kind:     global_buffer
      - .actual_access:  read_only
        .address_space:  global
        .offset:         48
        .size:           8
        .value_kind:     global_buffer
      - .offset:         56
        .size:           8
        .value_kind:     by_value
      - .address_space:  global
        .offset:         64
        .size:           8
        .value_kind:     global_buffer
      - .offset:         72
        .size:           4
        .value_kind:     by_value
      - .offset:         76
        .size:           1
        .value_kind:     by_value
    .group_segment_fixed_size: 4096
    .kernarg_segment_align: 8
    .kernarg_segment_size: 80
    .language:       OpenCL C
    .language_version:
      - 2
      - 0
    .max_flat_workgroup_size: 256
    .name:           _ZL33csrmvn_symm_large_adaptive_kernelIiiaaiiEvbT_PKS0_N9rocsparse24const_host_device_scalarIT4_EES2_PKT0_PKT1_PKT2_S6_PT3_21rocsparse_index_base_b
    .private_segment_fixed_size: 0
    .sgpr_count:     27
    .sgpr_spill_count: 0
    .symbol:         _ZL33csrmvn_symm_large_adaptive_kernelIiiaaiiEvbT_PKS0_N9rocsparse24const_host_device_scalarIT4_EES2_PKT0_PKT1_PKT2_S6_PT3_21rocsparse_index_base_b.kd
    .uniform_work_group_size: 1
    .uses_dynamic_stack: false
    .vgpr_count:     12
    .vgpr_spill_count: 0
    .wavefront_size: 32
    .workgroup_processor_mode: 1
  - .args:
      - .offset:         0
        .size:           1
        .value_kind:     by_value
      - .offset:         8
        .size:           8
        .value_kind:     by_value
      - .actual_access:  read_only
        .address_space:  global
        .offset:         16
        .size:           8
        .value_kind:     global_buffer
      - .address_space:  global
        .offset:         24
        .size:           8
        .value_kind:     global_buffer
      - .actual_access:  read_only
        .address_space:  global
        .offset:         32
        .size:           8
        .value_kind:     global_buffer
      - .offset:         40
        .size:           8
        .value_kind:     by_value
      - .actual_access:  read_only
        .address_space:  global
        .offset:         48
        .size:           8
        .value_kind:     global_buffer
      - .actual_access:  read_only
        .address_space:  global
        .offset:         56
        .size:           8
        .value_kind:     global_buffer
      - .actual_access:  read_only
        .address_space:  global
        .offset:         64
        .size:           8
        .value_kind:     global_buffer
      - .actual_access:  read_only
        .address_space:  global
        .offset:         72
        .size:           8
        .value_kind:     global_buffer
      - .offset:         80
        .size:           8
        .value_kind:     by_value
      - .address_space:  global
        .offset:         88
        .size:           8
        .value_kind:     global_buffer
      - .offset:         96
        .size:           4
        .value_kind:     by_value
      - .offset:         100
        .size:           1
        .value_kind:     by_value
    .group_segment_fixed_size: 4096
    .kernarg_segment_align: 8
    .kernarg_segment_size: 104
    .language:       OpenCL C
    .language_version:
      - 2
      - 0
    .max_flat_workgroup_size: 256
    .name:           _ZN9rocsparseL22csrmvn_adaptive_kernelIliaaiiEEvbT_PKS1_PjPKT0_NS_24const_host_device_scalarIT4_EES3_S7_PKT1_PKT2_SA_PT3_21rocsparse_index_base_b
    .private_segment_fixed_size: 0
    .sgpr_count:     54
    .sgpr_spill_count: 0
    .symbol:         _ZN9rocsparseL22csrmvn_adaptive_kernelIliaaiiEEvbT_PKS1_PjPKT0_NS_24const_host_device_scalarIT4_EES3_S7_PKT1_PKT2_SA_PT3_21rocsparse_index_base_b.kd
    .uniform_work_group_size: 1
    .uses_dynamic_stack: false
    .vgpr_count:     16
    .vgpr_spill_count: 0
    .wavefront_size: 32
    .workgroup_processor_mode: 1
  - .args:
      - .offset:         0
        .size:           1
        .value_kind:     by_value
      - .offset:         8
        .size:           8
        .value_kind:     by_value
      - .offset:         16
        .size:           8
        .value_kind:     by_value
      - .actual_access:  read_only
        .address_space:  global
        .offset:         24
        .size:           8
        .value_kind:     global_buffer
      - .offset:         32
        .size:           8
        .value_kind:     by_value
      - .actual_access:  read_only
        .address_space:  global
        .offset:         40
        .size:           8
        .value_kind:     global_buffer
      - .actual_access:  read_only
        .address_space:  global
        .offset:         48
        .size:           8
        .value_kind:     global_buffer
      - .actual_access:  read_only
        .address_space:  global
        .offset:         56
        .size:           8
        .value_kind:     global_buffer
      - .actual_access:  read_only
        .address_space:  global
        .offset:         64
        .size:           8
        .value_kind:     global_buffer
      - .offset:         72
        .size:           8
        .value_kind:     by_value
      - .address_space:  global
        .offset:         80
        .size:           8
        .value_kind:     global_buffer
      - .offset:         88
        .size:           4
        .value_kind:     by_value
      - .offset:         92
        .size:           1
        .value_kind:     by_value
      - .offset:         96
        .size:           4
        .value_kind:     hidden_block_count_x
      - .offset:         100
        .size:           4
        .value_kind:     hidden_block_count_y
      - .offset:         104
        .size:           4
        .value_kind:     hidden_block_count_z
      - .offset:         108
        .size:           2
        .value_kind:     hidden_group_size_x
      - .offset:         110
        .size:           2
        .value_kind:     hidden_group_size_y
      - .offset:         112
        .size:           2
        .value_kind:     hidden_group_size_z
      - .offset:         114
        .size:           2
        .value_kind:     hidden_remainder_x
      - .offset:         116
        .size:           2
        .value_kind:     hidden_remainder_y
      - .offset:         118
        .size:           2
        .value_kind:     hidden_remainder_z
      - .offset:         136
        .size:           8
        .value_kind:     hidden_global_offset_x
      - .offset:         144
        .size:           8
        .value_kind:     hidden_global_offset_y
      - .offset:         152
        .size:           8
        .value_kind:     hidden_global_offset_z
      - .offset:         160
        .size:           2
        .value_kind:     hidden_grid_dims
      - .offset:         216
        .size:           4
        .value_kind:     hidden_dynamic_lds_size
    .group_segment_fixed_size: 4096
    .kernarg_segment_align: 8
    .kernarg_segment_size: 352
    .language:       OpenCL C
    .language_version:
      - 2
      - 0
    .max_flat_workgroup_size: 256
    .name:           _ZN9rocsparseL27csrmvn_symm_adaptive_kernelIliaaiiEEvbT_S1_PKS1_NS_24const_host_device_scalarIT4_EES3_PKT0_PKT1_PKT2_S6_PT3_21rocsparse_index_base_b
    .private_segment_fixed_size: 0
    .sgpr_count:     44
    .sgpr_spill_count: 0
    .symbol:         _ZN9rocsparseL27csrmvn_symm_adaptive_kernelIliaaiiEEvbT_S1_PKS1_NS_24const_host_device_scalarIT4_EES3_PKT0_PKT1_PKT2_S6_PT3_21rocsparse_index_base_b.kd
    .uniform_work_group_size: 1
    .uses_dynamic_stack: false
    .vgpr_count:     22
    .vgpr_spill_count: 0
    .wavefront_size: 32
    .workgroup_processor_mode: 1
  - .args:
      - .offset:         0
        .size:           1
        .value_kind:     by_value
      - .offset:         8
        .size:           8
        .value_kind:     by_value
      - .actual_access:  read_only
        .address_space:  global
        .offset:         16
        .size:           8
        .value_kind:     global_buffer
      - .offset:         24
        .size:           8
        .value_kind:     by_value
      - .actual_access:  read_only
        .address_space:  global
        .offset:         32
        .size:           8
        .value_kind:     global_buffer
      - .actual_access:  read_only
        .address_space:  global
        .offset:         40
        .size:           8
        .value_kind:     global_buffer
      - .actual_access:  read_only
        .address_space:  global
        .offset:         48
        .size:           8
        .value_kind:     global_buffer
      - .actual_access:  read_only
        .address_space:  global
        .offset:         56
        .size:           8
        .value_kind:     global_buffer
      - .offset:         64
        .size:           8
        .value_kind:     by_value
      - .address_space:  global
        .offset:         72
        .size:           8
        .value_kind:     global_buffer
      - .offset:         80
        .size:           4
        .value_kind:     by_value
      - .offset:         84
        .size:           1
        .value_kind:     by_value
    .group_segment_fixed_size: 4096
    .kernarg_segment_align: 8
    .kernarg_segment_size: 88
    .language:       OpenCL C
    .language_version:
      - 2
      - 0
    .max_flat_workgroup_size: 256
    .name:           _ZL33csrmvn_symm_large_adaptive_kernelIliaaiiEvbT_PKS0_N9rocsparse24const_host_device_scalarIT4_EES2_PKT0_PKT1_PKT2_S6_PT3_21rocsparse_index_base_b
    .private_segment_fixed_size: 0
    .sgpr_count:     34
    .sgpr_spill_count: 0
    .symbol:         _ZL33csrmvn_symm_large_adaptive_kernelIliaaiiEvbT_PKS0_N9rocsparse24const_host_device_scalarIT4_EES2_PKT0_PKT1_PKT2_S6_PT3_21rocsparse_index_base_b.kd
    .uniform_work_group_size: 1
    .uses_dynamic_stack: false
    .vgpr_count:     13
    .vgpr_spill_count: 0
    .wavefront_size: 32
    .workgroup_processor_mode: 1
  - .args:
      - .offset:         0
        .size:           1
        .value_kind:     by_value
      - .offset:         8
        .size:           8
        .value_kind:     by_value
      - .actual_access:  read_only
        .address_space:  global
        .offset:         16
        .size:           8
        .value_kind:     global_buffer
      - .address_space:  global
        .offset:         24
        .size:           8
        .value_kind:     global_buffer
      - .actual_access:  read_only
        .address_space:  global
        .offset:         32
        .size:           8
        .value_kind:     global_buffer
      - .offset:         40
        .size:           8
        .value_kind:     by_value
      - .actual_access:  read_only
        .address_space:  global
        .offset:         48
        .size:           8
        .value_kind:     global_buffer
      - .actual_access:  read_only
        .address_space:  global
        .offset:         56
        .size:           8
        .value_kind:     global_buffer
      - .actual_access:  read_only
        .address_space:  global
        .offset:         64
        .size:           8
        .value_kind:     global_buffer
      - .actual_access:  read_only
        .address_space:  global
        .offset:         72
        .size:           8
        .value_kind:     global_buffer
      - .offset:         80
        .size:           8
        .value_kind:     by_value
      - .address_space:  global
        .offset:         88
        .size:           8
        .value_kind:     global_buffer
      - .offset:         96
        .size:           4
        .value_kind:     by_value
      - .offset:         100
        .size:           1
        .value_kind:     by_value
    .group_segment_fixed_size: 4096
    .kernarg_segment_align: 8
    .kernarg_segment_size: 104
    .language:       OpenCL C
    .language_version:
      - 2
      - 0
    .max_flat_workgroup_size: 256
    .name:           _ZN9rocsparseL22csrmvn_adaptive_kernelIllaaiiEEvbT_PKS1_PjPKT0_NS_24const_host_device_scalarIT4_EES3_S7_PKT1_PKT2_SA_PT3_21rocsparse_index_base_b
    .private_segment_fixed_size: 0
    .sgpr_count:     50
    .sgpr_spill_count: 0
    .symbol:         _ZN9rocsparseL22csrmvn_adaptive_kernelIllaaiiEEvbT_PKS1_PjPKT0_NS_24const_host_device_scalarIT4_EES3_S7_PKT1_PKT2_SA_PT3_21rocsparse_index_base_b.kd
    .uniform_work_group_size: 1
    .uses_dynamic_stack: false
    .vgpr_count:     16
    .vgpr_spill_count: 0
    .wavefront_size: 32
    .workgroup_processor_mode: 1
  - .args:
      - .offset:         0
        .size:           8
        .value_kind:     by_value
      - .offset:         8
        .size:           8
        .value_kind:     by_value
      - .offset:         16
        .size:           8
        .value_kind:     by_value
      - .offset:         24
        .size:           8
        .value_kind:     by_value
      - .address_space:  global
        .offset:         32
        .size:           8
        .value_kind:     global_buffer
      - .offset:         40
        .size:           1
        .value_kind:     by_value
    .group_segment_fixed_size: 0
    .kernarg_segment_align: 8
    .kernarg_segment_size: 44
    .language:       OpenCL C
    .language_version:
      - 2
      - 0
    .max_flat_workgroup_size: 256
    .name:           _ZN9rocsparseL22partial_scale_y_kernelIliiEEvT_S1_S1_NS_24const_host_device_scalarIT1_EEPT0_b
    .private_segment_fixed_size: 0
    .sgpr_count:     14
    .sgpr_spill_count: 0
    .symbol:         _ZN9rocsparseL22partial_scale_y_kernelIliiEEvT_S1_S1_NS_24const_host_device_scalarIT1_EEPT0_b.kd
    .uniform_work_group_size: 1
    .uses_dynamic_stack: false
    .vgpr_count:     4
    .vgpr_spill_count: 0
    .wavefront_size: 32
    .workgroup_processor_mode: 1
  - .args:
      - .offset:         0
        .size:           1
        .value_kind:     by_value
      - .offset:         8
        .size:           8
        .value_kind:     by_value
      - .offset:         16
        .size:           8
        .value_kind:     by_value
      - .actual_access:  read_only
        .address_space:  global
        .offset:         24
        .size:           8
        .value_kind:     global_buffer
      - .offset:         32
        .size:           8
        .value_kind:     by_value
      - .actual_access:  read_only
        .address_space:  global
        .offset:         40
        .size:           8
        .value_kind:     global_buffer
      - .actual_access:  read_only
        .address_space:  global
        .offset:         48
        .size:           8
        .value_kind:     global_buffer
      - .actual_access:  read_only
        .address_space:  global
        .offset:         56
        .size:           8
        .value_kind:     global_buffer
      - .actual_access:  read_only
        .address_space:  global
        .offset:         64
        .size:           8
        .value_kind:     global_buffer
      - .offset:         72
        .size:           8
        .value_kind:     by_value
      - .address_space:  global
        .offset:         80
        .size:           8
        .value_kind:     global_buffer
      - .offset:         88
        .size:           4
        .value_kind:     by_value
      - .offset:         92
        .size:           1
        .value_kind:     by_value
      - .offset:         96
        .size:           4
        .value_kind:     hidden_block_count_x
      - .offset:         100
        .size:           4
        .value_kind:     hidden_block_count_y
      - .offset:         104
        .size:           4
        .value_kind:     hidden_block_count_z
      - .offset:         108
        .size:           2
        .value_kind:     hidden_group_size_x
      - .offset:         110
        .size:           2
        .value_kind:     hidden_group_size_y
      - .offset:         112
        .size:           2
        .value_kind:     hidden_group_size_z
      - .offset:         114
        .size:           2
        .value_kind:     hidden_remainder_x
      - .offset:         116
        .size:           2
        .value_kind:     hidden_remainder_y
      - .offset:         118
        .size:           2
        .value_kind:     hidden_remainder_z
      - .offset:         136
        .size:           8
        .value_kind:     hidden_global_offset_x
      - .offset:         144
        .size:           8
        .value_kind:     hidden_global_offset_y
      - .offset:         152
        .size:           8
        .value_kind:     hidden_global_offset_z
      - .offset:         160
        .size:           2
        .value_kind:     hidden_grid_dims
      - .offset:         216
        .size:           4
        .value_kind:     hidden_dynamic_lds_size
    .group_segment_fixed_size: 4096
    .kernarg_segment_align: 8
    .kernarg_segment_size: 352
    .language:       OpenCL C
    .language_version:
      - 2
      - 0
    .max_flat_workgroup_size: 256
    .name:           _ZN9rocsparseL27csrmvn_symm_adaptive_kernelIllaaiiEEvbT_S1_PKS1_NS_24const_host_device_scalarIT4_EES3_PKT0_PKT1_PKT2_S6_PT3_21rocsparse_index_base_b
    .private_segment_fixed_size: 0
    .sgpr_count:     44
    .sgpr_spill_count: 0
    .symbol:         _ZN9rocsparseL27csrmvn_symm_adaptive_kernelIllaaiiEEvbT_S1_PKS1_NS_24const_host_device_scalarIT4_EES3_PKT0_PKT1_PKT2_S6_PT3_21rocsparse_index_base_b.kd
    .uniform_work_group_size: 1
    .uses_dynamic_stack: false
    .vgpr_count:     22
    .vgpr_spill_count: 0
    .wavefront_size: 32
    .workgroup_processor_mode: 1
  - .args:
      - .offset:         0
        .size:           1
        .value_kind:     by_value
      - .offset:         8
        .size:           8
        .value_kind:     by_value
      - .actual_access:  read_only
        .address_space:  global
        .offset:         16
        .size:           8
        .value_kind:     global_buffer
      - .offset:         24
        .size:           8
        .value_kind:     by_value
      - .actual_access:  read_only
        .address_space:  global
        .offset:         32
        .size:           8
        .value_kind:     global_buffer
      - .actual_access:  read_only
        .address_space:  global
        .offset:         40
        .size:           8
        .value_kind:     global_buffer
      - .actual_access:  read_only
        .address_space:  global
        .offset:         48
        .size:           8
        .value_kind:     global_buffer
      - .actual_access:  read_only
        .address_space:  global
        .offset:         56
        .size:           8
        .value_kind:     global_buffer
      - .offset:         64
        .size:           8
        .value_kind:     by_value
      - .address_space:  global
        .offset:         72
        .size:           8
        .value_kind:     global_buffer
      - .offset:         80
        .size:           4
        .value_kind:     by_value
      - .offset:         84
        .size:           1
        .value_kind:     by_value
    .group_segment_fixed_size: 4096
    .kernarg_segment_align: 8
    .kernarg_segment_size: 88
    .language:       OpenCL C
    .language_version:
      - 2
      - 0
    .max_flat_workgroup_size: 256
    .name:           _ZL33csrmvn_symm_large_adaptive_kernelIllaaiiEvbT_PKS0_N9rocsparse24const_host_device_scalarIT4_EES2_PKT0_PKT1_PKT2_S6_PT3_21rocsparse_index_base_b
    .private_segment_fixed_size: 0
    .sgpr_count:     34
    .sgpr_spill_count: 0
    .symbol:         _ZL33csrmvn_symm_large_adaptive_kernelIllaaiiEvbT_PKS0_N9rocsparse24const_host_device_scalarIT4_EES2_PKT0_PKT1_PKT2_S6_PT3_21rocsparse_index_base_b.kd
    .uniform_work_group_size: 1
    .uses_dynamic_stack: false
    .vgpr_count:     13
    .vgpr_spill_count: 0
    .wavefront_size: 32
    .workgroup_processor_mode: 1
  - .args:
      - .offset:         0
        .size:           1
        .value_kind:     by_value
      - .offset:         4
        .size:           4
        .value_kind:     by_value
      - .actual_access:  read_only
        .address_space:  global
        .offset:         8
        .size:           8
        .value_kind:     global_buffer
      - .address_space:  global
        .offset:         16
        .size:           8
        .value_kind:     global_buffer
      - .actual_access:  read_only
        .address_space:  global
        .offset:         24
        .size:           8
        .value_kind:     global_buffer
      - .offset:         32
        .size:           8
        .value_kind:     by_value
      - .actual_access:  read_only
        .address_space:  global
        .offset:         40
        .size:           8
        .value_kind:     global_buffer
      - .actual_access:  read_only
        .address_space:  global
        .offset:         48
        .size:           8
        .value_kind:     global_buffer
      - .actual_access:  read_only
        .address_space:  global
        .offset:         56
        .size:           8
        .value_kind:     global_buffer
      - .actual_access:  read_only
        .address_space:  global
        .offset:         64
        .size:           8
        .value_kind:     global_buffer
      - .offset:         72
        .size:           8
        .value_kind:     by_value
      - .address_space:  global
        .offset:         80
        .size:           8
        .value_kind:     global_buffer
      - .offset:         88
        .size:           4
        .value_kind:     by_value
      - .offset:         92
        .size:           1
        .value_kind:     by_value
    .group_segment_fixed_size: 4096
    .kernarg_segment_align: 8
    .kernarg_segment_size: 96
    .language:       OpenCL C
    .language_version:
      - 2
      - 0
    .max_flat_workgroup_size: 256
    .name:           _ZN9rocsparseL22csrmvn_adaptive_kernelIiiaaffEEvbT_PKS1_PjPKT0_NS_24const_host_device_scalarIT4_EES3_S7_PKT1_PKT2_SA_PT3_21rocsparse_index_base_b
    .private_segment_fixed_size: 0
    .sgpr_count:     46
    .sgpr_spill_count: 0
    .symbol:         _ZN9rocsparseL22csrmvn_adaptive_kernelIiiaaffEEvbT_PKS1_PjPKT0_NS_24const_host_device_scalarIT4_EES3_S7_PKT1_PKT2_SA_PT3_21rocsparse_index_base_b.kd
    .uniform_work_group_size: 1
    .uses_dynamic_stack: false
    .vgpr_count:     16
    .vgpr_spill_count: 0
    .wavefront_size: 32
    .workgroup_processor_mode: 1
  - .args:
      - .offset:         0
        .size:           1
        .value_kind:     by_value
      - .offset:         4
        .size:           4
        .value_kind:     by_value
      - .offset:         8
        .size:           4
        .value_kind:     by_value
      - .actual_access:  read_only
        .address_space:  global
        .offset:         16
        .size:           8
        .value_kind:     global_buffer
      - .offset:         24
        .size:           8
        .value_kind:     by_value
      - .actual_access:  read_only
        .address_space:  global
        .offset:         32
        .size:           8
        .value_kind:     global_buffer
      - .actual_access:  read_only
        .address_space:  global
        .offset:         40
        .size:           8
        .value_kind:     global_buffer
      - .actual_access:  read_only
        .address_space:  global
        .offset:         48
        .size:           8
        .value_kind:     global_buffer
      - .actual_access:  read_only
        .address_space:  global
        .offset:         56
        .size:           8
        .value_kind:     global_buffer
      - .offset:         64
        .size:           8
        .value_kind:     by_value
      - .address_space:  global
        .offset:         72
        .size:           8
        .value_kind:     global_buffer
      - .offset:         80
        .size:           4
        .value_kind:     by_value
      - .offset:         84
        .size:           1
        .value_kind:     by_value
      - .offset:         88
        .size:           4
        .value_kind:     hidden_block_count_x
      - .offset:         92
        .size:           4
        .value_kind:     hidden_block_count_y
      - .offset:         96
        .size:           4
        .value_kind:     hidden_block_count_z
      - .offset:         100
        .size:           2
        .value_kind:     hidden_group_size_x
      - .offset:         102
        .size:           2
        .value_kind:     hidden_group_size_y
      - .offset:         104
        .size:           2
        .value_kind:     hidden_group_size_z
      - .offset:         106
        .size:           2
        .value_kind:     hidden_remainder_x
      - .offset:         108
        .size:           2
        .value_kind:     hidden_remainder_y
      - .offset:         110
        .size:           2
        .value_kind:     hidden_remainder_z
      - .offset:         128
        .size:           8
        .value_kind:     hidden_global_offset_x
      - .offset:         136
        .size:           8
        .value_kind:     hidden_global_offset_y
      - .offset:         144
        .size:           8
        .value_kind:     hidden_global_offset_z
      - .offset:         152
        .size:           2
        .value_kind:     hidden_grid_dims
      - .offset:         208
        .size:           4
        .value_kind:     hidden_dynamic_lds_size
    .group_segment_fixed_size: 4096
    .kernarg_segment_align: 8
    .kernarg_segment_size: 344
    .language:       OpenCL C
    .language_version:
      - 2
      - 0
    .max_flat_workgroup_size: 256
    .name:           _ZN9rocsparseL27csrmvn_symm_adaptive_kernelIiiaaffEEvbT_S1_PKS1_NS_24const_host_device_scalarIT4_EES3_PKT0_PKT1_PKT2_S6_PT3_21rocsparse_index_base_b
    .private_segment_fixed_size: 0
    .sgpr_count:     32
    .sgpr_spill_count: 0
    .symbol:         _ZN9rocsparseL27csrmvn_symm_adaptive_kernelIiiaaffEEvbT_S1_PKS1_NS_24const_host_device_scalarIT4_EES3_PKT0_PKT1_PKT2_S6_PT3_21rocsparse_index_base_b.kd
    .uniform_work_group_size: 1
    .uses_dynamic_stack: false
    .vgpr_count:     15
    .vgpr_spill_count: 0
    .wavefront_size: 32
    .workgroup_processor_mode: 1
  - .args:
      - .offset:         0
        .size:           1
        .value_kind:     by_value
      - .offset:         4
        .size:           4
        .value_kind:     by_value
      - .actual_access:  read_only
        .address_space:  global
        .offset:         8
        .size:           8
        .value_kind:     global_buffer
      - .offset:         16
        .size:           8
        .value_kind:     by_value
      - .actual_access:  read_only
        .address_space:  global
        .offset:         24
        .size:           8
        .value_kind:     global_buffer
      - .actual_access:  read_only
        .address_space:  global
        .offset:         32
        .size:           8
        .value_kind:     global_buffer
      - .actual_access:  read_only
        .address_space:  global
        .offset:         40
        .size:           8
        .value_kind:     global_buffer
      - .actual_access:  read_only
        .address_space:  global
        .offset:         48
        .size:           8
        .value_kind:     global_buffer
      - .offset:         56
        .size:           8
        .value_kind:     by_value
      - .address_space:  global
        .offset:         64
        .size:           8
        .value_kind:     global_buffer
      - .offset:         72
        .size:           4
        .value_kind:     by_value
      - .offset:         76
        .size:           1
        .value_kind:     by_value
    .group_segment_fixed_size: 4096
    .kernarg_segment_align: 8
    .kernarg_segment_size: 80
    .language:       OpenCL C
    .language_version:
      - 2
      - 0
    .max_flat_workgroup_size: 256
    .name:           _ZL33csrmvn_symm_large_adaptive_kernelIiiaaffEvbT_PKS0_N9rocsparse24const_host_device_scalarIT4_EES2_PKT0_PKT1_PKT2_S6_PT3_21rocsparse_index_base_b
    .private_segment_fixed_size: 0
    .sgpr_count:     28
    .sgpr_spill_count: 0
    .symbol:         _ZL33csrmvn_symm_large_adaptive_kernelIiiaaffEvbT_PKS0_N9rocsparse24const_host_device_scalarIT4_EES2_PKT0_PKT1_PKT2_S6_PT3_21rocsparse_index_base_b.kd
    .uniform_work_group_size: 1
    .uses_dynamic_stack: false
    .vgpr_count:     12
    .vgpr_spill_count: 0
    .wavefront_size: 32
    .workgroup_processor_mode: 1
  - .args:
      - .offset:         0
        .size:           1
        .value_kind:     by_value
      - .offset:         8
        .size:           8
        .value_kind:     by_value
      - .actual_access:  read_only
        .address_space:  global
        .offset:         16
        .size:           8
        .value_kind:     global_buffer
      - .address_space:  global
        .offset:         24
        .size:           8
        .value_kind:     global_buffer
      - .actual_access:  read_only
        .address_space:  global
        .offset:         32
        .size:           8
        .value_kind:     global_buffer
      - .offset:         40
        .size:           8
        .value_kind:     by_value
      - .actual_access:  read_only
        .address_space:  global
        .offset:         48
        .size:           8
        .value_kind:     global_buffer
      - .actual_access:  read_only
        .address_space:  global
        .offset:         56
        .size:           8
        .value_kind:     global_buffer
      - .actual_access:  read_only
        .address_space:  global
        .offset:         64
        .size:           8
        .value_kind:     global_buffer
      - .actual_access:  read_only
        .address_space:  global
        .offset:         72
        .size:           8
        .value_kind:     global_buffer
      - .offset:         80
        .size:           8
        .value_kind:     by_value
      - .address_space:  global
        .offset:         88
        .size:           8
        .value_kind:     global_buffer
      - .offset:         96
        .size:           4
        .value_kind:     by_value
      - .offset:         100
        .size:           1
        .value_kind:     by_value
    .group_segment_fixed_size: 4096
    .kernarg_segment_align: 8
    .kernarg_segment_size: 104
    .language:       OpenCL C
    .language_version:
      - 2
      - 0
    .max_flat_workgroup_size: 256
    .name:           _ZN9rocsparseL22csrmvn_adaptive_kernelIliaaffEEvbT_PKS1_PjPKT0_NS_24const_host_device_scalarIT4_EES3_S7_PKT1_PKT2_SA_PT3_21rocsparse_index_base_b
    .private_segment_fixed_size: 0
    .sgpr_count:     54
    .sgpr_spill_count: 0
    .symbol:         _ZN9rocsparseL22csrmvn_adaptive_kernelIliaaffEEvbT_PKS1_PjPKT0_NS_24const_host_device_scalarIT4_EES3_S7_PKT1_PKT2_SA_PT3_21rocsparse_index_base_b.kd
    .uniform_work_group_size: 1
    .uses_dynamic_stack: false
    .vgpr_count:     16
    .vgpr_spill_count: 0
    .wavefront_size: 32
    .workgroup_processor_mode: 1
  - .args:
      - .offset:         0
        .size:           1
        .value_kind:     by_value
      - .offset:         8
        .size:           8
        .value_kind:     by_value
      - .offset:         16
        .size:           8
        .value_kind:     by_value
      - .actual_access:  read_only
        .address_space:  global
        .offset:         24
        .size:           8
        .value_kind:     global_buffer
      - .offset:         32
        .size:           8
        .value_kind:     by_value
      - .actual_access:  read_only
        .address_space:  global
        .offset:         40
        .size:           8
        .value_kind:     global_buffer
      - .actual_access:  read_only
        .address_space:  global
        .offset:         48
        .size:           8
        .value_kind:     global_buffer
      - .actual_access:  read_only
        .address_space:  global
        .offset:         56
        .size:           8
        .value_kind:     global_buffer
      - .actual_access:  read_only
        .address_space:  global
        .offset:         64
        .size:           8
        .value_kind:     global_buffer
      - .offset:         72
        .size:           8
        .value_kind:     by_value
      - .address_space:  global
        .offset:         80
        .size:           8
        .value_kind:     global_buffer
      - .offset:         88
        .size:           4
        .value_kind:     by_value
      - .offset:         92
        .size:           1
        .value_kind:     by_value
      - .offset:         96
        .size:           4
        .value_kind:     hidden_block_count_x
      - .offset:         100
        .size:           4
        .value_kind:     hidden_block_count_y
      - .offset:         104
        .size:           4
        .value_kind:     hidden_block_count_z
      - .offset:         108
        .size:           2
        .value_kind:     hidden_group_size_x
      - .offset:         110
        .size:           2
        .value_kind:     hidden_group_size_y
      - .offset:         112
        .size:           2
        .value_kind:     hidden_group_size_z
      - .offset:         114
        .size:           2
        .value_kind:     hidden_remainder_x
      - .offset:         116
        .size:           2
        .value_kind:     hidden_remainder_y
      - .offset:         118
        .size:           2
        .value_kind:     hidden_remainder_z
      - .offset:         136
        .size:           8
        .value_kind:     hidden_global_offset_x
      - .offset:         144
        .size:           8
        .value_kind:     hidden_global_offset_y
      - .offset:         152
        .size:           8
        .value_kind:     hidden_global_offset_z
      - .offset:         160
        .size:           2
        .value_kind:     hidden_grid_dims
      - .offset:         216
        .size:           4
        .value_kind:     hidden_dynamic_lds_size
    .group_segment_fixed_size: 4096
    .kernarg_segment_align: 8
    .kernarg_segment_size: 352
    .language:       OpenCL C
    .language_version:
      - 2
      - 0
    .max_flat_workgroup_size: 256
    .name:           _ZN9rocsparseL27csrmvn_symm_adaptive_kernelIliaaffEEvbT_S1_PKS1_NS_24const_host_device_scalarIT4_EES3_PKT0_PKT1_PKT2_S6_PT3_21rocsparse_index_base_b
    .private_segment_fixed_size: 0
    .sgpr_count:     44
    .sgpr_spill_count: 0
    .symbol:         _ZN9rocsparseL27csrmvn_symm_adaptive_kernelIliaaffEEvbT_S1_PKS1_NS_24const_host_device_scalarIT4_EES3_PKT0_PKT1_PKT2_S6_PT3_21rocsparse_index_base_b.kd
    .uniform_work_group_size: 1
    .uses_dynamic_stack: false
    .vgpr_count:     22
    .vgpr_spill_count: 0
    .wavefront_size: 32
    .workgroup_processor_mode: 1
  - .args:
      - .offset:         0
        .size:           1
        .value_kind:     by_value
      - .offset:         8
        .size:           8
        .value_kind:     by_value
      - .actual_access:  read_only
        .address_space:  global
        .offset:         16
        .size:           8
        .value_kind:     global_buffer
      - .offset:         24
        .size:           8
        .value_kind:     by_value
      - .actual_access:  read_only
        .address_space:  global
        .offset:         32
        .size:           8
        .value_kind:     global_buffer
      - .actual_access:  read_only
        .address_space:  global
        .offset:         40
        .size:           8
        .value_kind:     global_buffer
      - .actual_access:  read_only
        .address_space:  global
        .offset:         48
        .size:           8
        .value_kind:     global_buffer
      - .actual_access:  read_only
        .address_space:  global
        .offset:         56
        .size:           8
        .value_kind:     global_buffer
      - .offset:         64
        .size:           8
        .value_kind:     by_value
      - .address_space:  global
        .offset:         72
        .size:           8
        .value_kind:     global_buffer
      - .offset:         80
        .size:           4
        .value_kind:     by_value
      - .offset:         84
        .size:           1
        .value_kind:     by_value
    .group_segment_fixed_size: 4096
    .kernarg_segment_align: 8
    .kernarg_segment_size: 88
    .language:       OpenCL C
    .language_version:
      - 2
      - 0
    .max_flat_workgroup_size: 256
    .name:           _ZL33csrmvn_symm_large_adaptive_kernelIliaaffEvbT_PKS0_N9rocsparse24const_host_device_scalarIT4_EES2_PKT0_PKT1_PKT2_S6_PT3_21rocsparse_index_base_b
    .private_segment_fixed_size: 0
    .sgpr_count:     34
    .sgpr_spill_count: 0
    .symbol:         _ZL33csrmvn_symm_large_adaptive_kernelIliaaffEvbT_PKS0_N9rocsparse24const_host_device_scalarIT4_EES2_PKT0_PKT1_PKT2_S6_PT3_21rocsparse_index_base_b.kd
    .uniform_work_group_size: 1
    .uses_dynamic_stack: false
    .vgpr_count:     13
    .vgpr_spill_count: 0
    .wavefront_size: 32
    .workgroup_processor_mode: 1
  - .args:
      - .offset:         0
        .size:           1
        .value_kind:     by_value
      - .offset:         8
        .size:           8
        .value_kind:     by_value
      - .actual_access:  read_only
        .address_space:  global
        .offset:         16
        .size:           8
        .value_kind:     global_buffer
      - .address_space:  global
        .offset:         24
        .size:           8
        .value_kind:     global_buffer
      - .actual_access:  read_only
        .address_space:  global
        .offset:         32
        .size:           8
        .value_kind:     global_buffer
      - .offset:         40
        .size:           8
        .value_kind:     by_value
      - .actual_access:  read_only
        .address_space:  global
        .offset:         48
        .size:           8
        .value_kind:     global_buffer
      - .actual_access:  read_only
        .address_space:  global
        .offset:         56
        .size:           8
        .value_kind:     global_buffer
      - .actual_access:  read_only
        .address_space:  global
        .offset:         64
        .size:           8
        .value_kind:     global_buffer
      - .actual_access:  read_only
        .address_space:  global
        .offset:         72
        .size:           8
        .value_kind:     global_buffer
      - .offset:         80
        .size:           8
        .value_kind:     by_value
      - .address_space:  global
        .offset:         88
        .size:           8
        .value_kind:     global_buffer
      - .offset:         96
        .size:           4
        .value_kind:     by_value
      - .offset:         100
        .size:           1
        .value_kind:     by_value
    .group_segment_fixed_size: 4096
    .kernarg_segment_align: 8
    .kernarg_segment_size: 104
    .language:       OpenCL C
    .language_version:
      - 2
      - 0
    .max_flat_workgroup_size: 256
    .name:           _ZN9rocsparseL22csrmvn_adaptive_kernelIllaaffEEvbT_PKS1_PjPKT0_NS_24const_host_device_scalarIT4_EES3_S7_PKT1_PKT2_SA_PT3_21rocsparse_index_base_b
    .private_segment_fixed_size: 0
    .sgpr_count:     50
    .sgpr_spill_count: 0
    .symbol:         _ZN9rocsparseL22csrmvn_adaptive_kernelIllaaffEEvbT_PKS1_PjPKT0_NS_24const_host_device_scalarIT4_EES3_S7_PKT1_PKT2_SA_PT3_21rocsparse_index_base_b.kd
    .uniform_work_group_size: 1
    .uses_dynamic_stack: false
    .vgpr_count:     16
    .vgpr_spill_count: 0
    .wavefront_size: 32
    .workgroup_processor_mode: 1
  - .args:
      - .offset:         0
        .size:           1
        .value_kind:     by_value
      - .offset:         8
        .size:           8
        .value_kind:     by_value
      - .offset:         16
        .size:           8
        .value_kind:     by_value
      - .actual_access:  read_only
        .address_space:  global
        .offset:         24
        .size:           8
        .value_kind:     global_buffer
      - .offset:         32
        .size:           8
        .value_kind:     by_value
      - .actual_access:  read_only
        .address_space:  global
        .offset:         40
        .size:           8
        .value_kind:     global_buffer
      - .actual_access:  read_only
        .address_space:  global
        .offset:         48
        .size:           8
        .value_kind:     global_buffer
      - .actual_access:  read_only
        .address_space:  global
        .offset:         56
        .size:           8
        .value_kind:     global_buffer
      - .actual_access:  read_only
        .address_space:  global
        .offset:         64
        .size:           8
        .value_kind:     global_buffer
      - .offset:         72
        .size:           8
        .value_kind:     by_value
      - .address_space:  global
        .offset:         80
        .size:           8
        .value_kind:     global_buffer
      - .offset:         88
        .size:           4
        .value_kind:     by_value
      - .offset:         92
        .size:           1
        .value_kind:     by_value
      - .offset:         96
        .size:           4
        .value_kind:     hidden_block_count_x
      - .offset:         100
        .size:           4
        .value_kind:     hidden_block_count_y
      - .offset:         104
        .size:           4
        .value_kind:     hidden_block_count_z
      - .offset:         108
        .size:           2
        .value_kind:     hidden_group_size_x
      - .offset:         110
        .size:           2
        .value_kind:     hidden_group_size_y
      - .offset:         112
        .size:           2
        .value_kind:     hidden_group_size_z
      - .offset:         114
        .size:           2
        .value_kind:     hidden_remainder_x
      - .offset:         116
        .size:           2
        .value_kind:     hidden_remainder_y
      - .offset:         118
        .size:           2
        .value_kind:     hidden_remainder_z
      - .offset:         136
        .size:           8
        .value_kind:     hidden_global_offset_x
      - .offset:         144
        .size:           8
        .value_kind:     hidden_global_offset_y
      - .offset:         152
        .size:           8
        .value_kind:     hidden_global_offset_z
      - .offset:         160
        .size:           2
        .value_kind:     hidden_grid_dims
      - .offset:         216
        .size:           4
        .value_kind:     hidden_dynamic_lds_size
    .group_segment_fixed_size: 4096
    .kernarg_segment_align: 8
    .kernarg_segment_size: 352
    .language:       OpenCL C
    .language_version:
      - 2
      - 0
    .max_flat_workgroup_size: 256
    .name:           _ZN9rocsparseL27csrmvn_symm_adaptive_kernelIllaaffEEvbT_S1_PKS1_NS_24const_host_device_scalarIT4_EES3_PKT0_PKT1_PKT2_S6_PT3_21rocsparse_index_base_b
    .private_segment_fixed_size: 0
    .sgpr_count:     44
    .sgpr_spill_count: 0
    .symbol:         _ZN9rocsparseL27csrmvn_symm_adaptive_kernelIllaaffEEvbT_S1_PKS1_NS_24const_host_device_scalarIT4_EES3_PKT0_PKT1_PKT2_S6_PT3_21rocsparse_index_base_b.kd
    .uniform_work_group_size: 1
    .uses_dynamic_stack: false
    .vgpr_count:     22
    .vgpr_spill_count: 0
    .wavefront_size: 32
    .workgroup_processor_mode: 1
  - .args:
      - .offset:         0
        .size:           1
        .value_kind:     by_value
      - .offset:         8
        .size:           8
        .value_kind:     by_value
      - .actual_access:  read_only
        .address_space:  global
        .offset:         16
        .size:           8
        .value_kind:     global_buffer
      - .offset:         24
        .size:           8
        .value_kind:     by_value
      - .actual_access:  read_only
        .address_space:  global
        .offset:         32
        .size:           8
        .value_kind:     global_buffer
      - .actual_access:  read_only
        .address_space:  global
        .offset:         40
        .size:           8
        .value_kind:     global_buffer
      - .actual_access:  read_only
        .address_space:  global
        .offset:         48
        .size:           8
        .value_kind:     global_buffer
      - .actual_access:  read_only
        .address_space:  global
        .offset:         56
        .size:           8
        .value_kind:     global_buffer
      - .offset:         64
        .size:           8
        .value_kind:     by_value
      - .address_space:  global
        .offset:         72
        .size:           8
        .value_kind:     global_buffer
      - .offset:         80
        .size:           4
        .value_kind:     by_value
      - .offset:         84
        .size:           1
        .value_kind:     by_value
    .group_segment_fixed_size: 4096
    .kernarg_segment_align: 8
    .kernarg_segment_size: 88
    .language:       OpenCL C
    .language_version:
      - 2
      - 0
    .max_flat_workgroup_size: 256
    .name:           _ZL33csrmvn_symm_large_adaptive_kernelIllaaffEvbT_PKS0_N9rocsparse24const_host_device_scalarIT4_EES2_PKT0_PKT1_PKT2_S6_PT3_21rocsparse_index_base_b
    .private_segment_fixed_size: 0
    .sgpr_count:     34
    .sgpr_spill_count: 0
    .symbol:         _ZL33csrmvn_symm_large_adaptive_kernelIllaaffEvbT_PKS0_N9rocsparse24const_host_device_scalarIT4_EES2_PKT0_PKT1_PKT2_S6_PT3_21rocsparse_index_base_b.kd
    .uniform_work_group_size: 1
    .uses_dynamic_stack: false
    .vgpr_count:     13
    .vgpr_spill_count: 0
    .wavefront_size: 32
    .workgroup_processor_mode: 1
  - .args:
      - .offset:         0
        .size:           1
        .value_kind:     by_value
      - .offset:         4
        .size:           4
        .value_kind:     by_value
      - .actual_access:  read_only
        .address_space:  global
        .offset:         8
        .size:           8
        .value_kind:     global_buffer
      - .address_space:  global
        .offset:         16
        .size:           8
        .value_kind:     global_buffer
      - .actual_access:  read_only
        .address_space:  global
        .offset:         24
        .size:           8
        .value_kind:     global_buffer
      - .offset:         32
        .size:           8
        .value_kind:     by_value
      - .actual_access:  read_only
        .address_space:  global
        .offset:         40
        .size:           8
        .value_kind:     global_buffer
      - .actual_access:  read_only
        .address_space:  global
        .offset:         48
        .size:           8
        .value_kind:     global_buffer
      - .actual_access:  read_only
        .address_space:  global
        .offset:         56
        .size:           8
        .value_kind:     global_buffer
      - .actual_access:  read_only
        .address_space:  global
        .offset:         64
        .size:           8
        .value_kind:     global_buffer
      - .offset:         72
        .size:           8
        .value_kind:     by_value
      - .address_space:  global
        .offset:         80
        .size:           8
        .value_kind:     global_buffer
      - .offset:         88
        .size:           4
        .value_kind:     by_value
      - .offset:         92
        .size:           1
        .value_kind:     by_value
    .group_segment_fixed_size: 4096
    .kernarg_segment_align: 8
    .kernarg_segment_size: 96
    .language:       OpenCL C
    .language_version:
      - 2
      - 0
    .max_flat_workgroup_size: 256
    .name:           _ZN9rocsparseL22csrmvn_adaptive_kernelIiiDF16_DF16_ffEEvbT_PKS1_PjPKT0_NS_24const_host_device_scalarIT4_EES3_S7_PKT1_PKT2_SA_PT3_21rocsparse_index_base_b
    .private_segment_fixed_size: 0
    .sgpr_count:     46
    .sgpr_spill_count: 0
    .symbol:         _ZN9rocsparseL22csrmvn_adaptive_kernelIiiDF16_DF16_ffEEvbT_PKS1_PjPKT0_NS_24const_host_device_scalarIT4_EES3_S7_PKT1_PKT2_SA_PT3_21rocsparse_index_base_b.kd
    .uniform_work_group_size: 1
    .uses_dynamic_stack: false
    .vgpr_count:     16
    .vgpr_spill_count: 0
    .wavefront_size: 32
    .workgroup_processor_mode: 1
  - .args:
      - .offset:         0
        .size:           1
        .value_kind:     by_value
      - .offset:         4
        .size:           4
        .value_kind:     by_value
      - .offset:         8
        .size:           4
        .value_kind:     by_value
      - .actual_access:  read_only
        .address_space:  global
        .offset:         16
        .size:           8
        .value_kind:     global_buffer
      - .offset:         24
        .size:           8
        .value_kind:     by_value
      - .actual_access:  read_only
        .address_space:  global
        .offset:         32
        .size:           8
        .value_kind:     global_buffer
      - .actual_access:  read_only
        .address_space:  global
        .offset:         40
        .size:           8
        .value_kind:     global_buffer
      - .actual_access:  read_only
        .address_space:  global
        .offset:         48
        .size:           8
        .value_kind:     global_buffer
      - .actual_access:  read_only
        .address_space:  global
        .offset:         56
        .size:           8
        .value_kind:     global_buffer
      - .offset:         64
        .size:           8
        .value_kind:     by_value
      - .address_space:  global
        .offset:         72
        .size:           8
        .value_kind:     global_buffer
      - .offset:         80
        .size:           4
        .value_kind:     by_value
      - .offset:         84
        .size:           1
        .value_kind:     by_value
      - .offset:         88
        .size:           4
        .value_kind:     hidden_block_count_x
      - .offset:         92
        .size:           4
        .value_kind:     hidden_block_count_y
      - .offset:         96
        .size:           4
        .value_kind:     hidden_block_count_z
      - .offset:         100
        .size:           2
        .value_kind:     hidden_group_size_x
      - .offset:         102
        .size:           2
        .value_kind:     hidden_group_size_y
      - .offset:         104
        .size:           2
        .value_kind:     hidden_group_size_z
      - .offset:         106
        .size:           2
        .value_kind:     hidden_remainder_x
      - .offset:         108
        .size:           2
        .value_kind:     hidden_remainder_y
      - .offset:         110
        .size:           2
        .value_kind:     hidden_remainder_z
      - .offset:         128
        .size:           8
        .value_kind:     hidden_global_offset_x
      - .offset:         136
        .size:           8
        .value_kind:     hidden_global_offset_y
      - .offset:         144
        .size:           8
        .value_kind:     hidden_global_offset_z
      - .offset:         152
        .size:           2
        .value_kind:     hidden_grid_dims
      - .offset:         208
        .size:           4
        .value_kind:     hidden_dynamic_lds_size
    .group_segment_fixed_size: 4096
    .kernarg_segment_align: 8
    .kernarg_segment_size: 344
    .language:       OpenCL C
    .language_version:
      - 2
      - 0
    .max_flat_workgroup_size: 256
    .name:           _ZN9rocsparseL27csrmvn_symm_adaptive_kernelIiiDF16_DF16_ffEEvbT_S1_PKS1_NS_24const_host_device_scalarIT4_EES3_PKT0_PKT1_PKT2_S6_PT3_21rocsparse_index_base_b
    .private_segment_fixed_size: 0
    .sgpr_count:     32
    .sgpr_spill_count: 0
    .symbol:         _ZN9rocsparseL27csrmvn_symm_adaptive_kernelIiiDF16_DF16_ffEEvbT_S1_PKS1_NS_24const_host_device_scalarIT4_EES3_PKT0_PKT1_PKT2_S6_PT3_21rocsparse_index_base_b.kd
    .uniform_work_group_size: 1
    .uses_dynamic_stack: false
    .vgpr_count:     15
    .vgpr_spill_count: 0
    .wavefront_size: 32
    .workgroup_processor_mode: 1
  - .args:
      - .offset:         0
        .size:           1
        .value_kind:     by_value
      - .offset:         4
        .size:           4
        .value_kind:     by_value
      - .actual_access:  read_only
        .address_space:  global
        .offset:         8
        .size:           8
        .value_kind:     global_buffer
      - .offset:         16
        .size:           8
        .value_kind:     by_value
      - .actual_access:  read_only
        .address_space:  global
        .offset:         24
        .size:           8
        .value_kind:     global_buffer
      - .actual_access:  read_only
        .address_space:  global
        .offset:         32
        .size:           8
        .value_kind:     global_buffer
      - .actual_access:  read_only
        .address_space:  global
        .offset:         40
        .size:           8
        .value_kind:     global_buffer
      - .actual_access:  read_only
        .address_space:  global
        .offset:         48
        .size:           8
        .value_kind:     global_buffer
      - .offset:         56
        .size:           8
        .value_kind:     by_value
      - .address_space:  global
        .offset:         64
        .size:           8
        .value_kind:     global_buffer
      - .offset:         72
        .size:           4
        .value_kind:     by_value
      - .offset:         76
        .size:           1
        .value_kind:     by_value
    .group_segment_fixed_size: 4096
    .kernarg_segment_align: 8
    .kernarg_segment_size: 80
    .language:       OpenCL C
    .language_version:
      - 2
      - 0
    .max_flat_workgroup_size: 256
    .name:           _ZL33csrmvn_symm_large_adaptive_kernelIiiDF16_DF16_ffEvbT_PKS0_N9rocsparse24const_host_device_scalarIT4_EES2_PKT0_PKT1_PKT2_S6_PT3_21rocsparse_index_base_b
    .private_segment_fixed_size: 0
    .sgpr_count:     28
    .sgpr_spill_count: 0
    .symbol:         _ZL33csrmvn_symm_large_adaptive_kernelIiiDF16_DF16_ffEvbT_PKS0_N9rocsparse24const_host_device_scalarIT4_EES2_PKT0_PKT1_PKT2_S6_PT3_21rocsparse_index_base_b.kd
    .uniform_work_group_size: 1
    .uses_dynamic_stack: false
    .vgpr_count:     12
    .vgpr_spill_count: 0
    .wavefront_size: 32
    .workgroup_processor_mode: 1
  - .args:
      - .offset:         0
        .size:           1
        .value_kind:     by_value
      - .offset:         8
        .size:           8
        .value_kind:     by_value
      - .actual_access:  read_only
        .address_space:  global
        .offset:         16
        .size:           8
        .value_kind:     global_buffer
      - .address_space:  global
        .offset:         24
        .size:           8
        .value_kind:     global_buffer
      - .actual_access:  read_only
        .address_space:  global
        .offset:         32
        .size:           8
        .value_kind:     global_buffer
      - .offset:         40
        .size:           8
        .value_kind:     by_value
      - .actual_access:  read_only
        .address_space:  global
        .offset:         48
        .size:           8
        .value_kind:     global_buffer
      - .actual_access:  read_only
        .address_space:  global
        .offset:         56
        .size:           8
        .value_kind:     global_buffer
      - .actual_access:  read_only
        .address_space:  global
        .offset:         64
        .size:           8
        .value_kind:     global_buffer
      - .actual_access:  read_only
        .address_space:  global
        .offset:         72
        .size:           8
        .value_kind:     global_buffer
      - .offset:         80
        .size:           8
        .value_kind:     by_value
      - .address_space:  global
        .offset:         88
        .size:           8
        .value_kind:     global_buffer
      - .offset:         96
        .size:           4
        .value_kind:     by_value
      - .offset:         100
        .size:           1
        .value_kind:     by_value
    .group_segment_fixed_size: 4096
    .kernarg_segment_align: 8
    .kernarg_segment_size: 104
    .language:       OpenCL C
    .language_version:
      - 2
      - 0
    .max_flat_workgroup_size: 256
    .name:           _ZN9rocsparseL22csrmvn_adaptive_kernelIliDF16_DF16_ffEEvbT_PKS1_PjPKT0_NS_24const_host_device_scalarIT4_EES3_S7_PKT1_PKT2_SA_PT3_21rocsparse_index_base_b
    .private_segment_fixed_size: 0
    .sgpr_count:     54
    .sgpr_spill_count: 0
    .symbol:         _ZN9rocsparseL22csrmvn_adaptive_kernelIliDF16_DF16_ffEEvbT_PKS1_PjPKT0_NS_24const_host_device_scalarIT4_EES3_S7_PKT1_PKT2_SA_PT3_21rocsparse_index_base_b.kd
    .uniform_work_group_size: 1
    .uses_dynamic_stack: false
    .vgpr_count:     16
    .vgpr_spill_count: 0
    .wavefront_size: 32
    .workgroup_processor_mode: 1
  - .args:
      - .offset:         0
        .size:           1
        .value_kind:     by_value
      - .offset:         8
        .size:           8
        .value_kind:     by_value
      - .offset:         16
        .size:           8
        .value_kind:     by_value
      - .actual_access:  read_only
        .address_space:  global
        .offset:         24
        .size:           8
        .value_kind:     global_buffer
      - .offset:         32
        .size:           8
        .value_kind:     by_value
      - .actual_access:  read_only
        .address_space:  global
        .offset:         40
        .size:           8
        .value_kind:     global_buffer
      - .actual_access:  read_only
        .address_space:  global
        .offset:         48
        .size:           8
        .value_kind:     global_buffer
      - .actual_access:  read_only
        .address_space:  global
        .offset:         56
        .size:           8
        .value_kind:     global_buffer
      - .actual_access:  read_only
        .address_space:  global
        .offset:         64
        .size:           8
        .value_kind:     global_buffer
      - .offset:         72
        .size:           8
        .value_kind:     by_value
      - .address_space:  global
        .offset:         80
        .size:           8
        .value_kind:     global_buffer
      - .offset:         88
        .size:           4
        .value_kind:     by_value
      - .offset:         92
        .size:           1
        .value_kind:     by_value
      - .offset:         96
        .size:           4
        .value_kind:     hidden_block_count_x
      - .offset:         100
        .size:           4
        .value_kind:     hidden_block_count_y
      - .offset:         104
        .size:           4
        .value_kind:     hidden_block_count_z
      - .offset:         108
        .size:           2
        .value_kind:     hidden_group_size_x
      - .offset:         110
        .size:           2
        .value_kind:     hidden_group_size_y
      - .offset:         112
        .size:           2
        .value_kind:     hidden_group_size_z
      - .offset:         114
        .size:           2
        .value_kind:     hidden_remainder_x
      - .offset:         116
        .size:           2
        .value_kind:     hidden_remainder_y
      - .offset:         118
        .size:           2
        .value_kind:     hidden_remainder_z
      - .offset:         136
        .size:           8
        .value_kind:     hidden_global_offset_x
      - .offset:         144
        .size:           8
        .value_kind:     hidden_global_offset_y
      - .offset:         152
        .size:           8
        .value_kind:     hidden_global_offset_z
      - .offset:         160
        .size:           2
        .value_kind:     hidden_grid_dims
      - .offset:         216
        .size:           4
        .value_kind:     hidden_dynamic_lds_size
    .group_segment_fixed_size: 4096
    .kernarg_segment_align: 8
    .kernarg_segment_size: 352
    .language:       OpenCL C
    .language_version:
      - 2
      - 0
    .max_flat_workgroup_size: 256
    .name:           _ZN9rocsparseL27csrmvn_symm_adaptive_kernelIliDF16_DF16_ffEEvbT_S1_PKS1_NS_24const_host_device_scalarIT4_EES3_PKT0_PKT1_PKT2_S6_PT3_21rocsparse_index_base_b
    .private_segment_fixed_size: 0
    .sgpr_count:     44
    .sgpr_spill_count: 0
    .symbol:         _ZN9rocsparseL27csrmvn_symm_adaptive_kernelIliDF16_DF16_ffEEvbT_S1_PKS1_NS_24const_host_device_scalarIT4_EES3_PKT0_PKT1_PKT2_S6_PT3_21rocsparse_index_base_b.kd
    .uniform_work_group_size: 1
    .uses_dynamic_stack: false
    .vgpr_count:     22
    .vgpr_spill_count: 0
    .wavefront_size: 32
    .workgroup_processor_mode: 1
  - .args:
      - .offset:         0
        .size:           1
        .value_kind:     by_value
      - .offset:         8
        .size:           8
        .value_kind:     by_value
      - .actual_access:  read_only
        .address_space:  global
        .offset:         16
        .size:           8
        .value_kind:     global_buffer
      - .offset:         24
        .size:           8
        .value_kind:     by_value
      - .actual_access:  read_only
        .address_space:  global
        .offset:         32
        .size:           8
        .value_kind:     global_buffer
      - .actual_access:  read_only
        .address_space:  global
        .offset:         40
        .size:           8
        .value_kind:     global_buffer
      - .actual_access:  read_only
        .address_space:  global
        .offset:         48
        .size:           8
        .value_kind:     global_buffer
      - .actual_access:  read_only
        .address_space:  global
        .offset:         56
        .size:           8
        .value_kind:     global_buffer
      - .offset:         64
        .size:           8
        .value_kind:     by_value
      - .address_space:  global
        .offset:         72
        .size:           8
        .value_kind:     global_buffer
      - .offset:         80
        .size:           4
        .value_kind:     by_value
      - .offset:         84
        .size:           1
        .value_kind:     by_value
    .group_segment_fixed_size: 4096
    .kernarg_segment_align: 8
    .kernarg_segment_size: 88
    .language:       OpenCL C
    .language_version:
      - 2
      - 0
    .max_flat_workgroup_size: 256
    .name:           _ZL33csrmvn_symm_large_adaptive_kernelIliDF16_DF16_ffEvbT_PKS0_N9rocsparse24const_host_device_scalarIT4_EES2_PKT0_PKT1_PKT2_S6_PT3_21rocsparse_index_base_b
    .private_segment_fixed_size: 0
    .sgpr_count:     34
    .sgpr_spill_count: 0
    .symbol:         _ZL33csrmvn_symm_large_adaptive_kernelIliDF16_DF16_ffEvbT_PKS0_N9rocsparse24const_host_device_scalarIT4_EES2_PKT0_PKT1_PKT2_S6_PT3_21rocsparse_index_base_b.kd
    .uniform_work_group_size: 1
    .uses_dynamic_stack: false
    .vgpr_count:     14
    .vgpr_spill_count: 0
    .wavefront_size: 32
    .workgroup_processor_mode: 1
  - .args:
      - .offset:         0
        .size:           1
        .value_kind:     by_value
      - .offset:         8
        .size:           8
        .value_kind:     by_value
      - .actual_access:  read_only
        .address_space:  global
        .offset:         16
        .size:           8
        .value_kind:     global_buffer
      - .address_space:  global
        .offset:         24
        .size:           8
        .value_kind:     global_buffer
      - .actual_access:  read_only
        .address_space:  global
        .offset:         32
        .size:           8
        .value_kind:     global_buffer
      - .offset:         40
        .size:           8
        .value_kind:     by_value
      - .actual_access:  read_only
        .address_space:  global
        .offset:         48
        .size:           8
        .value_kind:     global_buffer
      - .actual_access:  read_only
        .address_space:  global
        .offset:         56
        .size:           8
        .value_kind:     global_buffer
      - .actual_access:  read_only
        .address_space:  global
        .offset:         64
        .size:           8
        .value_kind:     global_buffer
      - .actual_access:  read_only
        .address_space:  global
        .offset:         72
        .size:           8
        .value_kind:     global_buffer
      - .offset:         80
        .size:           8
        .value_kind:     by_value
      - .address_space:  global
        .offset:         88
        .size:           8
        .value_kind:     global_buffer
      - .offset:         96
        .size:           4
        .value_kind:     by_value
      - .offset:         100
        .size:           1
        .value_kind:     by_value
    .group_segment_fixed_size: 4096
    .kernarg_segment_align: 8
    .kernarg_segment_size: 104
    .language:       OpenCL C
    .language_version:
      - 2
      - 0
    .max_flat_workgroup_size: 256
    .name:           _ZN9rocsparseL22csrmvn_adaptive_kernelIllDF16_DF16_ffEEvbT_PKS1_PjPKT0_NS_24const_host_device_scalarIT4_EES3_S7_PKT1_PKT2_SA_PT3_21rocsparse_index_base_b
    .private_segment_fixed_size: 0
    .sgpr_count:     50
    .sgpr_spill_count: 0
    .symbol:         _ZN9rocsparseL22csrmvn_adaptive_kernelIllDF16_DF16_ffEEvbT_PKS1_PjPKT0_NS_24const_host_device_scalarIT4_EES3_S7_PKT1_PKT2_SA_PT3_21rocsparse_index_base_b.kd
    .uniform_work_group_size: 1
    .uses_dynamic_stack: false
    .vgpr_count:     16
    .vgpr_spill_count: 0
    .wavefront_size: 32
    .workgroup_processor_mode: 1
  - .args:
      - .offset:         0
        .size:           1
        .value_kind:     by_value
      - .offset:         8
        .size:           8
        .value_kind:     by_value
      - .offset:         16
        .size:           8
        .value_kind:     by_value
      - .actual_access:  read_only
        .address_space:  global
        .offset:         24
        .size:           8
        .value_kind:     global_buffer
      - .offset:         32
        .size:           8
        .value_kind:     by_value
      - .actual_access:  read_only
        .address_space:  global
        .offset:         40
        .size:           8
        .value_kind:     global_buffer
      - .actual_access:  read_only
        .address_space:  global
        .offset:         48
        .size:           8
        .value_kind:     global_buffer
      - .actual_access:  read_only
        .address_space:  global
        .offset:         56
        .size:           8
        .value_kind:     global_buffer
      - .actual_access:  read_only
        .address_space:  global
        .offset:         64
        .size:           8
        .value_kind:     global_buffer
      - .offset:         72
        .size:           8
        .value_kind:     by_value
      - .address_space:  global
        .offset:         80
        .size:           8
        .value_kind:     global_buffer
      - .offset:         88
        .size:           4
        .value_kind:     by_value
      - .offset:         92
        .size:           1
        .value_kind:     by_value
      - .offset:         96
        .size:           4
        .value_kind:     hidden_block_count_x
      - .offset:         100
        .size:           4
        .value_kind:     hidden_block_count_y
      - .offset:         104
        .size:           4
        .value_kind:     hidden_block_count_z
      - .offset:         108
        .size:           2
        .value_kind:     hidden_group_size_x
      - .offset:         110
        .size:           2
        .value_kind:     hidden_group_size_y
      - .offset:         112
        .size:           2
        .value_kind:     hidden_group_size_z
      - .offset:         114
        .size:           2
        .value_kind:     hidden_remainder_x
      - .offset:         116
        .size:           2
        .value_kind:     hidden_remainder_y
      - .offset:         118
        .size:           2
        .value_kind:     hidden_remainder_z
      - .offset:         136
        .size:           8
        .value_kind:     hidden_global_offset_x
      - .offset:         144
        .size:           8
        .value_kind:     hidden_global_offset_y
      - .offset:         152
        .size:           8
        .value_kind:     hidden_global_offset_z
      - .offset:         160
        .size:           2
        .value_kind:     hidden_grid_dims
      - .offset:         216
        .size:           4
        .value_kind:     hidden_dynamic_lds_size
    .group_segment_fixed_size: 4096
    .kernarg_segment_align: 8
    .kernarg_segment_size: 352
    .language:       OpenCL C
    .language_version:
      - 2
      - 0
    .max_flat_workgroup_size: 256
    .name:           _ZN9rocsparseL27csrmvn_symm_adaptive_kernelIllDF16_DF16_ffEEvbT_S1_PKS1_NS_24const_host_device_scalarIT4_EES3_PKT0_PKT1_PKT2_S6_PT3_21rocsparse_index_base_b
    .private_segment_fixed_size: 0
    .sgpr_count:     44
    .sgpr_spill_count: 0
    .symbol:         _ZN9rocsparseL27csrmvn_symm_adaptive_kernelIllDF16_DF16_ffEEvbT_S1_PKS1_NS_24const_host_device_scalarIT4_EES3_PKT0_PKT1_PKT2_S6_PT3_21rocsparse_index_base_b.kd
    .uniform_work_group_size: 1
    .uses_dynamic_stack: false
    .vgpr_count:     22
    .vgpr_spill_count: 0
    .wavefront_size: 32
    .workgroup_processor_mode: 1
  - .args:
      - .offset:         0
        .size:           1
        .value_kind:     by_value
      - .offset:         8
        .size:           8
        .value_kind:     by_value
      - .actual_access:  read_only
        .address_space:  global
        .offset:         16
        .size:           8
        .value_kind:     global_buffer
      - .offset:         24
        .size:           8
        .value_kind:     by_value
      - .actual_access:  read_only
        .address_space:  global
        .offset:         32
        .size:           8
        .value_kind:     global_buffer
      - .actual_access:  read_only
        .address_space:  global
        .offset:         40
        .size:           8
        .value_kind:     global_buffer
      - .actual_access:  read_only
        .address_space:  global
        .offset:         48
        .size:           8
        .value_kind:     global_buffer
      - .actual_access:  read_only
        .address_space:  global
        .offset:         56
        .size:           8
        .value_kind:     global_buffer
      - .offset:         64
        .size:           8
        .value_kind:     by_value
      - .address_space:  global
        .offset:         72
        .size:           8
        .value_kind:     global_buffer
      - .offset:         80
        .size:           4
        .value_kind:     by_value
      - .offset:         84
        .size:           1
        .value_kind:     by_value
    .group_segment_fixed_size: 4096
    .kernarg_segment_align: 8
    .kernarg_segment_size: 88
    .language:       OpenCL C
    .language_version:
      - 2
      - 0
    .max_flat_workgroup_size: 256
    .name:           _ZL33csrmvn_symm_large_adaptive_kernelIllDF16_DF16_ffEvbT_PKS0_N9rocsparse24const_host_device_scalarIT4_EES2_PKT0_PKT1_PKT2_S6_PT3_21rocsparse_index_base_b
    .private_segment_fixed_size: 0
    .sgpr_count:     34
    .sgpr_spill_count: 0
    .symbol:         _ZL33csrmvn_symm_large_adaptive_kernelIllDF16_DF16_ffEvbT_PKS0_N9rocsparse24const_host_device_scalarIT4_EES2_PKT0_PKT1_PKT2_S6_PT3_21rocsparse_index_base_b.kd
    .uniform_work_group_size: 1
    .uses_dynamic_stack: false
    .vgpr_count:     14
    .vgpr_spill_count: 0
    .wavefront_size: 32
    .workgroup_processor_mode: 1
  - .args:
      - .offset:         0
        .size:           1
        .value_kind:     by_value
      - .offset:         4
        .size:           4
        .value_kind:     by_value
      - .actual_access:  read_only
        .address_space:  global
        .offset:         8
        .size:           8
        .value_kind:     global_buffer
      - .address_space:  global
        .offset:         16
        .size:           8
        .value_kind:     global_buffer
      - .actual_access:  read_only
        .address_space:  global
        .offset:         24
        .size:           8
        .value_kind:     global_buffer
      - .offset:         32
        .size:           8
        .value_kind:     by_value
      - .actual_access:  read_only
        .address_space:  global
        .offset:         40
        .size:           8
        .value_kind:     global_buffer
      - .actual_access:  read_only
        .address_space:  global
        .offset:         48
        .size:           8
        .value_kind:     global_buffer
      - .actual_access:  read_only
        .address_space:  global
        .offset:         56
        .size:           8
        .value_kind:     global_buffer
      - .actual_access:  read_only
        .address_space:  global
        .offset:         64
        .size:           8
        .value_kind:     global_buffer
      - .offset:         72
        .size:           8
        .value_kind:     by_value
      - .address_space:  global
        .offset:         80
        .size:           8
        .value_kind:     global_buffer
      - .offset:         88
        .size:           4
        .value_kind:     by_value
      - .offset:         92
        .size:           1
        .value_kind:     by_value
    .group_segment_fixed_size: 4096
    .kernarg_segment_align: 8
    .kernarg_segment_size: 96
    .language:       OpenCL C
    .language_version:
      - 2
      - 0
    .max_flat_workgroup_size: 256
    .name:           _ZN9rocsparseL22csrmvn_adaptive_kernelIii18rocsparse_bfloat16S1_ffEEvbT_PKS2_PjPKT0_NS_24const_host_device_scalarIT4_EES4_S8_PKT1_PKT2_SB_PT3_21rocsparse_index_base_b
    .private_segment_fixed_size: 0
    .sgpr_count:     46
    .sgpr_spill_count: 0
    .symbol:         _ZN9rocsparseL22csrmvn_adaptive_kernelIii18rocsparse_bfloat16S1_ffEEvbT_PKS2_PjPKT0_NS_24const_host_device_scalarIT4_EES4_S8_PKT1_PKT2_SB_PT3_21rocsparse_index_base_b.kd
    .uniform_work_group_size: 1
    .uses_dynamic_stack: false
    .vgpr_count:     16
    .vgpr_spill_count: 0
    .wavefront_size: 32
    .workgroup_processor_mode: 1
  - .args:
      - .offset:         0
        .size:           1
        .value_kind:     by_value
      - .offset:         4
        .size:           4
        .value_kind:     by_value
      - .offset:         8
        .size:           4
        .value_kind:     by_value
      - .actual_access:  read_only
        .address_space:  global
        .offset:         16
        .size:           8
        .value_kind:     global_buffer
      - .offset:         24
        .size:           8
        .value_kind:     by_value
      - .actual_access:  read_only
        .address_space:  global
        .offset:         32
        .size:           8
        .value_kind:     global_buffer
      - .actual_access:  read_only
        .address_space:  global
        .offset:         40
        .size:           8
        .value_kind:     global_buffer
      - .actual_access:  read_only
        .address_space:  global
        .offset:         48
        .size:           8
        .value_kind:     global_buffer
      - .actual_access:  read_only
        .address_space:  global
        .offset:         56
        .size:           8
        .value_kind:     global_buffer
      - .offset:         64
        .size:           8
        .value_kind:     by_value
      - .address_space:  global
        .offset:         72
        .size:           8
        .value_kind:     global_buffer
      - .offset:         80
        .size:           4
        .value_kind:     by_value
      - .offset:         84
        .size:           1
        .value_kind:     by_value
      - .offset:         88
        .size:           4
        .value_kind:     hidden_block_count_x
      - .offset:         92
        .size:           4
        .value_kind:     hidden_block_count_y
      - .offset:         96
        .size:           4
        .value_kind:     hidden_block_count_z
      - .offset:         100
        .size:           2
        .value_kind:     hidden_group_size_x
      - .offset:         102
        .size:           2
        .value_kind:     hidden_group_size_y
      - .offset:         104
        .size:           2
        .value_kind:     hidden_group_size_z
      - .offset:         106
        .size:           2
        .value_kind:     hidden_remainder_x
      - .offset:         108
        .size:           2
        .value_kind:     hidden_remainder_y
      - .offset:         110
        .size:           2
        .value_kind:     hidden_remainder_z
      - .offset:         128
        .size:           8
        .value_kind:     hidden_global_offset_x
      - .offset:         136
        .size:           8
        .value_kind:     hidden_global_offset_y
      - .offset:         144
        .size:           8
        .value_kind:     hidden_global_offset_z
      - .offset:         152
        .size:           2
        .value_kind:     hidden_grid_dims
      - .offset:         208
        .size:           4
        .value_kind:     hidden_dynamic_lds_size
    .group_segment_fixed_size: 4096
    .kernarg_segment_align: 8
    .kernarg_segment_size: 344
    .language:       OpenCL C
    .language_version:
      - 2
      - 0
    .max_flat_workgroup_size: 256
    .name:           _ZN9rocsparseL27csrmvn_symm_adaptive_kernelIii18rocsparse_bfloat16S1_ffEEvbT_S2_PKS2_NS_24const_host_device_scalarIT4_EES4_PKT0_PKT1_PKT2_S7_PT3_21rocsparse_index_base_b
    .private_segment_fixed_size: 0
    .sgpr_count:     32
    .sgpr_spill_count: 0
    .symbol:         _ZN9rocsparseL27csrmvn_symm_adaptive_kernelIii18rocsparse_bfloat16S1_ffEEvbT_S2_PKS2_NS_24const_host_device_scalarIT4_EES4_PKT0_PKT1_PKT2_S7_PT3_21rocsparse_index_base_b.kd
    .uniform_work_group_size: 1
    .uses_dynamic_stack: false
    .vgpr_count:     15
    .vgpr_spill_count: 0
    .wavefront_size: 32
    .workgroup_processor_mode: 1
  - .args:
      - .offset:         0
        .size:           1
        .value_kind:     by_value
      - .offset:         4
        .size:           4
        .value_kind:     by_value
      - .actual_access:  read_only
        .address_space:  global
        .offset:         8
        .size:           8
        .value_kind:     global_buffer
      - .offset:         16
        .size:           8
        .value_kind:     by_value
      - .actual_access:  read_only
        .address_space:  global
        .offset:         24
        .size:           8
        .value_kind:     global_buffer
      - .actual_access:  read_only
        .address_space:  global
        .offset:         32
        .size:           8
        .value_kind:     global_buffer
      - .actual_access:  read_only
        .address_space:  global
        .offset:         40
        .size:           8
        .value_kind:     global_buffer
      - .actual_access:  read_only
        .address_space:  global
        .offset:         48
        .size:           8
        .value_kind:     global_buffer
      - .offset:         56
        .size:           8
        .value_kind:     by_value
      - .address_space:  global
        .offset:         64
        .size:           8
        .value_kind:     global_buffer
      - .offset:         72
        .size:           4
        .value_kind:     by_value
      - .offset:         76
        .size:           1
        .value_kind:     by_value
    .group_segment_fixed_size: 4096
    .kernarg_segment_align: 8
    .kernarg_segment_size: 80
    .language:       OpenCL C
    .language_version:
      - 2
      - 0
    .max_flat_workgroup_size: 256
    .name:           _ZL33csrmvn_symm_large_adaptive_kernelIii18rocsparse_bfloat16S0_ffEvbT_PKS1_N9rocsparse24const_host_device_scalarIT4_EES3_PKT0_PKT1_PKT2_S7_PT3_21rocsparse_index_base_b
    .private_segment_fixed_size: 0
    .sgpr_count:     28
    .sgpr_spill_count: 0
    .symbol:         _ZL33csrmvn_symm_large_adaptive_kernelIii18rocsparse_bfloat16S0_ffEvbT_PKS1_N9rocsparse24const_host_device_scalarIT4_EES3_PKT0_PKT1_PKT2_S7_PT3_21rocsparse_index_base_b.kd
    .uniform_work_group_size: 1
    .uses_dynamic_stack: false
    .vgpr_count:     12
    .vgpr_spill_count: 0
    .wavefront_size: 32
    .workgroup_processor_mode: 1
  - .args:
      - .offset:         0
        .size:           1
        .value_kind:     by_value
      - .offset:         8
        .size:           8
        .value_kind:     by_value
      - .actual_access:  read_only
        .address_space:  global
        .offset:         16
        .size:           8
        .value_kind:     global_buffer
      - .address_space:  global
        .offset:         24
        .size:           8
        .value_kind:     global_buffer
      - .actual_access:  read_only
        .address_space:  global
        .offset:         32
        .size:           8
        .value_kind:     global_buffer
      - .offset:         40
        .size:           8
        .value_kind:     by_value
      - .actual_access:  read_only
        .address_space:  global
        .offset:         48
        .size:           8
        .value_kind:     global_buffer
      - .actual_access:  read_only
        .address_space:  global
        .offset:         56
        .size:           8
        .value_kind:     global_buffer
      - .actual_access:  read_only
        .address_space:  global
        .offset:         64
        .size:           8
        .value_kind:     global_buffer
      - .actual_access:  read_only
        .address_space:  global
        .offset:         72
        .size:           8
        .value_kind:     global_buffer
      - .offset:         80
        .size:           8
        .value_kind:     by_value
      - .address_space:  global
        .offset:         88
        .size:           8
        .value_kind:     global_buffer
      - .offset:         96
        .size:           4
        .value_kind:     by_value
      - .offset:         100
        .size:           1
        .value_kind:     by_value
    .group_segment_fixed_size: 4096
    .kernarg_segment_align: 8
    .kernarg_segment_size: 104
    .language:       OpenCL C
    .language_version:
      - 2
      - 0
    .max_flat_workgroup_size: 256
    .name:           _ZN9rocsparseL22csrmvn_adaptive_kernelIli18rocsparse_bfloat16S1_ffEEvbT_PKS2_PjPKT0_NS_24const_host_device_scalarIT4_EES4_S8_PKT1_PKT2_SB_PT3_21rocsparse_index_base_b
    .private_segment_fixed_size: 0
    .sgpr_count:     54
    .sgpr_spill_count: 0
    .symbol:         _ZN9rocsparseL22csrmvn_adaptive_kernelIli18rocsparse_bfloat16S1_ffEEvbT_PKS2_PjPKT0_NS_24const_host_device_scalarIT4_EES4_S8_PKT1_PKT2_SB_PT3_21rocsparse_index_base_b.kd
    .uniform_work_group_size: 1
    .uses_dynamic_stack: false
    .vgpr_count:     16
    .vgpr_spill_count: 0
    .wavefront_size: 32
    .workgroup_processor_mode: 1
  - .args:
      - .offset:         0
        .size:           1
        .value_kind:     by_value
      - .offset:         8
        .size:           8
        .value_kind:     by_value
      - .offset:         16
        .size:           8
        .value_kind:     by_value
      - .actual_access:  read_only
        .address_space:  global
        .offset:         24
        .size:           8
        .value_kind:     global_buffer
      - .offset:         32
        .size:           8
        .value_kind:     by_value
      - .actual_access:  read_only
        .address_space:  global
        .offset:         40
        .size:           8
        .value_kind:     global_buffer
      - .actual_access:  read_only
        .address_space:  global
        .offset:         48
        .size:           8
        .value_kind:     global_buffer
      - .actual_access:  read_only
        .address_space:  global
        .offset:         56
        .size:           8
        .value_kind:     global_buffer
      - .actual_access:  read_only
        .address_space:  global
        .offset:         64
        .size:           8
        .value_kind:     global_buffer
      - .offset:         72
        .size:           8
        .value_kind:     by_value
      - .address_space:  global
        .offset:         80
        .size:           8
        .value_kind:     global_buffer
      - .offset:         88
        .size:           4
        .value_kind:     by_value
      - .offset:         92
        .size:           1
        .value_kind:     by_value
      - .offset:         96
        .size:           4
        .value_kind:     hidden_block_count_x
      - .offset:         100
        .size:           4
        .value_kind:     hidden_block_count_y
      - .offset:         104
        .size:           4
        .value_kind:     hidden_block_count_z
      - .offset:         108
        .size:           2
        .value_kind:     hidden_group_size_x
      - .offset:         110
        .size:           2
        .value_kind:     hidden_group_size_y
      - .offset:         112
        .size:           2
        .value_kind:     hidden_group_size_z
      - .offset:         114
        .size:           2
        .value_kind:     hidden_remainder_x
      - .offset:         116
        .size:           2
        .value_kind:     hidden_remainder_y
      - .offset:         118
        .size:           2
        .value_kind:     hidden_remainder_z
      - .offset:         136
        .size:           8
        .value_kind:     hidden_global_offset_x
      - .offset:         144
        .size:           8
        .value_kind:     hidden_global_offset_y
      - .offset:         152
        .size:           8
        .value_kind:     hidden_global_offset_z
      - .offset:         160
        .size:           2
        .value_kind:     hidden_grid_dims
      - .offset:         216
        .size:           4
        .value_kind:     hidden_dynamic_lds_size
    .group_segment_fixed_size: 4096
    .kernarg_segment_align: 8
    .kernarg_segment_size: 352
    .language:       OpenCL C
    .language_version:
      - 2
      - 0
    .max_flat_workgroup_size: 256
    .name:           _ZN9rocsparseL27csrmvn_symm_adaptive_kernelIli18rocsparse_bfloat16S1_ffEEvbT_S2_PKS2_NS_24const_host_device_scalarIT4_EES4_PKT0_PKT1_PKT2_S7_PT3_21rocsparse_index_base_b
    .private_segment_fixed_size: 0
    .sgpr_count:     44
    .sgpr_spill_count: 0
    .symbol:         _ZN9rocsparseL27csrmvn_symm_adaptive_kernelIli18rocsparse_bfloat16S1_ffEEvbT_S2_PKS2_NS_24const_host_device_scalarIT4_EES4_PKT0_PKT1_PKT2_S7_PT3_21rocsparse_index_base_b.kd
    .uniform_work_group_size: 1
    .uses_dynamic_stack: false
    .vgpr_count:     22
    .vgpr_spill_count: 0
    .wavefront_size: 32
    .workgroup_processor_mode: 1
  - .args:
      - .offset:         0
        .size:           1
        .value_kind:     by_value
      - .offset:         8
        .size:           8
        .value_kind:     by_value
      - .actual_access:  read_only
        .address_space:  global
        .offset:         16
        .size:           8
        .value_kind:     global_buffer
      - .offset:         24
        .size:           8
        .value_kind:     by_value
      - .actual_access:  read_only
        .address_space:  global
        .offset:         32
        .size:           8
        .value_kind:     global_buffer
      - .actual_access:  read_only
        .address_space:  global
        .offset:         40
        .size:           8
        .value_kind:     global_buffer
      - .actual_access:  read_only
        .address_space:  global
        .offset:         48
        .size:           8
        .value_kind:     global_buffer
      - .actual_access:  read_only
        .address_space:  global
        .offset:         56
        .size:           8
        .value_kind:     global_buffer
      - .offset:         64
        .size:           8
        .value_kind:     by_value
      - .address_space:  global
        .offset:         72
        .size:           8
        .value_kind:     global_buffer
      - .offset:         80
        .size:           4
        .value_kind:     by_value
      - .offset:         84
        .size:           1
        .value_kind:     by_value
    .group_segment_fixed_size: 4096
    .kernarg_segment_align: 8
    .kernarg_segment_size: 88
    .language:       OpenCL C
    .language_version:
      - 2
      - 0
    .max_flat_workgroup_size: 256
    .name:           _ZL33csrmvn_symm_large_adaptive_kernelIli18rocsparse_bfloat16S0_ffEvbT_PKS1_N9rocsparse24const_host_device_scalarIT4_EES3_PKT0_PKT1_PKT2_S7_PT3_21rocsparse_index_base_b
    .private_segment_fixed_size: 0
    .sgpr_count:     34
    .sgpr_spill_count: 0
    .symbol:         _ZL33csrmvn_symm_large_adaptive_kernelIli18rocsparse_bfloat16S0_ffEvbT_PKS1_N9rocsparse24const_host_device_scalarIT4_EES3_PKT0_PKT1_PKT2_S7_PT3_21rocsparse_index_base_b.kd
    .uniform_work_group_size: 1
    .uses_dynamic_stack: false
    .vgpr_count:     14
    .vgpr_spill_count: 0
    .wavefront_size: 32
    .workgroup_processor_mode: 1
  - .args:
      - .offset:         0
        .size:           1
        .value_kind:     by_value
      - .offset:         8
        .size:           8
        .value_kind:     by_value
      - .actual_access:  read_only
        .address_space:  global
        .offset:         16
        .size:           8
        .value_kind:     global_buffer
      - .address_space:  global
        .offset:         24
        .size:           8
        .value_kind:     global_buffer
      - .actual_access:  read_only
        .address_space:  global
        .offset:         32
        .size:           8
        .value_kind:     global_buffer
      - .offset:         40
        .size:           8
        .value_kind:     by_value
      - .actual_access:  read_only
        .address_space:  global
        .offset:         48
        .size:           8
        .value_kind:     global_buffer
      - .actual_access:  read_only
        .address_space:  global
        .offset:         56
        .size:           8
        .value_kind:     global_buffer
      - .actual_access:  read_only
        .address_space:  global
        .offset:         64
        .size:           8
        .value_kind:     global_buffer
      - .actual_access:  read_only
        .address_space:  global
        .offset:         72
        .size:           8
        .value_kind:     global_buffer
      - .offset:         80
        .size:           8
        .value_kind:     by_value
      - .address_space:  global
        .offset:         88
        .size:           8
        .value_kind:     global_buffer
      - .offset:         96
        .size:           4
        .value_kind:     by_value
      - .offset:         100
        .size:           1
        .value_kind:     by_value
    .group_segment_fixed_size: 4096
    .kernarg_segment_align: 8
    .kernarg_segment_size: 104
    .language:       OpenCL C
    .language_version:
      - 2
      - 0
    .max_flat_workgroup_size: 256
    .name:           _ZN9rocsparseL22csrmvn_adaptive_kernelIll18rocsparse_bfloat16S1_ffEEvbT_PKS2_PjPKT0_NS_24const_host_device_scalarIT4_EES4_S8_PKT1_PKT2_SB_PT3_21rocsparse_index_base_b
    .private_segment_fixed_size: 0
    .sgpr_count:     50
    .sgpr_spill_count: 0
    .symbol:         _ZN9rocsparseL22csrmvn_adaptive_kernelIll18rocsparse_bfloat16S1_ffEEvbT_PKS2_PjPKT0_NS_24const_host_device_scalarIT4_EES4_S8_PKT1_PKT2_SB_PT3_21rocsparse_index_base_b.kd
    .uniform_work_group_size: 1
    .uses_dynamic_stack: false
    .vgpr_count:     16
    .vgpr_spill_count: 0
    .wavefront_size: 32
    .workgroup_processor_mode: 1
  - .args:
      - .offset:         0
        .size:           1
        .value_kind:     by_value
      - .offset:         8
        .size:           8
        .value_kind:     by_value
      - .offset:         16
        .size:           8
        .value_kind:     by_value
      - .actual_access:  read_only
        .address_space:  global
        .offset:         24
        .size:           8
        .value_kind:     global_buffer
      - .offset:         32
        .size:           8
        .value_kind:     by_value
      - .actual_access:  read_only
        .address_space:  global
        .offset:         40
        .size:           8
        .value_kind:     global_buffer
      - .actual_access:  read_only
        .address_space:  global
        .offset:         48
        .size:           8
        .value_kind:     global_buffer
      - .actual_access:  read_only
        .address_space:  global
        .offset:         56
        .size:           8
        .value_kind:     global_buffer
      - .actual_access:  read_only
        .address_space:  global
        .offset:         64
        .size:           8
        .value_kind:     global_buffer
      - .offset:         72
        .size:           8
        .value_kind:     by_value
      - .address_space:  global
        .offset:         80
        .size:           8
        .value_kind:     global_buffer
      - .offset:         88
        .size:           4
        .value_kind:     by_value
      - .offset:         92
        .size:           1
        .value_kind:     by_value
      - .offset:         96
        .size:           4
        .value_kind:     hidden_block_count_x
      - .offset:         100
        .size:           4
        .value_kind:     hidden_block_count_y
      - .offset:         104
        .size:           4
        .value_kind:     hidden_block_count_z
      - .offset:         108
        .size:           2
        .value_kind:     hidden_group_size_x
      - .offset:         110
        .size:           2
        .value_kind:     hidden_group_size_y
      - .offset:         112
        .size:           2
        .value_kind:     hidden_group_size_z
      - .offset:         114
        .size:           2
        .value_kind:     hidden_remainder_x
      - .offset:         116
        .size:           2
        .value_kind:     hidden_remainder_y
      - .offset:         118
        .size:           2
        .value_kind:     hidden_remainder_z
      - .offset:         136
        .size:           8
        .value_kind:     hidden_global_offset_x
      - .offset:         144
        .size:           8
        .value_kind:     hidden_global_offset_y
      - .offset:         152
        .size:           8
        .value_kind:     hidden_global_offset_z
      - .offset:         160
        .size:           2
        .value_kind:     hidden_grid_dims
      - .offset:         216
        .size:           4
        .value_kind:     hidden_dynamic_lds_size
    .group_segment_fixed_size: 4096
    .kernarg_segment_align: 8
    .kernarg_segment_size: 352
    .language:       OpenCL C
    .language_version:
      - 2
      - 0
    .max_flat_workgroup_size: 256
    .name:           _ZN9rocsparseL27csrmvn_symm_adaptive_kernelIll18rocsparse_bfloat16S1_ffEEvbT_S2_PKS2_NS_24const_host_device_scalarIT4_EES4_PKT0_PKT1_PKT2_S7_PT3_21rocsparse_index_base_b
    .private_segment_fixed_size: 0
    .sgpr_count:     44
    .sgpr_spill_count: 0
    .symbol:         _ZN9rocsparseL27csrmvn_symm_adaptive_kernelIll18rocsparse_bfloat16S1_ffEEvbT_S2_PKS2_NS_24const_host_device_scalarIT4_EES4_PKT0_PKT1_PKT2_S7_PT3_21rocsparse_index_base_b.kd
    .uniform_work_group_size: 1
    .uses_dynamic_stack: false
    .vgpr_count:     22
    .vgpr_spill_count: 0
    .wavefront_size: 32
    .workgroup_processor_mode: 1
  - .args:
      - .offset:         0
        .size:           1
        .value_kind:     by_value
      - .offset:         8
        .size:           8
        .value_kind:     by_value
      - .actual_access:  read_only
        .address_space:  global
        .offset:         16
        .size:           8
        .value_kind:     global_buffer
      - .offset:         24
        .size:           8
        .value_kind:     by_value
      - .actual_access:  read_only
        .address_space:  global
        .offset:         32
        .size:           8
        .value_kind:     global_buffer
      - .actual_access:  read_only
        .address_space:  global
        .offset:         40
        .size:           8
        .value_kind:     global_buffer
      - .actual_access:  read_only
        .address_space:  global
        .offset:         48
        .size:           8
        .value_kind:     global_buffer
      - .actual_access:  read_only
        .address_space:  global
        .offset:         56
        .size:           8
        .value_kind:     global_buffer
      - .offset:         64
        .size:           8
        .value_kind:     by_value
      - .address_space:  global
        .offset:         72
        .size:           8
        .value_kind:     global_buffer
      - .offset:         80
        .size:           4
        .value_kind:     by_value
      - .offset:         84
        .size:           1
        .value_kind:     by_value
    .group_segment_fixed_size: 4096
    .kernarg_segment_align: 8
    .kernarg_segment_size: 88
    .language:       OpenCL C
    .language_version:
      - 2
      - 0
    .max_flat_workgroup_size: 256
    .name:           _ZL33csrmvn_symm_large_adaptive_kernelIll18rocsparse_bfloat16S0_ffEvbT_PKS1_N9rocsparse24const_host_device_scalarIT4_EES3_PKT0_PKT1_PKT2_S7_PT3_21rocsparse_index_base_b
    .private_segment_fixed_size: 0
    .sgpr_count:     34
    .sgpr_spill_count: 0
    .symbol:         _ZL33csrmvn_symm_large_adaptive_kernelIll18rocsparse_bfloat16S0_ffEvbT_PKS1_N9rocsparse24const_host_device_scalarIT4_EES3_PKT0_PKT1_PKT2_S7_PT3_21rocsparse_index_base_b.kd
    .uniform_work_group_size: 1
    .uses_dynamic_stack: false
    .vgpr_count:     14
    .vgpr_spill_count: 0
    .wavefront_size: 32
    .workgroup_processor_mode: 1
  - .args:
      - .offset:         0
        .size:           1
        .value_kind:     by_value
      - .offset:         4
        .size:           4
        .value_kind:     by_value
      - .actual_access:  read_only
        .address_space:  global
        .offset:         8
        .size:           8
        .value_kind:     global_buffer
      - .address_space:  global
        .offset:         16
        .size:           8
        .value_kind:     global_buffer
      - .actual_access:  read_only
        .address_space:  global
        .offset:         24
        .size:           8
        .value_kind:     global_buffer
      - .offset:         32
        .size:           8
        .value_kind:     by_value
      - .actual_access:  read_only
        .address_space:  global
        .offset:         40
        .size:           8
        .value_kind:     global_buffer
      - .actual_access:  read_only
        .address_space:  global
        .offset:         48
        .size:           8
        .value_kind:     global_buffer
      - .actual_access:  read_only
        .address_space:  global
        .offset:         56
        .size:           8
        .value_kind:     global_buffer
      - .actual_access:  read_only
        .address_space:  global
        .offset:         64
        .size:           8
        .value_kind:     global_buffer
      - .offset:         72
        .size:           8
        .value_kind:     by_value
      - .address_space:  global
        .offset:         80
        .size:           8
        .value_kind:     global_buffer
      - .offset:         88
        .size:           4
        .value_kind:     by_value
      - .offset:         92
        .size:           1
        .value_kind:     by_value
    .group_segment_fixed_size: 8192
    .kernarg_segment_align: 8
    .kernarg_segment_size: 96
    .language:       OpenCL C
    .language_version:
      - 2
      - 0
    .max_flat_workgroup_size: 256
    .name:           _ZN9rocsparseL22csrmvn_adaptive_kernelIiif21rocsparse_complex_numIfES2_S2_EEvbT_PKS3_PjPKT0_NS_24const_host_device_scalarIT4_EES5_S9_PKT1_PKT2_SC_PT3_21rocsparse_index_base_b
    .private_segment_fixed_size: 0
    .sgpr_count:     42
    .sgpr_spill_count: 0
    .symbol:         _ZN9rocsparseL22csrmvn_adaptive_kernelIiif21rocsparse_complex_numIfES2_S2_EEvbT_PKS3_PjPKT0_NS_24const_host_device_scalarIT4_EES5_S9_PKT1_PKT2_SC_PT3_21rocsparse_index_base_b.kd
    .uniform_work_group_size: 1
    .uses_dynamic_stack: false
    .vgpr_count:     28
    .vgpr_spill_count: 0
    .wavefront_size: 32
    .workgroup_processor_mode: 1
  - .args:
      - .offset:         0
        .size:           1
        .value_kind:     by_value
      - .offset:         4
        .size:           4
        .value_kind:     by_value
      - .offset:         8
        .size:           4
        .value_kind:     by_value
      - .actual_access:  read_only
        .address_space:  global
        .offset:         16
        .size:           8
        .value_kind:     global_buffer
      - .offset:         24
        .size:           8
        .value_kind:     by_value
      - .actual_access:  read_only
        .address_space:  global
        .offset:         32
        .size:           8
        .value_kind:     global_buffer
      - .actual_access:  read_only
        .address_space:  global
        .offset:         40
        .size:           8
        .value_kind:     global_buffer
      - .actual_access:  read_only
        .address_space:  global
        .offset:         48
        .size:           8
        .value_kind:     global_buffer
      - .actual_access:  read_only
        .address_space:  global
        .offset:         56
        .size:           8
        .value_kind:     global_buffer
      - .offset:         64
        .size:           8
        .value_kind:     by_value
      - .address_space:  global
        .offset:         72
        .size:           8
        .value_kind:     global_buffer
      - .offset:         80
        .size:           4
        .value_kind:     by_value
      - .offset:         84
        .size:           1
        .value_kind:     by_value
      - .offset:         88
        .size:           4
        .value_kind:     hidden_block_count_x
      - .offset:         92
        .size:           4
        .value_kind:     hidden_block_count_y
      - .offset:         96
        .size:           4
        .value_kind:     hidden_block_count_z
      - .offset:         100
        .size:           2
        .value_kind:     hidden_group_size_x
      - .offset:         102
        .size:           2
        .value_kind:     hidden_group_size_y
      - .offset:         104
        .size:           2
        .value_kind:     hidden_group_size_z
      - .offset:         106
        .size:           2
        .value_kind:     hidden_remainder_x
      - .offset:         108
        .size:           2
        .value_kind:     hidden_remainder_y
      - .offset:         110
        .size:           2
        .value_kind:     hidden_remainder_z
      - .offset:         128
        .size:           8
        .value_kind:     hidden_global_offset_x
      - .offset:         136
        .size:           8
        .value_kind:     hidden_global_offset_y
      - .offset:         144
        .size:           8
        .value_kind:     hidden_global_offset_z
      - .offset:         152
        .size:           2
        .value_kind:     hidden_grid_dims
      - .offset:         208
        .size:           4
        .value_kind:     hidden_dynamic_lds_size
    .group_segment_fixed_size: 8192
    .kernarg_segment_align: 8
    .kernarg_segment_size: 344
    .language:       OpenCL C
    .language_version:
      - 2
      - 0
    .max_flat_workgroup_size: 256
    .name:           _ZN9rocsparseL27csrmvn_symm_adaptive_kernelIiif21rocsparse_complex_numIfES2_S2_EEvbT_S3_PKS3_NS_24const_host_device_scalarIT4_EES5_PKT0_PKT1_PKT2_S8_PT3_21rocsparse_index_base_b
    .private_segment_fixed_size: 0
    .sgpr_count:     32
    .sgpr_spill_count: 0
    .symbol:         _ZN9rocsparseL27csrmvn_symm_adaptive_kernelIiif21rocsparse_complex_numIfES2_S2_EEvbT_S3_PKS3_NS_24const_host_device_scalarIT4_EES5_PKT0_PKT1_PKT2_S8_PT3_21rocsparse_index_base_b.kd
    .uniform_work_group_size: 1
    .uses_dynamic_stack: false
    .vgpr_count:     18
    .vgpr_spill_count: 0
    .wavefront_size: 32
    .workgroup_processor_mode: 1
  - .args:
      - .offset:         0
        .size:           1
        .value_kind:     by_value
      - .offset:         4
        .size:           4
        .value_kind:     by_value
      - .actual_access:  read_only
        .address_space:  global
        .offset:         8
        .size:           8
        .value_kind:     global_buffer
      - .offset:         16
        .size:           8
        .value_kind:     by_value
      - .actual_access:  read_only
        .address_space:  global
        .offset:         24
        .size:           8
        .value_kind:     global_buffer
      - .actual_access:  read_only
        .address_space:  global
        .offset:         32
        .size:           8
        .value_kind:     global_buffer
      - .actual_access:  read_only
        .address_space:  global
        .offset:         40
        .size:           8
        .value_kind:     global_buffer
      - .actual_access:  read_only
        .address_space:  global
        .offset:         48
        .size:           8
        .value_kind:     global_buffer
      - .offset:         56
        .size:           8
        .value_kind:     by_value
      - .address_space:  global
        .offset:         64
        .size:           8
        .value_kind:     global_buffer
      - .offset:         72
        .size:           4
        .value_kind:     by_value
      - .offset:         76
        .size:           1
        .value_kind:     by_value
    .group_segment_fixed_size: 8192
    .kernarg_segment_align: 8
    .kernarg_segment_size: 80
    .language:       OpenCL C
    .language_version:
      - 2
      - 0
    .max_flat_workgroup_size: 256
    .name:           _ZL33csrmvn_symm_large_adaptive_kernelIiif21rocsparse_complex_numIfES1_S1_EvbT_PKS2_N9rocsparse24const_host_device_scalarIT4_EES4_PKT0_PKT1_PKT2_S8_PT3_21rocsparse_index_base_b
    .private_segment_fixed_size: 0
    .sgpr_count:     26
    .sgpr_spill_count: 0
    .symbol:         _ZL33csrmvn_symm_large_adaptive_kernelIiif21rocsparse_complex_numIfES1_S1_EvbT_PKS2_N9rocsparse24const_host_device_scalarIT4_EES4_PKT0_PKT1_PKT2_S8_PT3_21rocsparse_index_base_b.kd
    .uniform_work_group_size: 1
    .uses_dynamic_stack: false
    .vgpr_count:     16
    .vgpr_spill_count: 0
    .wavefront_size: 32
    .workgroup_processor_mode: 1
  - .args:
      - .offset:         0
        .size:           1
        .value_kind:     by_value
      - .offset:         8
        .size:           8
        .value_kind:     by_value
      - .actual_access:  read_only
        .address_space:  global
        .offset:         16
        .size:           8
        .value_kind:     global_buffer
      - .address_space:  global
        .offset:         24
        .size:           8
        .value_kind:     global_buffer
      - .actual_access:  read_only
        .address_space:  global
        .offset:         32
        .size:           8
        .value_kind:     global_buffer
      - .offset:         40
        .size:           8
        .value_kind:     by_value
      - .actual_access:  read_only
        .address_space:  global
        .offset:         48
        .size:           8
        .value_kind:     global_buffer
      - .actual_access:  read_only
        .address_space:  global
        .offset:         56
        .size:           8
        .value_kind:     global_buffer
      - .actual_access:  read_only
        .address_space:  global
        .offset:         64
        .size:           8
        .value_kind:     global_buffer
      - .actual_access:  read_only
        .address_space:  global
        .offset:         72
        .size:           8
        .value_kind:     global_buffer
      - .offset:         80
        .size:           8
        .value_kind:     by_value
      - .address_space:  global
        .offset:         88
        .size:           8
        .value_kind:     global_buffer
      - .offset:         96
        .size:           4
        .value_kind:     by_value
      - .offset:         100
        .size:           1
        .value_kind:     by_value
    .group_segment_fixed_size: 8192
    .kernarg_segment_align: 8
    .kernarg_segment_size: 104
    .language:       OpenCL C
    .language_version:
      - 2
      - 0
    .max_flat_workgroup_size: 256
    .name:           _ZN9rocsparseL22csrmvn_adaptive_kernelIlif21rocsparse_complex_numIfES2_S2_EEvbT_PKS3_PjPKT0_NS_24const_host_device_scalarIT4_EES5_S9_PKT1_PKT2_SC_PT3_21rocsparse_index_base_b
    .private_segment_fixed_size: 0
    .sgpr_count:     54
    .sgpr_spill_count: 0
    .symbol:         _ZN9rocsparseL22csrmvn_adaptive_kernelIlif21rocsparse_complex_numIfES2_S2_EEvbT_PKS3_PjPKT0_NS_24const_host_device_scalarIT4_EES5_S9_PKT1_PKT2_SC_PT3_21rocsparse_index_base_b.kd
    .uniform_work_group_size: 1
    .uses_dynamic_stack: false
    .vgpr_count:     28
    .vgpr_spill_count: 0
    .wavefront_size: 32
    .workgroup_processor_mode: 1
  - .args:
      - .offset:         0
        .size:           1
        .value_kind:     by_value
      - .offset:         8
        .size:           8
        .value_kind:     by_value
      - .offset:         16
        .size:           8
        .value_kind:     by_value
      - .actual_access:  read_only
        .address_space:  global
        .offset:         24
        .size:           8
        .value_kind:     global_buffer
      - .offset:         32
        .size:           8
        .value_kind:     by_value
      - .actual_access:  read_only
        .address_space:  global
        .offset:         40
        .size:           8
        .value_kind:     global_buffer
      - .actual_access:  read_only
        .address_space:  global
        .offset:         48
        .size:           8
        .value_kind:     global_buffer
      - .actual_access:  read_only
        .address_space:  global
        .offset:         56
        .size:           8
        .value_kind:     global_buffer
      - .actual_access:  read_only
        .address_space:  global
        .offset:         64
        .size:           8
        .value_kind:     global_buffer
      - .offset:         72
        .size:           8
        .value_kind:     by_value
      - .address_space:  global
        .offset:         80
        .size:           8
        .value_kind:     global_buffer
      - .offset:         88
        .size:           4
        .value_kind:     by_value
      - .offset:         92
        .size:           1
        .value_kind:     by_value
      - .offset:         96
        .size:           4
        .value_kind:     hidden_block_count_x
      - .offset:         100
        .size:           4
        .value_kind:     hidden_block_count_y
      - .offset:         104
        .size:           4
        .value_kind:     hidden_block_count_z
      - .offset:         108
        .size:           2
        .value_kind:     hidden_group_size_x
      - .offset:         110
        .size:           2
        .value_kind:     hidden_group_size_y
      - .offset:         112
        .size:           2
        .value_kind:     hidden_group_size_z
      - .offset:         114
        .size:           2
        .value_kind:     hidden_remainder_x
      - .offset:         116
        .size:           2
        .value_kind:     hidden_remainder_y
      - .offset:         118
        .size:           2
        .value_kind:     hidden_remainder_z
      - .offset:         136
        .size:           8
        .value_kind:     hidden_global_offset_x
      - .offset:         144
        .size:           8
        .value_kind:     hidden_global_offset_y
      - .offset:         152
        .size:           8
        .value_kind:     hidden_global_offset_z
      - .offset:         160
        .size:           2
        .value_kind:     hidden_grid_dims
      - .offset:         216
        .size:           4
        .value_kind:     hidden_dynamic_lds_size
    .group_segment_fixed_size: 8192
    .kernarg_segment_align: 8
    .kernarg_segment_size: 352
    .language:       OpenCL C
    .language_version:
      - 2
      - 0
    .max_flat_workgroup_size: 256
    .name:           _ZN9rocsparseL27csrmvn_symm_adaptive_kernelIlif21rocsparse_complex_numIfES2_S2_EEvbT_S3_PKS3_NS_24const_host_device_scalarIT4_EES5_PKT0_PKT1_PKT2_S8_PT3_21rocsparse_index_base_b
    .private_segment_fixed_size: 0
    .sgpr_count:     44
    .sgpr_spill_count: 0
    .symbol:         _ZN9rocsparseL27csrmvn_symm_adaptive_kernelIlif21rocsparse_complex_numIfES2_S2_EEvbT_S3_PKS3_NS_24const_host_device_scalarIT4_EES5_PKT0_PKT1_PKT2_S8_PT3_21rocsparse_index_base_b.kd
    .uniform_work_group_size: 1
    .uses_dynamic_stack: false
    .vgpr_count:     22
    .vgpr_spill_count: 0
    .wavefront_size: 32
    .workgroup_processor_mode: 1
  - .args:
      - .offset:         0
        .size:           1
        .value_kind:     by_value
      - .offset:         8
        .size:           8
        .value_kind:     by_value
      - .actual_access:  read_only
        .address_space:  global
        .offset:         16
        .size:           8
        .value_kind:     global_buffer
      - .offset:         24
        .size:           8
        .value_kind:     by_value
      - .actual_access:  read_only
        .address_space:  global
        .offset:         32
        .size:           8
        .value_kind:     global_buffer
      - .actual_access:  read_only
        .address_space:  global
        .offset:         40
        .size:           8
        .value_kind:     global_buffer
      - .actual_access:  read_only
        .address_space:  global
        .offset:         48
        .size:           8
        .value_kind:     global_buffer
      - .actual_access:  read_only
        .address_space:  global
        .offset:         56
        .size:           8
        .value_kind:     global_buffer
      - .offset:         64
        .size:           8
        .value_kind:     by_value
      - .address_space:  global
        .offset:         72
        .size:           8
        .value_kind:     global_buffer
      - .offset:         80
        .size:           4
        .value_kind:     by_value
      - .offset:         84
        .size:           1
        .value_kind:     by_value
    .group_segment_fixed_size: 8192
    .kernarg_segment_align: 8
    .kernarg_segment_size: 88
    .language:       OpenCL C
    .language_version:
      - 2
      - 0
    .max_flat_workgroup_size: 256
    .name:           _ZL33csrmvn_symm_large_adaptive_kernelIlif21rocsparse_complex_numIfES1_S1_EvbT_PKS2_N9rocsparse24const_host_device_scalarIT4_EES4_PKT0_PKT1_PKT2_S8_PT3_21rocsparse_index_base_b
    .private_segment_fixed_size: 0
    .sgpr_count:     34
    .sgpr_spill_count: 0
    .symbol:         _ZL33csrmvn_symm_large_adaptive_kernelIlif21rocsparse_complex_numIfES1_S1_EvbT_PKS2_N9rocsparse24const_host_device_scalarIT4_EES4_PKT0_PKT1_PKT2_S8_PT3_21rocsparse_index_base_b.kd
    .uniform_work_group_size: 1
    .uses_dynamic_stack: false
    .vgpr_count:     17
    .vgpr_spill_count: 0
    .wavefront_size: 32
    .workgroup_processor_mode: 1
  - .args:
      - .offset:         0
        .size:           1
        .value_kind:     by_value
      - .offset:         8
        .size:           8
        .value_kind:     by_value
      - .actual_access:  read_only
        .address_space:  global
        .offset:         16
        .size:           8
        .value_kind:     global_buffer
      - .address_space:  global
        .offset:         24
        .size:           8
        .value_kind:     global_buffer
      - .actual_access:  read_only
        .address_space:  global
        .offset:         32
        .size:           8
        .value_kind:     global_buffer
      - .offset:         40
        .size:           8
        .value_kind:     by_value
      - .actual_access:  read_only
        .address_space:  global
        .offset:         48
        .size:           8
        .value_kind:     global_buffer
      - .actual_access:  read_only
        .address_space:  global
        .offset:         56
        .size:           8
        .value_kind:     global_buffer
      - .actual_access:  read_only
        .address_space:  global
        .offset:         64
        .size:           8
        .value_kind:     global_buffer
      - .actual_access:  read_only
        .address_space:  global
        .offset:         72
        .size:           8
        .value_kind:     global_buffer
      - .offset:         80
        .size:           8
        .value_kind:     by_value
      - .address_space:  global
        .offset:         88
        .size:           8
        .value_kind:     global_buffer
      - .offset:         96
        .size:           4
        .value_kind:     by_value
      - .offset:         100
        .size:           1
        .value_kind:     by_value
    .group_segment_fixed_size: 8192
    .kernarg_segment_align: 8
    .kernarg_segment_size: 104
    .language:       OpenCL C
    .language_version:
      - 2
      - 0
    .max_flat_workgroup_size: 256
    .name:           _ZN9rocsparseL22csrmvn_adaptive_kernelIllf21rocsparse_complex_numIfES2_S2_EEvbT_PKS3_PjPKT0_NS_24const_host_device_scalarIT4_EES5_S9_PKT1_PKT2_SC_PT3_21rocsparse_index_base_b
    .private_segment_fixed_size: 0
    .sgpr_count:     50
    .sgpr_spill_count: 0
    .symbol:         _ZN9rocsparseL22csrmvn_adaptive_kernelIllf21rocsparse_complex_numIfES2_S2_EEvbT_PKS3_PjPKT0_NS_24const_host_device_scalarIT4_EES5_S9_PKT1_PKT2_SC_PT3_21rocsparse_index_base_b.kd
    .uniform_work_group_size: 1
    .uses_dynamic_stack: false
    .vgpr_count:     28
    .vgpr_spill_count: 0
    .wavefront_size: 32
    .workgroup_processor_mode: 1
  - .args:
      - .offset:         0
        .size:           1
        .value_kind:     by_value
      - .offset:         8
        .size:           8
        .value_kind:     by_value
      - .offset:         16
        .size:           8
        .value_kind:     by_value
      - .actual_access:  read_only
        .address_space:  global
        .offset:         24
        .size:           8
        .value_kind:     global_buffer
      - .offset:         32
        .size:           8
        .value_kind:     by_value
      - .actual_access:  read_only
        .address_space:  global
        .offset:         40
        .size:           8
        .value_kind:     global_buffer
      - .actual_access:  read_only
        .address_space:  global
        .offset:         48
        .size:           8
        .value_kind:     global_buffer
      - .actual_access:  read_only
        .address_space:  global
        .offset:         56
        .size:           8
        .value_kind:     global_buffer
      - .actual_access:  read_only
        .address_space:  global
        .offset:         64
        .size:           8
        .value_kind:     global_buffer
      - .offset:         72
        .size:           8
        .value_kind:     by_value
      - .address_space:  global
        .offset:         80
        .size:           8
        .value_kind:     global_buffer
      - .offset:         88
        .size:           4
        .value_kind:     by_value
      - .offset:         92
        .size:           1
        .value_kind:     by_value
      - .offset:         96
        .size:           4
        .value_kind:     hidden_block_count_x
      - .offset:         100
        .size:           4
        .value_kind:     hidden_block_count_y
      - .offset:         104
        .size:           4
        .value_kind:     hidden_block_count_z
      - .offset:         108
        .size:           2
        .value_kind:     hidden_group_size_x
      - .offset:         110
        .size:           2
        .value_kind:     hidden_group_size_y
      - .offset:         112
        .size:           2
        .value_kind:     hidden_group_size_z
      - .offset:         114
        .size:           2
        .value_kind:     hidden_remainder_x
      - .offset:         116
        .size:           2
        .value_kind:     hidden_remainder_y
      - .offset:         118
        .size:           2
        .value_kind:     hidden_remainder_z
      - .offset:         136
        .size:           8
        .value_kind:     hidden_global_offset_x
      - .offset:         144
        .size:           8
        .value_kind:     hidden_global_offset_y
      - .offset:         152
        .size:           8
        .value_kind:     hidden_global_offset_z
      - .offset:         160
        .size:           2
        .value_kind:     hidden_grid_dims
      - .offset:         216
        .size:           4
        .value_kind:     hidden_dynamic_lds_size
    .group_segment_fixed_size: 8192
    .kernarg_segment_align: 8
    .kernarg_segment_size: 352
    .language:       OpenCL C
    .language_version:
      - 2
      - 0
    .max_flat_workgroup_size: 256
    .name:           _ZN9rocsparseL27csrmvn_symm_adaptive_kernelIllf21rocsparse_complex_numIfES2_S2_EEvbT_S3_PKS3_NS_24const_host_device_scalarIT4_EES5_PKT0_PKT1_PKT2_S8_PT3_21rocsparse_index_base_b
    .private_segment_fixed_size: 0
    .sgpr_count:     44
    .sgpr_spill_count: 0
    .symbol:         _ZN9rocsparseL27csrmvn_symm_adaptive_kernelIllf21rocsparse_complex_numIfES2_S2_EEvbT_S3_PKS3_NS_24const_host_device_scalarIT4_EES5_PKT0_PKT1_PKT2_S8_PT3_21rocsparse_index_base_b.kd
    .uniform_work_group_size: 1
    .uses_dynamic_stack: false
    .vgpr_count:     22
    .vgpr_spill_count: 0
    .wavefront_size: 32
    .workgroup_processor_mode: 1
  - .args:
      - .offset:         0
        .size:           1
        .value_kind:     by_value
      - .offset:         8
        .size:           8
        .value_kind:     by_value
      - .actual_access:  read_only
        .address_space:  global
        .offset:         16
        .size:           8
        .value_kind:     global_buffer
      - .offset:         24
        .size:           8
        .value_kind:     by_value
      - .actual_access:  read_only
        .address_space:  global
        .offset:         32
        .size:           8
        .value_kind:     global_buffer
      - .actual_access:  read_only
        .address_space:  global
        .offset:         40
        .size:           8
        .value_kind:     global_buffer
      - .actual_access:  read_only
        .address_space:  global
        .offset:         48
        .size:           8
        .value_kind:     global_buffer
      - .actual_access:  read_only
        .address_space:  global
        .offset:         56
        .size:           8
        .value_kind:     global_buffer
      - .offset:         64
        .size:           8
        .value_kind:     by_value
      - .address_space:  global
        .offset:         72
        .size:           8
        .value_kind:     global_buffer
      - .offset:         80
        .size:           4
        .value_kind:     by_value
      - .offset:         84
        .size:           1
        .value_kind:     by_value
    .group_segment_fixed_size: 8192
    .kernarg_segment_align: 8
    .kernarg_segment_size: 88
    .language:       OpenCL C
    .language_version:
      - 2
      - 0
    .max_flat_workgroup_size: 256
    .name:           _ZL33csrmvn_symm_large_adaptive_kernelIllf21rocsparse_complex_numIfES1_S1_EvbT_PKS2_N9rocsparse24const_host_device_scalarIT4_EES4_PKT0_PKT1_PKT2_S8_PT3_21rocsparse_index_base_b
    .private_segment_fixed_size: 0
    .sgpr_count:     34
    .sgpr_spill_count: 0
    .symbol:         _ZL33csrmvn_symm_large_adaptive_kernelIllf21rocsparse_complex_numIfES1_S1_EvbT_PKS2_N9rocsparse24const_host_device_scalarIT4_EES4_PKT0_PKT1_PKT2_S8_PT3_21rocsparse_index_base_b.kd
    .uniform_work_group_size: 1
    .uses_dynamic_stack: false
    .vgpr_count:     17
    .vgpr_spill_count: 0
    .wavefront_size: 32
    .workgroup_processor_mode: 1
  - .args:
      - .offset:         0
        .size:           1
        .value_kind:     by_value
      - .offset:         4
        .size:           4
        .value_kind:     by_value
      - .actual_access:  read_only
        .address_space:  global
        .offset:         8
        .size:           8
        .value_kind:     global_buffer
      - .address_space:  global
        .offset:         16
        .size:           8
        .value_kind:     global_buffer
      - .actual_access:  read_only
        .address_space:  global
        .offset:         24
        .size:           8
        .value_kind:     global_buffer
      - .offset:         32
        .size:           8
        .value_kind:     by_value
      - .actual_access:  read_only
        .address_space:  global
        .offset:         40
        .size:           8
        .value_kind:     global_buffer
      - .actual_access:  read_only
        .address_space:  global
        .offset:         48
        .size:           8
        .value_kind:     global_buffer
      - .actual_access:  read_only
        .address_space:  global
        .offset:         56
        .size:           8
        .value_kind:     global_buffer
      - .actual_access:  read_only
        .address_space:  global
        .offset:         64
        .size:           8
        .value_kind:     global_buffer
      - .offset:         72
        .size:           8
        .value_kind:     by_value
      - .address_space:  global
        .offset:         80
        .size:           8
        .value_kind:     global_buffer
      - .offset:         88
        .size:           4
        .value_kind:     by_value
      - .offset:         92
        .size:           1
        .value_kind:     by_value
    .group_segment_fixed_size: 8192
    .kernarg_segment_align: 8
    .kernarg_segment_size: 96
    .language:       OpenCL C
    .language_version:
      - 2
      - 0
    .max_flat_workgroup_size: 256
    .name:           _ZN9rocsparseL22csrmvn_adaptive_kernelIiifdddEEvbT_PKS1_PjPKT0_NS_24const_host_device_scalarIT4_EES3_S7_PKT1_PKT2_SA_PT3_21rocsparse_index_base_b
    .private_segment_fixed_size: 0
    .sgpr_count:     42
    .sgpr_spill_count: 0
    .symbol:         _ZN9rocsparseL22csrmvn_adaptive_kernelIiifdddEEvbT_PKS1_PjPKT0_NS_24const_host_device_scalarIT4_EES3_S7_PKT1_PKT2_SA_PT3_21rocsparse_index_base_b.kd
    .uniform_work_group_size: 1
    .uses_dynamic_stack: false
    .vgpr_count:     22
    .vgpr_spill_count: 0
    .wavefront_size: 32
    .workgroup_processor_mode: 1
  - .args:
      - .offset:         0
        .size:           1
        .value_kind:     by_value
      - .offset:         4
        .size:           4
        .value_kind:     by_value
      - .offset:         8
        .size:           4
        .value_kind:     by_value
      - .actual_access:  read_only
        .address_space:  global
        .offset:         16
        .size:           8
        .value_kind:     global_buffer
      - .offset:         24
        .size:           8
        .value_kind:     by_value
      - .actual_access:  read_only
        .address_space:  global
        .offset:         32
        .size:           8
        .value_kind:     global_buffer
      - .actual_access:  read_only
        .address_space:  global
        .offset:         40
        .size:           8
        .value_kind:     global_buffer
      - .actual_access:  read_only
        .address_space:  global
        .offset:         48
        .size:           8
        .value_kind:     global_buffer
      - .actual_access:  read_only
        .address_space:  global
        .offset:         56
        .size:           8
        .value_kind:     global_buffer
      - .offset:         64
        .size:           8
        .value_kind:     by_value
      - .address_space:  global
        .offset:         72
        .size:           8
        .value_kind:     global_buffer
      - .offset:         80
        .size:           4
        .value_kind:     by_value
      - .offset:         84
        .size:           1
        .value_kind:     by_value
      - .offset:         88
        .size:           4
        .value_kind:     hidden_block_count_x
      - .offset:         92
        .size:           4
        .value_kind:     hidden_block_count_y
      - .offset:         96
        .size:           4
        .value_kind:     hidden_block_count_z
      - .offset:         100
        .size:           2
        .value_kind:     hidden_group_size_x
      - .offset:         102
        .size:           2
        .value_kind:     hidden_group_size_y
      - .offset:         104
        .size:           2
        .value_kind:     hidden_group_size_z
      - .offset:         106
        .size:           2
        .value_kind:     hidden_remainder_x
      - .offset:         108
        .size:           2
        .value_kind:     hidden_remainder_y
      - .offset:         110
        .size:           2
        .value_kind:     hidden_remainder_z
      - .offset:         128
        .size:           8
        .value_kind:     hidden_global_offset_x
      - .offset:         136
        .size:           8
        .value_kind:     hidden_global_offset_y
      - .offset:         144
        .size:           8
        .value_kind:     hidden_global_offset_z
      - .offset:         152
        .size:           2
        .value_kind:     hidden_grid_dims
      - .offset:         208
        .size:           4
        .value_kind:     hidden_dynamic_lds_size
    .group_segment_fixed_size: 8192
    .kernarg_segment_align: 8
    .kernarg_segment_size: 344
    .language:       OpenCL C
    .language_version:
      - 2
      - 0
    .max_flat_workgroup_size: 256
    .name:           _ZN9rocsparseL27csrmvn_symm_adaptive_kernelIiifdddEEvbT_S1_PKS1_NS_24const_host_device_scalarIT4_EES3_PKT0_PKT1_PKT2_S6_PT3_21rocsparse_index_base_b
    .private_segment_fixed_size: 0
    .sgpr_count:     32
    .sgpr_spill_count: 0
    .symbol:         _ZN9rocsparseL27csrmvn_symm_adaptive_kernelIiifdddEEvbT_S1_PKS1_NS_24const_host_device_scalarIT4_EES3_PKT0_PKT1_PKT2_S6_PT3_21rocsparse_index_base_b.kd
    .uniform_work_group_size: 1
    .uses_dynamic_stack: false
    .vgpr_count:     21
    .vgpr_spill_count: 0
    .wavefront_size: 32
    .workgroup_processor_mode: 1
  - .args:
      - .offset:         0
        .size:           1
        .value_kind:     by_value
      - .offset:         4
        .size:           4
        .value_kind:     by_value
      - .actual_access:  read_only
        .address_space:  global
        .offset:         8
        .size:           8
        .value_kind:     global_buffer
      - .offset:         16
        .size:           8
        .value_kind:     by_value
      - .actual_access:  read_only
        .address_space:  global
        .offset:         24
        .size:           8
        .value_kind:     global_buffer
      - .actual_access:  read_only
        .address_space:  global
        .offset:         32
        .size:           8
        .value_kind:     global_buffer
      - .actual_access:  read_only
        .address_space:  global
        .offset:         40
        .size:           8
        .value_kind:     global_buffer
      - .actual_access:  read_only
        .address_space:  global
        .offset:         48
        .size:           8
        .value_kind:     global_buffer
      - .offset:         56
        .size:           8
        .value_kind:     by_value
      - .address_space:  global
        .offset:         64
        .size:           8
        .value_kind:     global_buffer
      - .offset:         72
        .size:           4
        .value_kind:     by_value
      - .offset:         76
        .size:           1
        .value_kind:     by_value
    .group_segment_fixed_size: 8192
    .kernarg_segment_align: 8
    .kernarg_segment_size: 80
    .language:       OpenCL C
    .language_version:
      - 2
      - 0
    .max_flat_workgroup_size: 256
    .name:           _ZL33csrmvn_symm_large_adaptive_kernelIiifdddEvbT_PKS0_N9rocsparse24const_host_device_scalarIT4_EES2_PKT0_PKT1_PKT2_S6_PT3_21rocsparse_index_base_b
    .private_segment_fixed_size: 0
    .sgpr_count:     25
    .sgpr_spill_count: 0
    .symbol:         _ZL33csrmvn_symm_large_adaptive_kernelIiifdddEvbT_PKS0_N9rocsparse24const_host_device_scalarIT4_EES2_PKT0_PKT1_PKT2_S6_PT3_21rocsparse_index_base_b.kd
    .uniform_work_group_size: 1
    .uses_dynamic_stack: false
    .vgpr_count:     17
    .vgpr_spill_count: 0
    .wavefront_size: 32
    .workgroup_processor_mode: 1
  - .args:
      - .offset:         0
        .size:           1
        .value_kind:     by_value
      - .offset:         8
        .size:           8
        .value_kind:     by_value
      - .actual_access:  read_only
        .address_space:  global
        .offset:         16
        .size:           8
        .value_kind:     global_buffer
      - .address_space:  global
        .offset:         24
        .size:           8
        .value_kind:     global_buffer
      - .actual_access:  read_only
        .address_space:  global
        .offset:         32
        .size:           8
        .value_kind:     global_buffer
      - .offset:         40
        .size:           8
        .value_kind:     by_value
      - .actual_access:  read_only
        .address_space:  global
        .offset:         48
        .size:           8
        .value_kind:     global_buffer
      - .actual_access:  read_only
        .address_space:  global
        .offset:         56
        .size:           8
        .value_kind:     global_buffer
      - .actual_access:  read_only
        .address_space:  global
        .offset:         64
        .size:           8
        .value_kind:     global_buffer
      - .actual_access:  read_only
        .address_space:  global
        .offset:         72
        .size:           8
        .value_kind:     global_buffer
      - .offset:         80
        .size:           8
        .value_kind:     by_value
      - .address_space:  global
        .offset:         88
        .size:           8
        .value_kind:     global_buffer
      - .offset:         96
        .size:           4
        .value_kind:     by_value
      - .offset:         100
        .size:           1
        .value_kind:     by_value
    .group_segment_fixed_size: 8192
    .kernarg_segment_align: 8
    .kernarg_segment_size: 104
    .language:       OpenCL C
    .language_version:
      - 2
      - 0
    .max_flat_workgroup_size: 256
    .name:           _ZN9rocsparseL22csrmvn_adaptive_kernelIlifdddEEvbT_PKS1_PjPKT0_NS_24const_host_device_scalarIT4_EES3_S7_PKT1_PKT2_SA_PT3_21rocsparse_index_base_b
    .private_segment_fixed_size: 0
    .sgpr_count:     54
    .sgpr_spill_count: 0
    .symbol:         _ZN9rocsparseL22csrmvn_adaptive_kernelIlifdddEEvbT_PKS1_PjPKT0_NS_24const_host_device_scalarIT4_EES3_S7_PKT1_PKT2_SA_PT3_21rocsparse_index_base_b.kd
    .uniform_work_group_size: 1
    .uses_dynamic_stack: false
    .vgpr_count:     22
    .vgpr_spill_count: 0
    .wavefront_size: 32
    .workgroup_processor_mode: 1
  - .args:
      - .offset:         0
        .size:           1
        .value_kind:     by_value
      - .offset:         8
        .size:           8
        .value_kind:     by_value
      - .offset:         16
        .size:           8
        .value_kind:     by_value
      - .actual_access:  read_only
        .address_space:  global
        .offset:         24
        .size:           8
        .value_kind:     global_buffer
      - .offset:         32
        .size:           8
        .value_kind:     by_value
      - .actual_access:  read_only
        .address_space:  global
        .offset:         40
        .size:           8
        .value_kind:     global_buffer
      - .actual_access:  read_only
        .address_space:  global
        .offset:         48
        .size:           8
        .value_kind:     global_buffer
      - .actual_access:  read_only
        .address_space:  global
        .offset:         56
        .size:           8
        .value_kind:     global_buffer
      - .actual_access:  read_only
        .address_space:  global
        .offset:         64
        .size:           8
        .value_kind:     global_buffer
      - .offset:         72
        .size:           8
        .value_kind:     by_value
      - .address_space:  global
        .offset:         80
        .size:           8
        .value_kind:     global_buffer
      - .offset:         88
        .size:           4
        .value_kind:     by_value
      - .offset:         92
        .size:           1
        .value_kind:     by_value
      - .offset:         96
        .size:           4
        .value_kind:     hidden_block_count_x
      - .offset:         100
        .size:           4
        .value_kind:     hidden_block_count_y
      - .offset:         104
        .size:           4
        .value_kind:     hidden_block_count_z
      - .offset:         108
        .size:           2
        .value_kind:     hidden_group_size_x
      - .offset:         110
        .size:           2
        .value_kind:     hidden_group_size_y
      - .offset:         112
        .size:           2
        .value_kind:     hidden_group_size_z
      - .offset:         114
        .size:           2
        .value_kind:     hidden_remainder_x
      - .offset:         116
        .size:           2
        .value_kind:     hidden_remainder_y
      - .offset:         118
        .size:           2
        .value_kind:     hidden_remainder_z
      - .offset:         136
        .size:           8
        .value_kind:     hidden_global_offset_x
      - .offset:         144
        .size:           8
        .value_kind:     hidden_global_offset_y
      - .offset:         152
        .size:           8
        .value_kind:     hidden_global_offset_z
      - .offset:         160
        .size:           2
        .value_kind:     hidden_grid_dims
      - .offset:         216
        .size:           4
        .value_kind:     hidden_dynamic_lds_size
    .group_segment_fixed_size: 8192
    .kernarg_segment_align: 8
    .kernarg_segment_size: 352
    .language:       OpenCL C
    .language_version:
      - 2
      - 0
    .max_flat_workgroup_size: 256
    .name:           _ZN9rocsparseL27csrmvn_symm_adaptive_kernelIlifdddEEvbT_S1_PKS1_NS_24const_host_device_scalarIT4_EES3_PKT0_PKT1_PKT2_S6_PT3_21rocsparse_index_base_b
    .private_segment_fixed_size: 0
    .sgpr_count:     44
    .sgpr_spill_count: 0
    .symbol:         _ZN9rocsparseL27csrmvn_symm_adaptive_kernelIlifdddEEvbT_S1_PKS1_NS_24const_host_device_scalarIT4_EES3_PKT0_PKT1_PKT2_S6_PT3_21rocsparse_index_base_b.kd
    .uniform_work_group_size: 1
    .uses_dynamic_stack: false
    .vgpr_count:     22
    .vgpr_spill_count: 0
    .wavefront_size: 32
    .workgroup_processor_mode: 1
  - .args:
      - .offset:         0
        .size:           1
        .value_kind:     by_value
      - .offset:         8
        .size:           8
        .value_kind:     by_value
      - .actual_access:  read_only
        .address_space:  global
        .offset:         16
        .size:           8
        .value_kind:     global_buffer
      - .offset:         24
        .size:           8
        .value_kind:     by_value
      - .actual_access:  read_only
        .address_space:  global
        .offset:         32
        .size:           8
        .value_kind:     global_buffer
      - .actual_access:  read_only
        .address_space:  global
        .offset:         40
        .size:           8
        .value_kind:     global_buffer
      - .actual_access:  read_only
        .address_space:  global
        .offset:         48
        .size:           8
        .value_kind:     global_buffer
      - .actual_access:  read_only
        .address_space:  global
        .offset:         56
        .size:           8
        .value_kind:     global_buffer
      - .offset:         64
        .size:           8
        .value_kind:     by_value
      - .address_space:  global
        .offset:         72
        .size:           8
        .value_kind:     global_buffer
      - .offset:         80
        .size:           4
        .value_kind:     by_value
      - .offset:         84
        .size:           1
        .value_kind:     by_value
    .group_segment_fixed_size: 8192
    .kernarg_segment_align: 8
    .kernarg_segment_size: 88
    .language:       OpenCL C
    .language_version:
      - 2
      - 0
    .max_flat_workgroup_size: 256
    .name:           _ZL33csrmvn_symm_large_adaptive_kernelIlifdddEvbT_PKS0_N9rocsparse24const_host_device_scalarIT4_EES2_PKT0_PKT1_PKT2_S6_PT3_21rocsparse_index_base_b
    .private_segment_fixed_size: 0
    .sgpr_count:     34
    .sgpr_spill_count: 0
    .symbol:         _ZL33csrmvn_symm_large_adaptive_kernelIlifdddEvbT_PKS0_N9rocsparse24const_host_device_scalarIT4_EES2_PKT0_PKT1_PKT2_S6_PT3_21rocsparse_index_base_b.kd
    .uniform_work_group_size: 1
    .uses_dynamic_stack: false
    .vgpr_count:     18
    .vgpr_spill_count: 0
    .wavefront_size: 32
    .workgroup_processor_mode: 1
  - .args:
      - .offset:         0
        .size:           1
        .value_kind:     by_value
      - .offset:         8
        .size:           8
        .value_kind:     by_value
      - .actual_access:  read_only
        .address_space:  global
        .offset:         16
        .size:           8
        .value_kind:     global_buffer
      - .address_space:  global
        .offset:         24
        .size:           8
        .value_kind:     global_buffer
      - .actual_access:  read_only
        .address_space:  global
        .offset:         32
        .size:           8
        .value_kind:     global_buffer
      - .offset:         40
        .size:           8
        .value_kind:     by_value
      - .actual_access:  read_only
        .address_space:  global
        .offset:         48
        .size:           8
        .value_kind:     global_buffer
      - .actual_access:  read_only
        .address_space:  global
        .offset:         56
        .size:           8
        .value_kind:     global_buffer
      - .actual_access:  read_only
        .address_space:  global
        .offset:         64
        .size:           8
        .value_kind:     global_buffer
      - .actual_access:  read_only
        .address_space:  global
        .offset:         72
        .size:           8
        .value_kind:     global_buffer
      - .offset:         80
        .size:           8
        .value_kind:     by_value
      - .address_space:  global
        .offset:         88
        .size:           8
        .value_kind:     global_buffer
      - .offset:         96
        .size:           4
        .value_kind:     by_value
      - .offset:         100
        .size:           1
        .value_kind:     by_value
    .group_segment_fixed_size: 8192
    .kernarg_segment_align: 8
    .kernarg_segment_size: 104
    .language:       OpenCL C
    .language_version:
      - 2
      - 0
    .max_flat_workgroup_size: 256
    .name:           _ZN9rocsparseL22csrmvn_adaptive_kernelIllfdddEEvbT_PKS1_PjPKT0_NS_24const_host_device_scalarIT4_EES3_S7_PKT1_PKT2_SA_PT3_21rocsparse_index_base_b
    .private_segment_fixed_size: 0
    .sgpr_count:     50
    .sgpr_spill_count: 0
    .symbol:         _ZN9rocsparseL22csrmvn_adaptive_kernelIllfdddEEvbT_PKS1_PjPKT0_NS_24const_host_device_scalarIT4_EES3_S7_PKT1_PKT2_SA_PT3_21rocsparse_index_base_b.kd
    .uniform_work_group_size: 1
    .uses_dynamic_stack: false
    .vgpr_count:     22
    .vgpr_spill_count: 0
    .wavefront_size: 32
    .workgroup_processor_mode: 1
  - .args:
      - .offset:         0
        .size:           1
        .value_kind:     by_value
      - .offset:         8
        .size:           8
        .value_kind:     by_value
      - .offset:         16
        .size:           8
        .value_kind:     by_value
      - .actual_access:  read_only
        .address_space:  global
        .offset:         24
        .size:           8
        .value_kind:     global_buffer
      - .offset:         32
        .size:           8
        .value_kind:     by_value
      - .actual_access:  read_only
        .address_space:  global
        .offset:         40
        .size:           8
        .value_kind:     global_buffer
      - .actual_access:  read_only
        .address_space:  global
        .offset:         48
        .size:           8
        .value_kind:     global_buffer
      - .actual_access:  read_only
        .address_space:  global
        .offset:         56
        .size:           8
        .value_kind:     global_buffer
      - .actual_access:  read_only
        .address_space:  global
        .offset:         64
        .size:           8
        .value_kind:     global_buffer
      - .offset:         72
        .size:           8
        .value_kind:     by_value
      - .address_space:  global
        .offset:         80
        .size:           8
        .value_kind:     global_buffer
      - .offset:         88
        .size:           4
        .value_kind:     by_value
      - .offset:         92
        .size:           1
        .value_kind:     by_value
      - .offset:         96
        .size:           4
        .value_kind:     hidden_block_count_x
      - .offset:         100
        .size:           4
        .value_kind:     hidden_block_count_y
      - .offset:         104
        .size:           4
        .value_kind:     hidden_block_count_z
      - .offset:         108
        .size:           2
        .value_kind:     hidden_group_size_x
      - .offset:         110
        .size:           2
        .value_kind:     hidden_group_size_y
      - .offset:         112
        .size:           2
        .value_kind:     hidden_group_size_z
      - .offset:         114
        .size:           2
        .value_kind:     hidden_remainder_x
      - .offset:         116
        .size:           2
        .value_kind:     hidden_remainder_y
      - .offset:         118
        .size:           2
        .value_kind:     hidden_remainder_z
      - .offset:         136
        .size:           8
        .value_kind:     hidden_global_offset_x
      - .offset:         144
        .size:           8
        .value_kind:     hidden_global_offset_y
      - .offset:         152
        .size:           8
        .value_kind:     hidden_global_offset_z
      - .offset:         160
        .size:           2
        .value_kind:     hidden_grid_dims
      - .offset:         216
        .size:           4
        .value_kind:     hidden_dynamic_lds_size
    .group_segment_fixed_size: 8192
    .kernarg_segment_align: 8
    .kernarg_segment_size: 352
    .language:       OpenCL C
    .language_version:
      - 2
      - 0
    .max_flat_workgroup_size: 256
    .name:           _ZN9rocsparseL27csrmvn_symm_adaptive_kernelIllfdddEEvbT_S1_PKS1_NS_24const_host_device_scalarIT4_EES3_PKT0_PKT1_PKT2_S6_PT3_21rocsparse_index_base_b
    .private_segment_fixed_size: 0
    .sgpr_count:     44
    .sgpr_spill_count: 0
    .symbol:         _ZN9rocsparseL27csrmvn_symm_adaptive_kernelIllfdddEEvbT_S1_PKS1_NS_24const_host_device_scalarIT4_EES3_PKT0_PKT1_PKT2_S6_PT3_21rocsparse_index_base_b.kd
    .uniform_work_group_size: 1
    .uses_dynamic_stack: false
    .vgpr_count:     22
    .vgpr_spill_count: 0
    .wavefront_size: 32
    .workgroup_processor_mode: 1
  - .args:
      - .offset:         0
        .size:           1
        .value_kind:     by_value
      - .offset:         8
        .size:           8
        .value_kind:     by_value
      - .actual_access:  read_only
        .address_space:  global
        .offset:         16
        .size:           8
        .value_kind:     global_buffer
      - .offset:         24
        .size:           8
        .value_kind:     by_value
      - .actual_access:  read_only
        .address_space:  global
        .offset:         32
        .size:           8
        .value_kind:     global_buffer
      - .actual_access:  read_only
        .address_space:  global
        .offset:         40
        .size:           8
        .value_kind:     global_buffer
      - .actual_access:  read_only
        .address_space:  global
        .offset:         48
        .size:           8
        .value_kind:     global_buffer
      - .actual_access:  read_only
        .address_space:  global
        .offset:         56
        .size:           8
        .value_kind:     global_buffer
      - .offset:         64
        .size:           8
        .value_kind:     by_value
      - .address_space:  global
        .offset:         72
        .size:           8
        .value_kind:     global_buffer
      - .offset:         80
        .size:           4
        .value_kind:     by_value
      - .offset:         84
        .size:           1
        .value_kind:     by_value
    .group_segment_fixed_size: 8192
    .kernarg_segment_align: 8
    .kernarg_segment_size: 88
    .language:       OpenCL C
    .language_version:
      - 2
      - 0
    .max_flat_workgroup_size: 256
    .name:           _ZL33csrmvn_symm_large_adaptive_kernelIllfdddEvbT_PKS0_N9rocsparse24const_host_device_scalarIT4_EES2_PKT0_PKT1_PKT2_S6_PT3_21rocsparse_index_base_b
    .private_segment_fixed_size: 0
    .sgpr_count:     34
    .sgpr_spill_count: 0
    .symbol:         _ZL33csrmvn_symm_large_adaptive_kernelIllfdddEvbT_PKS0_N9rocsparse24const_host_device_scalarIT4_EES2_PKT0_PKT1_PKT2_S6_PT3_21rocsparse_index_base_b.kd
    .uniform_work_group_size: 1
    .uses_dynamic_stack: false
    .vgpr_count:     18
    .vgpr_spill_count: 0
    .wavefront_size: 32
    .workgroup_processor_mode: 1
  - .args:
      - .offset:         0
        .size:           1
        .value_kind:     by_value
      - .offset:         4
        .size:           4
        .value_kind:     by_value
      - .actual_access:  read_only
        .address_space:  global
        .offset:         8
        .size:           8
        .value_kind:     global_buffer
      - .address_space:  global
        .offset:         16
        .size:           8
        .value_kind:     global_buffer
      - .actual_access:  read_only
        .address_space:  global
        .offset:         24
        .size:           8
        .value_kind:     global_buffer
      - .offset:         32
        .size:           16
        .value_kind:     by_value
      - .actual_access:  read_only
        .address_space:  global
        .offset:         48
        .size:           8
        .value_kind:     global_buffer
      - .actual_access:  read_only
        .address_space:  global
        .offset:         56
        .size:           8
        .value_kind:     global_buffer
      - .actual_access:  read_only
        .address_space:  global
        .offset:         64
        .size:           8
        .value_kind:     global_buffer
      - .actual_access:  read_only
        .address_space:  global
        .offset:         72
        .size:           8
        .value_kind:     global_buffer
      - .offset:         80
        .size:           16
        .value_kind:     by_value
      - .address_space:  global
        .offset:         96
        .size:           8
        .value_kind:     global_buffer
      - .offset:         104
        .size:           4
        .value_kind:     by_value
      - .offset:         108
        .size:           1
        .value_kind:     by_value
    .group_segment_fixed_size: 16384
    .kernarg_segment_align: 8
    .kernarg_segment_size: 112
    .language:       OpenCL C
    .language_version:
      - 2
      - 0
    .max_flat_workgroup_size: 256
    .name:           _ZN9rocsparseL22csrmvn_adaptive_kernelIiid21rocsparse_complex_numIdES2_S2_EEvbT_PKS3_PjPKT0_NS_24const_host_device_scalarIT4_EES5_S9_PKT1_PKT2_SC_PT3_21rocsparse_index_base_b
    .private_segment_fixed_size: 0
    .sgpr_count:     42
    .sgpr_spill_count: 0
    .symbol:         _ZN9rocsparseL22csrmvn_adaptive_kernelIiid21rocsparse_complex_numIdES2_S2_EEvbT_PKS3_PjPKT0_NS_24const_host_device_scalarIT4_EES5_S9_PKT1_PKT2_SC_PT3_21rocsparse_index_base_b.kd
    .uniform_work_group_size: 1
    .uses_dynamic_stack: false
    .vgpr_count:     46
    .vgpr_spill_count: 0
    .wavefront_size: 32
    .workgroup_processor_mode: 1
  - .args:
      - .offset:         0
        .size:           1
        .value_kind:     by_value
      - .offset:         4
        .size:           4
        .value_kind:     by_value
      - .offset:         8
        .size:           4
        .value_kind:     by_value
      - .actual_access:  read_only
        .address_space:  global
        .offset:         16
        .size:           8
        .value_kind:     global_buffer
      - .offset:         24
        .size:           16
        .value_kind:     by_value
      - .actual_access:  read_only
        .address_space:  global
        .offset:         40
        .size:           8
        .value_kind:     global_buffer
      - .actual_access:  read_only
        .address_space:  global
        .offset:         48
        .size:           8
        .value_kind:     global_buffer
      - .actual_access:  read_only
        .address_space:  global
        .offset:         56
        .size:           8
        .value_kind:     global_buffer
      - .actual_access:  read_only
        .address_space:  global
        .offset:         64
        .size:           8
        .value_kind:     global_buffer
      - .offset:         72
        .size:           16
        .value_kind:     by_value
      - .address_space:  global
        .offset:         88
        .size:           8
        .value_kind:     global_buffer
      - .offset:         96
        .size:           4
        .value_kind:     by_value
      - .offset:         100
        .size:           1
        .value_kind:     by_value
      - .offset:         104
        .size:           4
        .value_kind:     hidden_block_count_x
      - .offset:         108
        .size:           4
        .value_kind:     hidden_block_count_y
      - .offset:         112
        .size:           4
        .value_kind:     hidden_block_count_z
      - .offset:         116
        .size:           2
        .value_kind:     hidden_group_size_x
      - .offset:         118
        .size:           2
        .value_kind:     hidden_group_size_y
      - .offset:         120
        .size:           2
        .value_kind:     hidden_group_size_z
      - .offset:         122
        .size:           2
        .value_kind:     hidden_remainder_x
      - .offset:         124
        .size:           2
        .value_kind:     hidden_remainder_y
      - .offset:         126
        .size:           2
        .value_kind:     hidden_remainder_z
      - .offset:         144
        .size:           8
        .value_kind:     hidden_global_offset_x
      - .offset:         152
        .size:           8
        .value_kind:     hidden_global_offset_y
      - .offset:         160
        .size:           8
        .value_kind:     hidden_global_offset_z
      - .offset:         168
        .size:           2
        .value_kind:     hidden_grid_dims
      - .offset:         224
        .size:           4
        .value_kind:     hidden_dynamic_lds_size
    .group_segment_fixed_size: 16384
    .kernarg_segment_align: 8
    .kernarg_segment_size: 360
    .language:       OpenCL C
    .language_version:
      - 2
      - 0
    .max_flat_workgroup_size: 256
    .name:           _ZN9rocsparseL27csrmvn_symm_adaptive_kernelIiid21rocsparse_complex_numIdES2_S2_EEvbT_S3_PKS3_NS_24const_host_device_scalarIT4_EES5_PKT0_PKT1_PKT2_S8_PT3_21rocsparse_index_base_b
    .private_segment_fixed_size: 0
    .sgpr_count:     32
    .sgpr_spill_count: 0
    .symbol:         _ZN9rocsparseL27csrmvn_symm_adaptive_kernelIiid21rocsparse_complex_numIdES2_S2_EEvbT_S3_PKS3_NS_24const_host_device_scalarIT4_EES5_PKT0_PKT1_PKT2_S8_PT3_21rocsparse_index_base_b.kd
    .uniform_work_group_size: 1
    .uses_dynamic_stack: false
    .vgpr_count:     29
    .vgpr_spill_count: 0
    .wavefront_size: 32
    .workgroup_processor_mode: 1
  - .args:
      - .offset:         0
        .size:           1
        .value_kind:     by_value
      - .offset:         4
        .size:           4
        .value_kind:     by_value
      - .actual_access:  read_only
        .address_space:  global
        .offset:         8
        .size:           8
        .value_kind:     global_buffer
      - .offset:         16
        .size:           16
        .value_kind:     by_value
      - .actual_access:  read_only
        .address_space:  global
        .offset:         32
        .size:           8
        .value_kind:     global_buffer
      - .actual_access:  read_only
        .address_space:  global
        .offset:         40
        .size:           8
        .value_kind:     global_buffer
      - .actual_access:  read_only
        .address_space:  global
        .offset:         48
        .size:           8
        .value_kind:     global_buffer
      - .actual_access:  read_only
        .address_space:  global
        .offset:         56
        .size:           8
        .value_kind:     global_buffer
      - .offset:         64
        .size:           16
        .value_kind:     by_value
      - .address_space:  global
        .offset:         80
        .size:           8
        .value_kind:     global_buffer
      - .offset:         88
        .size:           4
        .value_kind:     by_value
      - .offset:         92
        .size:           1
        .value_kind:     by_value
    .group_segment_fixed_size: 16384
    .kernarg_segment_align: 8
    .kernarg_segment_size: 96
    .language:       OpenCL C
    .language_version:
      - 2
      - 0
    .max_flat_workgroup_size: 256
    .name:           _ZL33csrmvn_symm_large_adaptive_kernelIiid21rocsparse_complex_numIdES1_S1_EvbT_PKS2_N9rocsparse24const_host_device_scalarIT4_EES4_PKT0_PKT1_PKT2_S8_PT3_21rocsparse_index_base_b
    .private_segment_fixed_size: 0
    .sgpr_count:     26
    .sgpr_spill_count: 0
    .symbol:         _ZL33csrmvn_symm_large_adaptive_kernelIiid21rocsparse_complex_numIdES1_S1_EvbT_PKS2_N9rocsparse24const_host_device_scalarIT4_EES4_PKT0_PKT1_PKT2_S8_PT3_21rocsparse_index_base_b.kd
    .uniform_work_group_size: 1
    .uses_dynamic_stack: false
    .vgpr_count:     27
    .vgpr_spill_count: 0
    .wavefront_size: 32
    .workgroup_processor_mode: 1
  - .args:
      - .offset:         0
        .size:           1
        .value_kind:     by_value
      - .offset:         8
        .size:           8
        .value_kind:     by_value
      - .actual_access:  read_only
        .address_space:  global
        .offset:         16
        .size:           8
        .value_kind:     global_buffer
      - .address_space:  global
        .offset:         24
        .size:           8
        .value_kind:     global_buffer
      - .actual_access:  read_only
        .address_space:  global
        .offset:         32
        .size:           8
        .value_kind:     global_buffer
      - .offset:         40
        .size:           16
        .value_kind:     by_value
      - .actual_access:  read_only
        .address_space:  global
        .offset:         56
        .size:           8
        .value_kind:     global_buffer
      - .actual_access:  read_only
        .address_space:  global
        .offset:         64
        .size:           8
        .value_kind:     global_buffer
      - .actual_access:  read_only
        .address_space:  global
        .offset:         72
        .size:           8
        .value_kind:     global_buffer
      - .actual_access:  read_only
        .address_space:  global
        .offset:         80
        .size:           8
        .value_kind:     global_buffer
      - .offset:         88
        .size:           16
        .value_kind:     by_value
      - .address_space:  global
        .offset:         104
        .size:           8
        .value_kind:     global_buffer
      - .offset:         112
        .size:           4
        .value_kind:     by_value
      - .offset:         116
        .size:           1
        .value_kind:     by_value
    .group_segment_fixed_size: 16384
    .kernarg_segment_align: 8
    .kernarg_segment_size: 120
    .language:       OpenCL C
    .language_version:
      - 2
      - 0
    .max_flat_workgroup_size: 256
    .name:           _ZN9rocsparseL22csrmvn_adaptive_kernelIlid21rocsparse_complex_numIdES2_S2_EEvbT_PKS3_PjPKT0_NS_24const_host_device_scalarIT4_EES5_S9_PKT1_PKT2_SC_PT3_21rocsparse_index_base_b
    .private_segment_fixed_size: 0
    .sgpr_count:     50
    .sgpr_spill_count: 0
    .symbol:         _ZN9rocsparseL22csrmvn_adaptive_kernelIlid21rocsparse_complex_numIdES2_S2_EEvbT_PKS3_PjPKT0_NS_24const_host_device_scalarIT4_EES5_S9_PKT1_PKT2_SC_PT3_21rocsparse_index_base_b.kd
    .uniform_work_group_size: 1
    .uses_dynamic_stack: false
    .vgpr_count:     46
    .vgpr_spill_count: 0
    .wavefront_size: 32
    .workgroup_processor_mode: 1
  - .args:
      - .offset:         0
        .size:           1
        .value_kind:     by_value
      - .offset:         8
        .size:           8
        .value_kind:     by_value
      - .offset:         16
        .size:           8
        .value_kind:     by_value
      - .actual_access:  read_only
        .address_space:  global
        .offset:         24
        .size:           8
        .value_kind:     global_buffer
      - .offset:         32
        .size:           16
        .value_kind:     by_value
      - .actual_access:  read_only
        .address_space:  global
        .offset:         48
        .size:           8
        .value_kind:     global_buffer
      - .actual_access:  read_only
        .address_space:  global
        .offset:         56
        .size:           8
        .value_kind:     global_buffer
      - .actual_access:  read_only
        .address_space:  global
        .offset:         64
        .size:           8
        .value_kind:     global_buffer
      - .actual_access:  read_only
        .address_space:  global
        .offset:         72
        .size:           8
        .value_kind:     global_buffer
      - .offset:         80
        .size:           16
        .value_kind:     by_value
      - .address_space:  global
        .offset:         96
        .size:           8
        .value_kind:     global_buffer
      - .offset:         104
        .size:           4
        .value_kind:     by_value
      - .offset:         108
        .size:           1
        .value_kind:     by_value
      - .offset:         112
        .size:           4
        .value_kind:     hidden_block_count_x
      - .offset:         116
        .size:           4
        .value_kind:     hidden_block_count_y
      - .offset:         120
        .size:           4
        .value_kind:     hidden_block_count_z
      - .offset:         124
        .size:           2
        .value_kind:     hidden_group_size_x
      - .offset:         126
        .size:           2
        .value_kind:     hidden_group_size_y
      - .offset:         128
        .size:           2
        .value_kind:     hidden_group_size_z
      - .offset:         130
        .size:           2
        .value_kind:     hidden_remainder_x
      - .offset:         132
        .size:           2
        .value_kind:     hidden_remainder_y
      - .offset:         134
        .size:           2
        .value_kind:     hidden_remainder_z
      - .offset:         152
        .size:           8
        .value_kind:     hidden_global_offset_x
      - .offset:         160
        .size:           8
        .value_kind:     hidden_global_offset_y
      - .offset:         168
        .size:           8
        .value_kind:     hidden_global_offset_z
      - .offset:         176
        .size:           2
        .value_kind:     hidden_grid_dims
      - .offset:         232
        .size:           4
        .value_kind:     hidden_dynamic_lds_size
    .group_segment_fixed_size: 16384
    .kernarg_segment_align: 8
    .kernarg_segment_size: 368
    .language:       OpenCL C
    .language_version:
      - 2
      - 0
    .max_flat_workgroup_size: 256
    .name:           _ZN9rocsparseL27csrmvn_symm_adaptive_kernelIlid21rocsparse_complex_numIdES2_S2_EEvbT_S3_PKS3_NS_24const_host_device_scalarIT4_EES5_PKT0_PKT1_PKT2_S8_PT3_21rocsparse_index_base_b
    .private_segment_fixed_size: 0
    .sgpr_count:     44
    .sgpr_spill_count: 0
    .symbol:         _ZN9rocsparseL27csrmvn_symm_adaptive_kernelIlid21rocsparse_complex_numIdES2_S2_EEvbT_S3_PKS3_NS_24const_host_device_scalarIT4_EES5_PKT0_PKT1_PKT2_S8_PT3_21rocsparse_index_base_b.kd
    .uniform_work_group_size: 1
    .uses_dynamic_stack: false
    .vgpr_count:     29
    .vgpr_spill_count: 0
    .wavefront_size: 32
    .workgroup_processor_mode: 1
  - .args:
      - .offset:         0
        .size:           1
        .value_kind:     by_value
      - .offset:         8
        .size:           8
        .value_kind:     by_value
      - .actual_access:  read_only
        .address_space:  global
        .offset:         16
        .size:           8
        .value_kind:     global_buffer
      - .offset:         24
        .size:           16
        .value_kind:     by_value
      - .actual_access:  read_only
        .address_space:  global
        .offset:         40
        .size:           8
        .value_kind:     global_buffer
      - .actual_access:  read_only
        .address_space:  global
        .offset:         48
        .size:           8
        .value_kind:     global_buffer
      - .actual_access:  read_only
        .address_space:  global
        .offset:         56
        .size:           8
        .value_kind:     global_buffer
      - .actual_access:  read_only
        .address_space:  global
        .offset:         64
        .size:           8
        .value_kind:     global_buffer
      - .offset:         72
        .size:           16
        .value_kind:     by_value
      - .address_space:  global
        .offset:         88
        .size:           8
        .value_kind:     global_buffer
      - .offset:         96
        .size:           4
        .value_kind:     by_value
      - .offset:         100
        .size:           1
        .value_kind:     by_value
    .group_segment_fixed_size: 16384
    .kernarg_segment_align: 8
    .kernarg_segment_size: 104
    .language:       OpenCL C
    .language_version:
      - 2
      - 0
    .max_flat_workgroup_size: 256
    .name:           _ZL33csrmvn_symm_large_adaptive_kernelIlid21rocsparse_complex_numIdES1_S1_EvbT_PKS2_N9rocsparse24const_host_device_scalarIT4_EES4_PKT0_PKT1_PKT2_S8_PT3_21rocsparse_index_base_b
    .private_segment_fixed_size: 0
    .sgpr_count:     31
    .sgpr_spill_count: 0
    .symbol:         _ZL33csrmvn_symm_large_adaptive_kernelIlid21rocsparse_complex_numIdES1_S1_EvbT_PKS2_N9rocsparse24const_host_device_scalarIT4_EES4_PKT0_PKT1_PKT2_S8_PT3_21rocsparse_index_base_b.kd
    .uniform_work_group_size: 1
    .uses_dynamic_stack: false
    .vgpr_count:     27
    .vgpr_spill_count: 0
    .wavefront_size: 32
    .workgroup_processor_mode: 1
  - .args:
      - .offset:         0
        .size:           1
        .value_kind:     by_value
      - .offset:         8
        .size:           8
        .value_kind:     by_value
      - .actual_access:  read_only
        .address_space:  global
        .offset:         16
        .size:           8
        .value_kind:     global_buffer
      - .address_space:  global
        .offset:         24
        .size:           8
        .value_kind:     global_buffer
      - .actual_access:  read_only
        .address_space:  global
        .offset:         32
        .size:           8
        .value_kind:     global_buffer
      - .offset:         40
        .size:           16
        .value_kind:     by_value
      - .actual_access:  read_only
        .address_space:  global
        .offset:         56
        .size:           8
        .value_kind:     global_buffer
      - .actual_access:  read_only
        .address_space:  global
        .offset:         64
        .size:           8
        .value_kind:     global_buffer
      - .actual_access:  read_only
        .address_space:  global
        .offset:         72
        .size:           8
        .value_kind:     global_buffer
      - .actual_access:  read_only
        .address_space:  global
        .offset:         80
        .size:           8
        .value_kind:     global_buffer
      - .offset:         88
        .size:           16
        .value_kind:     by_value
      - .address_space:  global
        .offset:         104
        .size:           8
        .value_kind:     global_buffer
      - .offset:         112
        .size:           4
        .value_kind:     by_value
      - .offset:         116
        .size:           1
        .value_kind:     by_value
    .group_segment_fixed_size: 16384
    .kernarg_segment_align: 8
    .kernarg_segment_size: 120
    .language:       OpenCL C
    .language_version:
      - 2
      - 0
    .max_flat_workgroup_size: 256
    .name:           _ZN9rocsparseL22csrmvn_adaptive_kernelIlld21rocsparse_complex_numIdES2_S2_EEvbT_PKS3_PjPKT0_NS_24const_host_device_scalarIT4_EES5_S9_PKT1_PKT2_SC_PT3_21rocsparse_index_base_b
    .private_segment_fixed_size: 0
    .sgpr_count:     46
    .sgpr_spill_count: 0
    .symbol:         _ZN9rocsparseL22csrmvn_adaptive_kernelIlld21rocsparse_complex_numIdES2_S2_EEvbT_PKS3_PjPKT0_NS_24const_host_device_scalarIT4_EES5_S9_PKT1_PKT2_SC_PT3_21rocsparse_index_base_b.kd
    .uniform_work_group_size: 1
    .uses_dynamic_stack: false
    .vgpr_count:     46
    .vgpr_spill_count: 0
    .wavefront_size: 32
    .workgroup_processor_mode: 1
  - .args:
      - .offset:         0
        .size:           1
        .value_kind:     by_value
      - .offset:         8
        .size:           8
        .value_kind:     by_value
      - .offset:         16
        .size:           8
        .value_kind:     by_value
      - .actual_access:  read_only
        .address_space:  global
        .offset:         24
        .size:           8
        .value_kind:     global_buffer
      - .offset:         32
        .size:           16
        .value_kind:     by_value
      - .actual_access:  read_only
        .address_space:  global
        .offset:         48
        .size:           8
        .value_kind:     global_buffer
      - .actual_access:  read_only
        .address_space:  global
        .offset:         56
        .size:           8
        .value_kind:     global_buffer
      - .actual_access:  read_only
        .address_space:  global
        .offset:         64
        .size:           8
        .value_kind:     global_buffer
      - .actual_access:  read_only
        .address_space:  global
        .offset:         72
        .size:           8
        .value_kind:     global_buffer
      - .offset:         80
        .size:           16
        .value_kind:     by_value
      - .address_space:  global
        .offset:         96
        .size:           8
        .value_kind:     global_buffer
      - .offset:         104
        .size:           4
        .value_kind:     by_value
      - .offset:         108
        .size:           1
        .value_kind:     by_value
      - .offset:         112
        .size:           4
        .value_kind:     hidden_block_count_x
      - .offset:         116
        .size:           4
        .value_kind:     hidden_block_count_y
      - .offset:         120
        .size:           4
        .value_kind:     hidden_block_count_z
      - .offset:         124
        .size:           2
        .value_kind:     hidden_group_size_x
      - .offset:         126
        .size:           2
        .value_kind:     hidden_group_size_y
      - .offset:         128
        .size:           2
        .value_kind:     hidden_group_size_z
      - .offset:         130
        .size:           2
        .value_kind:     hidden_remainder_x
      - .offset:         132
        .size:           2
        .value_kind:     hidden_remainder_y
      - .offset:         134
        .size:           2
        .value_kind:     hidden_remainder_z
      - .offset:         152
        .size:           8
        .value_kind:     hidden_global_offset_x
      - .offset:         160
        .size:           8
        .value_kind:     hidden_global_offset_y
      - .offset:         168
        .size:           8
        .value_kind:     hidden_global_offset_z
      - .offset:         176
        .size:           2
        .value_kind:     hidden_grid_dims
      - .offset:         232
        .size:           4
        .value_kind:     hidden_dynamic_lds_size
    .group_segment_fixed_size: 16384
    .kernarg_segment_align: 8
    .kernarg_segment_size: 368
    .language:       OpenCL C
    .language_version:
      - 2
      - 0
    .max_flat_workgroup_size: 256
    .name:           _ZN9rocsparseL27csrmvn_symm_adaptive_kernelIlld21rocsparse_complex_numIdES2_S2_EEvbT_S3_PKS3_NS_24const_host_device_scalarIT4_EES5_PKT0_PKT1_PKT2_S8_PT3_21rocsparse_index_base_b
    .private_segment_fixed_size: 0
    .sgpr_count:     44
    .sgpr_spill_count: 0
    .symbol:         _ZN9rocsparseL27csrmvn_symm_adaptive_kernelIlld21rocsparse_complex_numIdES2_S2_EEvbT_S3_PKS3_NS_24const_host_device_scalarIT4_EES5_PKT0_PKT1_PKT2_S8_PT3_21rocsparse_index_base_b.kd
    .uniform_work_group_size: 1
    .uses_dynamic_stack: false
    .vgpr_count:     33
    .vgpr_spill_count: 0
    .wavefront_size: 32
    .workgroup_processor_mode: 1
  - .args:
      - .offset:         0
        .size:           1
        .value_kind:     by_value
      - .offset:         8
        .size:           8
        .value_kind:     by_value
      - .actual_access:  read_only
        .address_space:  global
        .offset:         16
        .size:           8
        .value_kind:     global_buffer
      - .offset:         24
        .size:           16
        .value_kind:     by_value
      - .actual_access:  read_only
        .address_space:  global
        .offset:         40
        .size:           8
        .value_kind:     global_buffer
      - .actual_access:  read_only
        .address_space:  global
        .offset:         48
        .size:           8
        .value_kind:     global_buffer
      - .actual_access:  read_only
        .address_space:  global
        .offset:         56
        .size:           8
        .value_kind:     global_buffer
      - .actual_access:  read_only
        .address_space:  global
        .offset:         64
        .size:           8
        .value_kind:     global_buffer
      - .offset:         72
        .size:           16
        .value_kind:     by_value
      - .address_space:  global
        .offset:         88
        .size:           8
        .value_kind:     global_buffer
      - .offset:         96
        .size:           4
        .value_kind:     by_value
      - .offset:         100
        .size:           1
        .value_kind:     by_value
    .group_segment_fixed_size: 16384
    .kernarg_segment_align: 8
    .kernarg_segment_size: 104
    .language:       OpenCL C
    .language_version:
      - 2
      - 0
    .max_flat_workgroup_size: 256
    .name:           _ZL33csrmvn_symm_large_adaptive_kernelIlld21rocsparse_complex_numIdES1_S1_EvbT_PKS2_N9rocsparse24const_host_device_scalarIT4_EES4_PKT0_PKT1_PKT2_S8_PT3_21rocsparse_index_base_b
    .private_segment_fixed_size: 0
    .sgpr_count:     32
    .sgpr_spill_count: 0
    .symbol:         _ZL33csrmvn_symm_large_adaptive_kernelIlld21rocsparse_complex_numIdES1_S1_EvbT_PKS2_N9rocsparse24const_host_device_scalarIT4_EES4_PKT0_PKT1_PKT2_S8_PT3_21rocsparse_index_base_b.kd
    .uniform_work_group_size: 1
    .uses_dynamic_stack: false
    .vgpr_count:     27
    .vgpr_spill_count: 0
    .wavefront_size: 32
    .workgroup_processor_mode: 1
  - .args:
      - .offset:         0
        .size:           1
        .value_kind:     by_value
      - .offset:         4
        .size:           4
        .value_kind:     by_value
      - .actual_access:  read_only
        .address_space:  global
        .offset:         8
        .size:           8
        .value_kind:     global_buffer
      - .address_space:  global
        .offset:         16
        .size:           8
        .value_kind:     global_buffer
      - .actual_access:  read_only
        .address_space:  global
        .offset:         24
        .size:           8
        .value_kind:     global_buffer
      - .offset:         32
        .size:           16
        .value_kind:     by_value
      - .actual_access:  read_only
        .address_space:  global
        .offset:         48
        .size:           8
        .value_kind:     global_buffer
      - .actual_access:  read_only
        .address_space:  global
        .offset:         56
        .size:           8
        .value_kind:     global_buffer
      - .actual_access:  read_only
        .address_space:  global
        .offset:         64
        .size:           8
        .value_kind:     global_buffer
      - .actual_access:  read_only
        .address_space:  global
        .offset:         72
        .size:           8
        .value_kind:     global_buffer
      - .offset:         80
        .size:           16
        .value_kind:     by_value
      - .address_space:  global
        .offset:         96
        .size:           8
        .value_kind:     global_buffer
      - .offset:         104
        .size:           4
        .value_kind:     by_value
      - .offset:         108
        .size:           1
        .value_kind:     by_value
    .group_segment_fixed_size: 16384
    .kernarg_segment_align: 8
    .kernarg_segment_size: 112
    .language:       OpenCL C
    .language_version:
      - 2
      - 0
    .max_flat_workgroup_size: 256
    .name:           _ZN9rocsparseL22csrmvn_adaptive_kernelIii21rocsparse_complex_numIfES1_IdES3_S3_EEvbT_PKS4_PjPKT0_NS_24const_host_device_scalarIT4_EES6_SA_PKT1_PKT2_SD_PT3_21rocsparse_index_base_b
    .private_segment_fixed_size: 0
    .sgpr_count:     46
    .sgpr_spill_count: 0
    .symbol:         _ZN9rocsparseL22csrmvn_adaptive_kernelIii21rocsparse_complex_numIfES1_IdES3_S3_EEvbT_PKS4_PjPKT0_NS_24const_host_device_scalarIT4_EES6_SA_PKT1_PKT2_SD_PT3_21rocsparse_index_base_b.kd
    .uniform_work_group_size: 1
    .uses_dynamic_stack: false
    .vgpr_count:     50
    .vgpr_spill_count: 0
    .wavefront_size: 32
    .workgroup_processor_mode: 1
  - .args:
      - .offset:         0
        .size:           1
        .value_kind:     by_value
      - .offset:         4
        .size:           4
        .value_kind:     by_value
      - .offset:         8
        .size:           4
        .value_kind:     by_value
      - .actual_access:  read_only
        .address_space:  global
        .offset:         16
        .size:           8
        .value_kind:     global_buffer
      - .offset:         24
        .size:           16
        .value_kind:     by_value
      - .actual_access:  read_only
        .address_space:  global
        .offset:         40
        .size:           8
        .value_kind:     global_buffer
      - .actual_access:  read_only
        .address_space:  global
        .offset:         48
        .size:           8
        .value_kind:     global_buffer
      - .actual_access:  read_only
        .address_space:  global
        .offset:         56
        .size:           8
        .value_kind:     global_buffer
      - .actual_access:  read_only
        .address_space:  global
        .offset:         64
        .size:           8
        .value_kind:     global_buffer
      - .offset:         72
        .size:           16
        .value_kind:     by_value
      - .address_space:  global
        .offset:         88
        .size:           8
        .value_kind:     global_buffer
      - .offset:         96
        .size:           4
        .value_kind:     by_value
      - .offset:         100
        .size:           1
        .value_kind:     by_value
      - .offset:         104
        .size:           4
        .value_kind:     hidden_block_count_x
      - .offset:         108
        .size:           4
        .value_kind:     hidden_block_count_y
      - .offset:         112
        .size:           4
        .value_kind:     hidden_block_count_z
      - .offset:         116
        .size:           2
        .value_kind:     hidden_group_size_x
      - .offset:         118
        .size:           2
        .value_kind:     hidden_group_size_y
      - .offset:         120
        .size:           2
        .value_kind:     hidden_group_size_z
      - .offset:         122
        .size:           2
        .value_kind:     hidden_remainder_x
      - .offset:         124
        .size:           2
        .value_kind:     hidden_remainder_y
      - .offset:         126
        .size:           2
        .value_kind:     hidden_remainder_z
      - .offset:         144
        .size:           8
        .value_kind:     hidden_global_offset_x
      - .offset:         152
        .size:           8
        .value_kind:     hidden_global_offset_y
      - .offset:         160
        .size:           8
        .value_kind:     hidden_global_offset_z
      - .offset:         168
        .size:           2
        .value_kind:     hidden_grid_dims
      - .offset:         224
        .size:           4
        .value_kind:     hidden_dynamic_lds_size
    .group_segment_fixed_size: 16384
    .kernarg_segment_align: 8
    .kernarg_segment_size: 360
    .language:       OpenCL C
    .language_version:
      - 2
      - 0
    .max_flat_workgroup_size: 256
    .name:           _ZN9rocsparseL27csrmvn_symm_adaptive_kernelIii21rocsparse_complex_numIfES1_IdES3_S3_EEvbT_S4_PKS4_NS_24const_host_device_scalarIT4_EES6_PKT0_PKT1_PKT2_S9_PT3_21rocsparse_index_base_b
    .private_segment_fixed_size: 0
    .sgpr_count:     34
    .sgpr_spill_count: 0
    .symbol:         _ZN9rocsparseL27csrmvn_symm_adaptive_kernelIii21rocsparse_complex_numIfES1_IdES3_S3_EEvbT_S4_PKS4_NS_24const_host_device_scalarIT4_EES6_PKT0_PKT1_PKT2_S9_PT3_21rocsparse_index_base_b.kd
    .uniform_work_group_size: 1
    .uses_dynamic_stack: false
    .vgpr_count:     35
    .vgpr_spill_count: 0
    .wavefront_size: 32
    .workgroup_processor_mode: 1
  - .args:
      - .offset:         0
        .size:           1
        .value_kind:     by_value
      - .offset:         4
        .size:           4
        .value_kind:     by_value
      - .actual_access:  read_only
        .address_space:  global
        .offset:         8
        .size:           8
        .value_kind:     global_buffer
      - .offset:         16
        .size:           16
        .value_kind:     by_value
      - .actual_access:  read_only
        .address_space:  global
        .offset:         32
        .size:           8
        .value_kind:     global_buffer
      - .actual_access:  read_only
        .address_space:  global
        .offset:         40
        .size:           8
        .value_kind:     global_buffer
      - .actual_access:  read_only
        .address_space:  global
        .offset:         48
        .size:           8
        .value_kind:     global_buffer
      - .actual_access:  read_only
        .address_space:  global
        .offset:         56
        .size:           8
        .value_kind:     global_buffer
      - .offset:         64
        .size:           16
        .value_kind:     by_value
      - .address_space:  global
        .offset:         80
        .size:           8
        .value_kind:     global_buffer
      - .offset:         88
        .size:           4
        .value_kind:     by_value
      - .offset:         92
        .size:           1
        .value_kind:     by_value
    .group_segment_fixed_size: 16384
    .kernarg_segment_align: 8
    .kernarg_segment_size: 96
    .language:       OpenCL C
    .language_version:
      - 2
      - 0
    .max_flat_workgroup_size: 256
    .name:           _ZL33csrmvn_symm_large_adaptive_kernelIii21rocsparse_complex_numIfES0_IdES2_S2_EvbT_PKS3_N9rocsparse24const_host_device_scalarIT4_EES5_PKT0_PKT1_PKT2_S9_PT3_21rocsparse_index_base_b
    .private_segment_fixed_size: 0
    .sgpr_count:     30
    .sgpr_spill_count: 0
    .symbol:         _ZL33csrmvn_symm_large_adaptive_kernelIii21rocsparse_complex_numIfES0_IdES2_S2_EvbT_PKS3_N9rocsparse24const_host_device_scalarIT4_EES5_PKT0_PKT1_PKT2_S9_PT3_21rocsparse_index_base_b.kd
    .uniform_work_group_size: 1
    .uses_dynamic_stack: false
    .vgpr_count:     25
    .vgpr_spill_count: 0
    .wavefront_size: 32
    .workgroup_processor_mode: 1
  - .args:
      - .offset:         0
        .size:           1
        .value_kind:     by_value
      - .offset:         8
        .size:           8
        .value_kind:     by_value
      - .actual_access:  read_only
        .address_space:  global
        .offset:         16
        .size:           8
        .value_kind:     global_buffer
      - .address_space:  global
        .offset:         24
        .size:           8
        .value_kind:     global_buffer
      - .actual_access:  read_only
        .address_space:  global
        .offset:         32
        .size:           8
        .value_kind:     global_buffer
      - .offset:         40
        .size:           16
        .value_kind:     by_value
      - .actual_access:  read_only
        .address_space:  global
        .offset:         56
        .size:           8
        .value_kind:     global_buffer
      - .actual_access:  read_only
        .address_space:  global
        .offset:         64
        .size:           8
        .value_kind:     global_buffer
      - .actual_access:  read_only
        .address_space:  global
        .offset:         72
        .size:           8
        .value_kind:     global_buffer
      - .actual_access:  read_only
        .address_space:  global
        .offset:         80
        .size:           8
        .value_kind:     global_buffer
      - .offset:         88
        .size:           16
        .value_kind:     by_value
      - .address_space:  global
        .offset:         104
        .size:           8
        .value_kind:     global_buffer
      - .offset:         112
        .size:           4
        .value_kind:     by_value
      - .offset:         116
        .size:           1
        .value_kind:     by_value
    .group_segment_fixed_size: 16384
    .kernarg_segment_align: 8
    .kernarg_segment_size: 120
    .language:       OpenCL C
    .language_version:
      - 2
      - 0
    .max_flat_workgroup_size: 256
    .name:           _ZN9rocsparseL22csrmvn_adaptive_kernelIli21rocsparse_complex_numIfES1_IdES3_S3_EEvbT_PKS4_PjPKT0_NS_24const_host_device_scalarIT4_EES6_SA_PKT1_PKT2_SD_PT3_21rocsparse_index_base_b
    .private_segment_fixed_size: 0
    .sgpr_count:     50
    .sgpr_spill_count: 0
    .symbol:         _ZN9rocsparseL22csrmvn_adaptive_kernelIli21rocsparse_complex_numIfES1_IdES3_S3_EEvbT_PKS4_PjPKT0_NS_24const_host_device_scalarIT4_EES6_SA_PKT1_PKT2_SD_PT3_21rocsparse_index_base_b.kd
    .uniform_work_group_size: 1
    .uses_dynamic_stack: false
    .vgpr_count:     50
    .vgpr_spill_count: 0
    .wavefront_size: 32
    .workgroup_processor_mode: 1
  - .args:
      - .offset:         0
        .size:           1
        .value_kind:     by_value
      - .offset:         8
        .size:           8
        .value_kind:     by_value
      - .offset:         16
        .size:           8
        .value_kind:     by_value
      - .actual_access:  read_only
        .address_space:  global
        .offset:         24
        .size:           8
        .value_kind:     global_buffer
      - .offset:         32
        .size:           16
        .value_kind:     by_value
      - .actual_access:  read_only
        .address_space:  global
        .offset:         48
        .size:           8
        .value_kind:     global_buffer
      - .actual_access:  read_only
        .address_space:  global
        .offset:         56
        .size:           8
        .value_kind:     global_buffer
      - .actual_access:  read_only
        .address_space:  global
        .offset:         64
        .size:           8
        .value_kind:     global_buffer
      - .actual_access:  read_only
        .address_space:  global
        .offset:         72
        .size:           8
        .value_kind:     global_buffer
      - .offset:         80
        .size:           16
        .value_kind:     by_value
      - .address_space:  global
        .offset:         96
        .size:           8
        .value_kind:     global_buffer
      - .offset:         104
        .size:           4
        .value_kind:     by_value
      - .offset:         108
        .size:           1
        .value_kind:     by_value
      - .offset:         112
        .size:           4
        .value_kind:     hidden_block_count_x
      - .offset:         116
        .size:           4
        .value_kind:     hidden_block_count_y
      - .offset:         120
        .size:           4
        .value_kind:     hidden_block_count_z
      - .offset:         124
        .size:           2
        .value_kind:     hidden_group_size_x
      - .offset:         126
        .size:           2
        .value_kind:     hidden_group_size_y
      - .offset:         128
        .size:           2
        .value_kind:     hidden_group_size_z
      - .offset:         130
        .size:           2
        .value_kind:     hidden_remainder_x
      - .offset:         132
        .size:           2
        .value_kind:     hidden_remainder_y
      - .offset:         134
        .size:           2
        .value_kind:     hidden_remainder_z
      - .offset:         152
        .size:           8
        .value_kind:     hidden_global_offset_x
      - .offset:         160
        .size:           8
        .value_kind:     hidden_global_offset_y
      - .offset:         168
        .size:           8
        .value_kind:     hidden_global_offset_z
      - .offset:         176
        .size:           2
        .value_kind:     hidden_grid_dims
      - .offset:         232
        .size:           4
        .value_kind:     hidden_dynamic_lds_size
    .group_segment_fixed_size: 16384
    .kernarg_segment_align: 8
    .kernarg_segment_size: 368
    .language:       OpenCL C
    .language_version:
      - 2
      - 0
    .max_flat_workgroup_size: 256
    .name:           _ZN9rocsparseL27csrmvn_symm_adaptive_kernelIli21rocsparse_complex_numIfES1_IdES3_S3_EEvbT_S4_PKS4_NS_24const_host_device_scalarIT4_EES6_PKT0_PKT1_PKT2_S9_PT3_21rocsparse_index_base_b
    .private_segment_fixed_size: 0
    .sgpr_count:     44
    .sgpr_spill_count: 0
    .symbol:         _ZN9rocsparseL27csrmvn_symm_adaptive_kernelIli21rocsparse_complex_numIfES1_IdES3_S3_EEvbT_S4_PKS4_NS_24const_host_device_scalarIT4_EES6_PKT0_PKT1_PKT2_S9_PT3_21rocsparse_index_base_b.kd
    .uniform_work_group_size: 1
    .uses_dynamic_stack: false
    .vgpr_count:     35
    .vgpr_spill_count: 0
    .wavefront_size: 32
    .workgroup_processor_mode: 1
  - .args:
      - .offset:         0
        .size:           1
        .value_kind:     by_value
      - .offset:         8
        .size:           8
        .value_kind:     by_value
      - .actual_access:  read_only
        .address_space:  global
        .offset:         16
        .size:           8
        .value_kind:     global_buffer
      - .offset:         24
        .size:           16
        .value_kind:     by_value
      - .actual_access:  read_only
        .address_space:  global
        .offset:         40
        .size:           8
        .value_kind:     global_buffer
      - .actual_access:  read_only
        .address_space:  global
        .offset:         48
        .size:           8
        .value_kind:     global_buffer
      - .actual_access:  read_only
        .address_space:  global
        .offset:         56
        .size:           8
        .value_kind:     global_buffer
      - .actual_access:  read_only
        .address_space:  global
        .offset:         64
        .size:           8
        .value_kind:     global_buffer
      - .offset:         72
        .size:           16
        .value_kind:     by_value
      - .address_space:  global
        .offset:         88
        .size:           8
        .value_kind:     global_buffer
      - .offset:         96
        .size:           4
        .value_kind:     by_value
      - .offset:         100
        .size:           1
        .value_kind:     by_value
    .group_segment_fixed_size: 16384
    .kernarg_segment_align: 8
    .kernarg_segment_size: 104
    .language:       OpenCL C
    .language_version:
      - 2
      - 0
    .max_flat_workgroup_size: 256
    .name:           _ZL33csrmvn_symm_large_adaptive_kernelIli21rocsparse_complex_numIfES0_IdES2_S2_EvbT_PKS3_N9rocsparse24const_host_device_scalarIT4_EES5_PKT0_PKT1_PKT2_S9_PT3_21rocsparse_index_base_b
    .private_segment_fixed_size: 0
    .sgpr_count:     42
    .sgpr_spill_count: 0
    .symbol:         _ZL33csrmvn_symm_large_adaptive_kernelIli21rocsparse_complex_numIfES0_IdES2_S2_EvbT_PKS3_N9rocsparse24const_host_device_scalarIT4_EES5_PKT0_PKT1_PKT2_S9_PT3_21rocsparse_index_base_b.kd
    .uniform_work_group_size: 1
    .uses_dynamic_stack: false
    .vgpr_count:     27
    .vgpr_spill_count: 0
    .wavefront_size: 32
    .workgroup_processor_mode: 1
  - .args:
      - .offset:         0
        .size:           1
        .value_kind:     by_value
      - .offset:         8
        .size:           8
        .value_kind:     by_value
      - .actual_access:  read_only
        .address_space:  global
        .offset:         16
        .size:           8
        .value_kind:     global_buffer
      - .address_space:  global
        .offset:         24
        .size:           8
        .value_kind:     global_buffer
      - .actual_access:  read_only
        .address_space:  global
        .offset:         32
        .size:           8
        .value_kind:     global_buffer
      - .offset:         40
        .size:           16
        .value_kind:     by_value
      - .actual_access:  read_only
        .address_space:  global
        .offset:         56
        .size:           8
        .value_kind:     global_buffer
      - .actual_access:  read_only
        .address_space:  global
        .offset:         64
        .size:           8
        .value_kind:     global_buffer
      - .actual_access:  read_only
        .address_space:  global
        .offset:         72
        .size:           8
        .value_kind:     global_buffer
      - .actual_access:  read_only
        .address_space:  global
        .offset:         80
        .size:           8
        .value_kind:     global_buffer
      - .offset:         88
        .size:           16
        .value_kind:     by_value
      - .address_space:  global
        .offset:         104
        .size:           8
        .value_kind:     global_buffer
      - .offset:         112
        .size:           4
        .value_kind:     by_value
      - .offset:         116
        .size:           1
        .value_kind:     by_value
    .group_segment_fixed_size: 16384
    .kernarg_segment_align: 8
    .kernarg_segment_size: 120
    .language:       OpenCL C
    .language_version:
      - 2
      - 0
    .max_flat_workgroup_size: 256
    .name:           _ZN9rocsparseL22csrmvn_adaptive_kernelIll21rocsparse_complex_numIfES1_IdES3_S3_EEvbT_PKS4_PjPKT0_NS_24const_host_device_scalarIT4_EES6_SA_PKT1_PKT2_SD_PT3_21rocsparse_index_base_b
    .private_segment_fixed_size: 0
    .sgpr_count:     50
    .sgpr_spill_count: 0
    .symbol:         _ZN9rocsparseL22csrmvn_adaptive_kernelIll21rocsparse_complex_numIfES1_IdES3_S3_EEvbT_PKS4_PjPKT0_NS_24const_host_device_scalarIT4_EES6_SA_PKT1_PKT2_SD_PT3_21rocsparse_index_base_b.kd
    .uniform_work_group_size: 1
    .uses_dynamic_stack: false
    .vgpr_count:     50
    .vgpr_spill_count: 0
    .wavefront_size: 32
    .workgroup_processor_mode: 1
  - .args:
      - .offset:         0
        .size:           1
        .value_kind:     by_value
      - .offset:         8
        .size:           8
        .value_kind:     by_value
      - .offset:         16
        .size:           8
        .value_kind:     by_value
      - .actual_access:  read_only
        .address_space:  global
        .offset:         24
        .size:           8
        .value_kind:     global_buffer
      - .offset:         32
        .size:           16
        .value_kind:     by_value
      - .actual_access:  read_only
        .address_space:  global
        .offset:         48
        .size:           8
        .value_kind:     global_buffer
      - .actual_access:  read_only
        .address_space:  global
        .offset:         56
        .size:           8
        .value_kind:     global_buffer
      - .actual_access:  read_only
        .address_space:  global
        .offset:         64
        .size:           8
        .value_kind:     global_buffer
      - .actual_access:  read_only
        .address_space:  global
        .offset:         72
        .size:           8
        .value_kind:     global_buffer
      - .offset:         80
        .size:           16
        .value_kind:     by_value
      - .address_space:  global
        .offset:         96
        .size:           8
        .value_kind:     global_buffer
      - .offset:         104
        .size:           4
        .value_kind:     by_value
      - .offset:         108
        .size:           1
        .value_kind:     by_value
      - .offset:         112
        .size:           4
        .value_kind:     hidden_block_count_x
      - .offset:         116
        .size:           4
        .value_kind:     hidden_block_count_y
      - .offset:         120
        .size:           4
        .value_kind:     hidden_block_count_z
      - .offset:         124
        .size:           2
        .value_kind:     hidden_group_size_x
      - .offset:         126
        .size:           2
        .value_kind:     hidden_group_size_y
      - .offset:         128
        .size:           2
        .value_kind:     hidden_group_size_z
      - .offset:         130
        .size:           2
        .value_kind:     hidden_remainder_x
      - .offset:         132
        .size:           2
        .value_kind:     hidden_remainder_y
      - .offset:         134
        .size:           2
        .value_kind:     hidden_remainder_z
      - .offset:         152
        .size:           8
        .value_kind:     hidden_global_offset_x
      - .offset:         160
        .size:           8
        .value_kind:     hidden_global_offset_y
      - .offset:         168
        .size:           8
        .value_kind:     hidden_global_offset_z
      - .offset:         176
        .size:           2
        .value_kind:     hidden_grid_dims
      - .offset:         232
        .size:           4
        .value_kind:     hidden_dynamic_lds_size
    .group_segment_fixed_size: 16384
    .kernarg_segment_align: 8
    .kernarg_segment_size: 368
    .language:       OpenCL C
    .language_version:
      - 2
      - 0
    .max_flat_workgroup_size: 256
    .name:           _ZN9rocsparseL27csrmvn_symm_adaptive_kernelIll21rocsparse_complex_numIfES1_IdES3_S3_EEvbT_S4_PKS4_NS_24const_host_device_scalarIT4_EES6_PKT0_PKT1_PKT2_S9_PT3_21rocsparse_index_base_b
    .private_segment_fixed_size: 0
    .sgpr_count:     44
    .sgpr_spill_count: 0
    .symbol:         _ZN9rocsparseL27csrmvn_symm_adaptive_kernelIll21rocsparse_complex_numIfES1_IdES3_S3_EEvbT_S4_PKS4_NS_24const_host_device_scalarIT4_EES6_PKT0_PKT1_PKT2_S9_PT3_21rocsparse_index_base_b.kd
    .uniform_work_group_size: 1
    .uses_dynamic_stack: false
    .vgpr_count:     39
    .vgpr_spill_count: 0
    .wavefront_size: 32
    .workgroup_processor_mode: 1
  - .args:
      - .offset:         0
        .size:           1
        .value_kind:     by_value
      - .offset:         8
        .size:           8
        .value_kind:     by_value
      - .actual_access:  read_only
        .address_space:  global
        .offset:         16
        .size:           8
        .value_kind:     global_buffer
      - .offset:         24
        .size:           16
        .value_kind:     by_value
      - .actual_access:  read_only
        .address_space:  global
        .offset:         40
        .size:           8
        .value_kind:     global_buffer
      - .actual_access:  read_only
        .address_space:  global
        .offset:         48
        .size:           8
        .value_kind:     global_buffer
      - .actual_access:  read_only
        .address_space:  global
        .offset:         56
        .size:           8
        .value_kind:     global_buffer
      - .actual_access:  read_only
        .address_space:  global
        .offset:         64
        .size:           8
        .value_kind:     global_buffer
      - .offset:         72
        .size:           16
        .value_kind:     by_value
      - .address_space:  global
        .offset:         88
        .size:           8
        .value_kind:     global_buffer
      - .offset:         96
        .size:           4
        .value_kind:     by_value
      - .offset:         100
        .size:           1
        .value_kind:     by_value
    .group_segment_fixed_size: 16384
    .kernarg_segment_align: 8
    .kernarg_segment_size: 104
    .language:       OpenCL C
    .language_version:
      - 2
      - 0
    .max_flat_workgroup_size: 256
    .name:           _ZL33csrmvn_symm_large_adaptive_kernelIll21rocsparse_complex_numIfES0_IdES2_S2_EvbT_PKS3_N9rocsparse24const_host_device_scalarIT4_EES5_PKT0_PKT1_PKT2_S9_PT3_21rocsparse_index_base_b
    .private_segment_fixed_size: 0
    .sgpr_count:     42
    .sgpr_spill_count: 0
    .symbol:         _ZL33csrmvn_symm_large_adaptive_kernelIll21rocsparse_complex_numIfES0_IdES2_S2_EvbT_PKS3_N9rocsparse24const_host_device_scalarIT4_EES5_PKT0_PKT1_PKT2_S9_PT3_21rocsparse_index_base_b.kd
    .uniform_work_group_size: 1
    .uses_dynamic_stack: false
    .vgpr_count:     27
    .vgpr_spill_count: 0
    .wavefront_size: 32
    .workgroup_processor_mode: 1
amdhsa.target:   amdgcn-amd-amdhsa--gfx1201
amdhsa.version:
  - 1
  - 2
...

	.end_amdgpu_metadata
